;; amdgpu-corpus repo=vllm-project/vllm kind=compiled arch=gfx1100 opt=O3
	.text
	.amdgcn_target "amdgcn-amd-amdhsa--gfx1100"
	.amdhsa_code_object_version 6
	.section	.text._ZN12tensorrt_llm7kernels21fusedQKNormRopeKernelIN3c104HalfEfLi64ELb1EEEvPviiifPKvS6_S6_PKlii,"axG",@progbits,_ZN12tensorrt_llm7kernels21fusedQKNormRopeKernelIN3c104HalfEfLi64ELb1EEEvPviiifPKvS6_S6_PKlii,comdat
	.protected	_ZN12tensorrt_llm7kernels21fusedQKNormRopeKernelIN3c104HalfEfLi64ELb1EEEvPviiifPKvS6_S6_PKlii ; -- Begin function _ZN12tensorrt_llm7kernels21fusedQKNormRopeKernelIN3c104HalfEfLi64ELb1EEEvPviiifPKvS6_S6_PKlii
	.globl	_ZN12tensorrt_llm7kernels21fusedQKNormRopeKernelIN3c104HalfEfLi64ELb1EEEvPviiifPKvS6_S6_PKlii
	.p2align	8
	.type	_ZN12tensorrt_llm7kernels21fusedQKNormRopeKernelIN3c104HalfEfLi64ELb1EEEvPviiifPKvS6_S6_PKlii,@function
_ZN12tensorrt_llm7kernels21fusedQKNormRopeKernelIN3c104HalfEfLi64ELb1EEEvPviiifPKvS6_S6_PKlii: ; @_ZN12tensorrt_llm7kernels21fusedQKNormRopeKernelIN3c104HalfEfLi64ELb1EEEvPviiifPKvS6_S6_PKlii
; %bb.0:
	s_clause 0x2
	s_load_b128 s[8:11], s[0:1], 0x8
	s_load_b64 s[12:13], s[0:1], 0x38
	s_load_b32 s4, s[0:1], 0x4c
	v_lshrrev_b32_e32 v3, 5, v0
	s_waitcnt lgkmcnt(0)
	s_add_i32 s2, s9, s8
	s_bfe_u32 s4, s4, 0xb0005
	s_abs_i32 s3, s2
	s_delay_alu instid0(SALU_CYCLE_1) | instskip(SKIP_1) | instid1(VALU_DEP_1)
	v_cvt_f32_u32_e32 v1, s3
	s_sub_i32 s5, 0, s3
	v_rcp_iflag_f32_e32 v1, v1
	s_waitcnt_depctr 0xfff
	v_mul_f32_e32 v1, 0x4f7ffffe, v1
	s_delay_alu instid0(VALU_DEP_1) | instskip(NEXT) | instid1(VALU_DEP_1)
	v_cvt_u32_f32_e32 v4, v1
	v_mul_lo_u32 v5, s5, v4
	v_mad_u64_u32 v[1:2], null, s15, s4, v[3:4]
	s_delay_alu instid0(VALU_DEP_2) | instskip(NEXT) | instid1(VALU_DEP_2)
	v_mul_hi_u32 v2, v4, v5
	v_sub_nc_u32_e32 v3, 0, v1
	s_delay_alu instid0(VALU_DEP_1) | instskip(NEXT) | instid1(VALU_DEP_3)
	v_max_i32_e32 v3, v1, v3
	v_add_nc_u32_e32 v2, v4, v2
	s_delay_alu instid0(VALU_DEP_1) | instskip(NEXT) | instid1(VALU_DEP_1)
	v_mul_hi_u32 v2, v3, v2
	v_mul_lo_u32 v4, v2, s3
	s_delay_alu instid0(VALU_DEP_1) | instskip(NEXT) | instid1(VALU_DEP_1)
	v_sub_nc_u32_e32 v3, v3, v4
	v_subrev_nc_u32_e32 v5, s3, v3
	v_cmp_le_u32_e32 vcc_lo, s3, v3
	s_delay_alu instid0(VALU_DEP_2) | instskip(NEXT) | instid1(VALU_DEP_1)
	v_dual_cndmask_b32 v3, v3, v5 :: v_dual_add_nc_u32 v4, 1, v2
	v_cndmask_b32_e32 v2, v2, v4, vcc_lo
	v_xor_b32_e32 v4, s2, v1
	s_delay_alu instid0(VALU_DEP_3) | instskip(NEXT) | instid1(VALU_DEP_3)
	v_cmp_le_u32_e32 vcc_lo, s3, v3
	v_add_nc_u32_e32 v5, 1, v2
	s_delay_alu instid0(VALU_DEP_3) | instskip(SKIP_1) | instid1(VALU_DEP_2)
	v_ashrrev_i32_e32 v4, 31, v4
	s_mov_b32 s3, exec_lo
	v_cndmask_b32_e32 v2, v2, v5, vcc_lo
	s_delay_alu instid0(VALU_DEP_1) | instskip(NEXT) | instid1(VALU_DEP_1)
	v_xor_b32_e32 v2, v2, v4
	v_sub_nc_u32_e32 v2, v2, v4
	s_delay_alu instid0(VALU_DEP_1)
	v_cmpx_gt_i32_e64 s12, v2
	s_cbranch_execz .LBB0_4
; %bb.1:
	v_mul_lo_u32 v3, v2, s2
	s_add_i32 s2, s2, s10
	v_and_b32_e32 v7, 31, v0
	v_mul_lo_u32 v4, v2, s2
	s_load_b64 s[2:3], s[0:1], 0x0
	s_delay_alu instid0(VALU_DEP_3) | instskip(NEXT) | instid1(VALU_DEP_1)
	v_sub_nc_u32_e32 v1, v1, v3
	v_cmp_gt_i32_e32 vcc_lo, s8, v1
	v_cndmask_b32_e64 v3, s8, 0, vcc_lo
	s_delay_alu instid0(VALU_DEP_1) | instskip(SKIP_1) | instid1(VALU_DEP_2)
	v_sub_nc_u32_e32 v0, v1, v3
	v_lshlrev_b32_e32 v1, 1, v7
	v_add3_u32 v0, v4, v3, v0
	s_delay_alu instid0(VALU_DEP_1) | instskip(NEXT) | instid1(VALU_DEP_1)
	v_lshl_or_b32 v0, v0, 6, v1
	v_ashrrev_i32_e32 v1, 31, v0
	s_delay_alu instid0(VALU_DEP_1) | instskip(SKIP_1) | instid1(VALU_DEP_1)
	v_lshlrev_b64 v[0:1], 1, v[0:1]
	s_waitcnt lgkmcnt(0)
	v_add_co_u32 v0, s2, s2, v0
	s_delay_alu instid0(VALU_DEP_1)
	v_add_co_ci_u32_e64 v1, s2, s3, v1, s2
	s_load_b256 s[0:7], s[0:1], 0x18
	global_load_b32 v3, v[0:1], off
	s_waitcnt lgkmcnt(0)
	v_dual_mov_b32 v6, s1 :: v_dual_mov_b32 v5, s0
	v_lshlrev_b32_e32 v4, 2, v7
	s_lshr_b32 s0, s13, 31
	s_delay_alu instid0(VALU_DEP_2) | instskip(NEXT) | instid1(VALU_DEP_3)
	v_cndmask_b32_e32 v6, s3, v6, vcc_lo
	v_cndmask_b32_e32 v5, s2, v5, vcc_lo
	s_add_i32 s0, s13, s0
	s_mov_b32 s2, exec_lo
	s_ashr_i32 s0, s0, 1
	s_delay_alu instid0(VALU_DEP_1) | instskip(SKIP_3) | instid1(VALU_DEP_1)
	v_add_co_u32 v5, vcc_lo, v5, v4
	v_add_co_ci_u32_e32 v6, vcc_lo, 0, v6, vcc_lo
	global_load_b32 v5, v[5:6], off
	v_mbcnt_lo_u32_b32 v6, -1, 0
	v_xor_b32_e32 v8, 16, v6
	v_xor_b32_e32 v11, 8, v6
	s_delay_alu instid0(VALU_DEP_2) | instskip(SKIP_1) | instid1(VALU_DEP_3)
	v_cmp_gt_i32_e32 vcc_lo, 32, v8
	v_cndmask_b32_e32 v8, v6, v8, vcc_lo
	v_cmp_gt_i32_e32 vcc_lo, 32, v11
	v_cndmask_b32_e32 v11, v6, v11, vcc_lo
	s_delay_alu instid0(VALU_DEP_1) | instskip(NEXT) | instid1(VALU_DEP_4)
	v_lshlrev_b32_e32 v11, 2, v11
	v_lshlrev_b32_e32 v8, 2, v8
	s_waitcnt vmcnt(1)
	v_cvt_f32_f16_e32 v9, v3
	s_delay_alu instid0(VALU_DEP_1) | instskip(NEXT) | instid1(VALU_DEP_1)
	v_mul_f32_e32 v10, v9, v9
	v_fma_mix_f32 v10, v3, v3, v10 op_sel:[1,1,0] op_sel_hi:[1,1,0]
	v_lshrrev_b32_e32 v3, 16, v3
	ds_bpermute_b32 v8, v8, v10
	v_cvt_f32_f16_e32 v3, v3
	s_waitcnt lgkmcnt(0)
	v_add_f32_e32 v8, v10, v8
	ds_bpermute_b32 v10, v11, v8
	v_xor_b32_e32 v11, 4, v6
	s_delay_alu instid0(VALU_DEP_1) | instskip(SKIP_2) | instid1(VALU_DEP_1)
	v_cmp_gt_i32_e32 vcc_lo, 32, v11
	v_cndmask_b32_e32 v11, v6, v11, vcc_lo
	s_waitcnt lgkmcnt(0)
	v_dual_add_f32 v8, v8, v10 :: v_dual_lshlrev_b32 v11, 2, v11
	ds_bpermute_b32 v10, v11, v8
	v_xor_b32_e32 v11, 2, v6
	s_delay_alu instid0(VALU_DEP_1) | instskip(SKIP_2) | instid1(VALU_DEP_1)
	v_cmp_gt_i32_e32 vcc_lo, 32, v11
	s_waitcnt lgkmcnt(0)
	v_dual_cndmask_b32 v11, v6, v11 :: v_dual_add_f32 v8, v8, v10
	v_lshlrev_b32_e32 v11, 2, v11
	ds_bpermute_b32 v10, v11, v8
	v_xor_b32_e32 v11, 1, v6
	s_delay_alu instid0(VALU_DEP_1) | instskip(SKIP_1) | instid1(VALU_DEP_1)
	v_cmp_gt_i32_e32 vcc_lo, 32, v11
	v_cndmask_b32_e32 v6, v6, v11, vcc_lo
	v_lshlrev_b32_e32 v6, 2, v6
	s_waitcnt lgkmcnt(0)
	v_add_f32_e32 v8, v8, v10
	v_mov_b32_e32 v10, s11
	ds_bpermute_b32 v6, v6, v8
	s_waitcnt lgkmcnt(0)
	v_add_f32_e32 v6, v8, v6
	s_delay_alu instid0(VALU_DEP_1) | instskip(SKIP_3) | instid1(VALU_DEP_3)
	v_fmamk_f32 v6, v6, 0x3c800000, v10
	s_waitcnt vmcnt(0)
	v_lshrrev_b32_e32 v10, 16, v5
	v_cvt_f32_f16_e32 v5, v5
	v_mul_f32_e32 v8, 0x4b800000, v6
	v_cmp_gt_f32_e32 vcc_lo, 0x800000, v6
	s_delay_alu instid0(VALU_DEP_2) | instskip(NEXT) | instid1(VALU_DEP_1)
	v_cndmask_b32_e32 v6, v6, v8, vcc_lo
	v_rsq_f32_e32 v6, v6
	s_waitcnt_depctr 0xfff
	v_mul_f32_e32 v8, 0x45800000, v6
	s_delay_alu instid0(VALU_DEP_1) | instskip(SKIP_1) | instid1(VALU_DEP_2)
	v_cndmask_b32_e32 v6, v6, v8, vcc_lo
	v_cvt_f32_f16_e32 v8, v10
	v_mul_f32_e32 v5, v6, v5
	s_delay_alu instid0(VALU_DEP_2) | instskip(NEXT) | instid1(VALU_DEP_1)
	v_mul_f32_e32 v8, v6, v8
	v_dual_mul_f32 v6, v5, v9 :: v_dual_mul_f32 v5, v8, v3
	v_cmpx_gt_i32_e64 s0, v7
	s_cbranch_execz .LBB0_3
; %bb.2:
	v_ashrrev_i32_e32 v3, 31, v2
	s_ashr_i32 s1, s13, 31
	s_delay_alu instid0(VALU_DEP_1) | instskip(NEXT) | instid1(VALU_DEP_1)
	v_lshlrev_b64 v[2:3], 3, v[2:3]
	v_add_co_u32 v2, vcc_lo, s6, v2
	s_delay_alu instid0(VALU_DEP_2)
	v_add_co_ci_u32_e32 v3, vcc_lo, s7, v3, vcc_lo
	global_load_b64 v[2:3], v[2:3], off
	s_waitcnt vmcnt(0)
	v_mul_lo_u32 v3, v3, s13
	v_mul_lo_u32 v9, v2, s1
	v_mad_u64_u32 v[7:8], null, v2, s13, 0
	s_mov_b32 s1, 0
	s_delay_alu instid0(SALU_CYCLE_1) | instskip(NEXT) | instid1(VALU_DEP_1)
	s_lshl_b64 s[0:1], s[0:1], 2
	v_add3_u32 v8, v8, v9, v3
	s_delay_alu instid0(VALU_DEP_1) | instskip(NEXT) | instid1(VALU_DEP_1)
	v_lshlrev_b64 v[2:3], 2, v[7:8]
	v_add_co_u32 v2, vcc_lo, s4, v2
	s_delay_alu instid0(VALU_DEP_2) | instskip(NEXT) | instid1(VALU_DEP_2)
	v_add_co_ci_u32_e32 v3, vcc_lo, s5, v3, vcc_lo
	v_add_co_u32 v2, vcc_lo, v2, v4
	s_delay_alu instid0(VALU_DEP_2) | instskip(NEXT) | instid1(VALU_DEP_2)
	v_add_co_ci_u32_e32 v3, vcc_lo, 0, v3, vcc_lo
	v_add_co_u32 v7, vcc_lo, v2, s0
	s_delay_alu instid0(VALU_DEP_2)
	v_add_co_ci_u32_e32 v8, vcc_lo, s1, v3, vcc_lo
	s_clause 0x1
	global_load_b32 v4, v[7:8], off
	global_load_b32 v2, v[2:3], off
	s_waitcnt vmcnt(1)
	v_mul_f32_e32 v3, v5, v4
	v_mul_f32_e32 v4, v6, v4
	s_waitcnt vmcnt(0)
	s_delay_alu instid0(VALU_DEP_2) | instskip(NEXT) | instid1(VALU_DEP_2)
	v_fma_f32 v6, v6, v2, -v3
	v_fmac_f32_e32 v4, v5, v2
	s_delay_alu instid0(VALU_DEP_1)
	v_mov_b32_e32 v5, v4
.LBB0_3:
	s_or_b32 exec_lo, exec_lo, s2
	s_delay_alu instid0(VALU_DEP_2) | instskip(NEXT) | instid1(VALU_DEP_2)
	v_cvt_f16_f32_e32 v2, v6
	v_cvt_f16_f32_e32 v3, v5
	s_delay_alu instid0(VALU_DEP_1)
	v_pack_b32_f16 v2, v2, v3
	global_store_b32 v[0:1], v2, off
.LBB0_4:
	s_nop 0
	s_sendmsg sendmsg(MSG_DEALLOC_VGPRS)
	s_endpgm
	.section	.rodata,"a",@progbits
	.p2align	6, 0x0
	.amdhsa_kernel _ZN12tensorrt_llm7kernels21fusedQKNormRopeKernelIN3c104HalfEfLi64ELb1EEEvPviiifPKvS6_S6_PKlii
		.amdhsa_group_segment_fixed_size 0
		.amdhsa_private_segment_fixed_size 0
		.amdhsa_kernarg_size 320
		.amdhsa_user_sgpr_count 15
		.amdhsa_user_sgpr_dispatch_ptr 0
		.amdhsa_user_sgpr_queue_ptr 0
		.amdhsa_user_sgpr_kernarg_segment_ptr 1
		.amdhsa_user_sgpr_dispatch_id 0
		.amdhsa_user_sgpr_private_segment_size 0
		.amdhsa_wavefront_size32 1
		.amdhsa_uses_dynamic_stack 0
		.amdhsa_enable_private_segment 0
		.amdhsa_system_sgpr_workgroup_id_x 1
		.amdhsa_system_sgpr_workgroup_id_y 0
		.amdhsa_system_sgpr_workgroup_id_z 0
		.amdhsa_system_sgpr_workgroup_info 0
		.amdhsa_system_vgpr_workitem_id 0
		.amdhsa_next_free_vgpr 12
		.amdhsa_next_free_sgpr 16
		.amdhsa_reserve_vcc 1
		.amdhsa_float_round_mode_32 0
		.amdhsa_float_round_mode_16_64 0
		.amdhsa_float_denorm_mode_32 3
		.amdhsa_float_denorm_mode_16_64 3
		.amdhsa_dx10_clamp 1
		.amdhsa_ieee_mode 1
		.amdhsa_fp16_overflow 0
		.amdhsa_workgroup_processor_mode 1
		.amdhsa_memory_ordered 1
		.amdhsa_forward_progress 0
		.amdhsa_shared_vgpr_count 0
		.amdhsa_exception_fp_ieee_invalid_op 0
		.amdhsa_exception_fp_denorm_src 0
		.amdhsa_exception_fp_ieee_div_zero 0
		.amdhsa_exception_fp_ieee_overflow 0
		.amdhsa_exception_fp_ieee_underflow 0
		.amdhsa_exception_fp_ieee_inexact 0
		.amdhsa_exception_int_div_zero 0
	.end_amdhsa_kernel
	.section	.text._ZN12tensorrt_llm7kernels21fusedQKNormRopeKernelIN3c104HalfEfLi64ELb1EEEvPviiifPKvS6_S6_PKlii,"axG",@progbits,_ZN12tensorrt_llm7kernels21fusedQKNormRopeKernelIN3c104HalfEfLi64ELb1EEEvPviiifPKvS6_S6_PKlii,comdat
.Lfunc_end0:
	.size	_ZN12tensorrt_llm7kernels21fusedQKNormRopeKernelIN3c104HalfEfLi64ELb1EEEvPviiifPKvS6_S6_PKlii, .Lfunc_end0-_ZN12tensorrt_llm7kernels21fusedQKNormRopeKernelIN3c104HalfEfLi64ELb1EEEvPviiifPKvS6_S6_PKlii
                                        ; -- End function
	.section	.AMDGPU.csdata,"",@progbits
; Kernel info:
; codeLenInByte = 1044
; NumSgprs: 18
; NumVgprs: 12
; ScratchSize: 0
; MemoryBound: 0
; FloatMode: 240
; IeeeMode: 1
; LDSByteSize: 0 bytes/workgroup (compile time only)
; SGPRBlocks: 2
; VGPRBlocks: 1
; NumSGPRsForWavesPerEU: 18
; NumVGPRsForWavesPerEU: 12
; Occupancy: 16
; WaveLimiterHint : 1
; COMPUTE_PGM_RSRC2:SCRATCH_EN: 0
; COMPUTE_PGM_RSRC2:USER_SGPR: 15
; COMPUTE_PGM_RSRC2:TRAP_HANDLER: 0
; COMPUTE_PGM_RSRC2:TGID_X_EN: 1
; COMPUTE_PGM_RSRC2:TGID_Y_EN: 0
; COMPUTE_PGM_RSRC2:TGID_Z_EN: 0
; COMPUTE_PGM_RSRC2:TIDIG_COMP_CNT: 0
	.section	.text._ZN12tensorrt_llm7kernels21fusedQKNormRopeKernelIN3c104HalfEfLi64ELb0EEEvPviiifPKvS6_S6_PKlii,"axG",@progbits,_ZN12tensorrt_llm7kernels21fusedQKNormRopeKernelIN3c104HalfEfLi64ELb0EEEvPviiifPKvS6_S6_PKlii,comdat
	.protected	_ZN12tensorrt_llm7kernels21fusedQKNormRopeKernelIN3c104HalfEfLi64ELb0EEEvPviiifPKvS6_S6_PKlii ; -- Begin function _ZN12tensorrt_llm7kernels21fusedQKNormRopeKernelIN3c104HalfEfLi64ELb0EEEvPviiifPKvS6_S6_PKlii
	.globl	_ZN12tensorrt_llm7kernels21fusedQKNormRopeKernelIN3c104HalfEfLi64ELb0EEEvPviiifPKvS6_S6_PKlii
	.p2align	8
	.type	_ZN12tensorrt_llm7kernels21fusedQKNormRopeKernelIN3c104HalfEfLi64ELb0EEEvPviiifPKvS6_S6_PKlii,@function
_ZN12tensorrt_llm7kernels21fusedQKNormRopeKernelIN3c104HalfEfLi64ELb0EEEvPviiifPKvS6_S6_PKlii: ; @_ZN12tensorrt_llm7kernels21fusedQKNormRopeKernelIN3c104HalfEfLi64ELb0EEEvPviiifPKvS6_S6_PKlii
; %bb.0:
	s_clause 0x2
	s_load_b128 s[8:11], s[0:1], 0x8
	s_load_b64 s[12:13], s[0:1], 0x38
	s_load_b32 s4, s[0:1], 0x4c
	v_lshrrev_b32_e32 v3, 5, v0
	s_waitcnt lgkmcnt(0)
	s_add_i32 s2, s9, s8
	s_bfe_u32 s4, s4, 0xb0005
	s_abs_i32 s3, s2
	s_delay_alu instid0(SALU_CYCLE_1) | instskip(SKIP_1) | instid1(VALU_DEP_1)
	v_cvt_f32_u32_e32 v1, s3
	s_sub_i32 s5, 0, s3
	v_rcp_iflag_f32_e32 v1, v1
	s_waitcnt_depctr 0xfff
	v_mul_f32_e32 v1, 0x4f7ffffe, v1
	s_delay_alu instid0(VALU_DEP_1) | instskip(NEXT) | instid1(VALU_DEP_1)
	v_cvt_u32_f32_e32 v4, v1
	v_mul_lo_u32 v5, s5, v4
	v_mad_u64_u32 v[1:2], null, s15, s4, v[3:4]
	s_delay_alu instid0(VALU_DEP_2) | instskip(NEXT) | instid1(VALU_DEP_2)
	v_mul_hi_u32 v2, v4, v5
	v_sub_nc_u32_e32 v3, 0, v1
	s_delay_alu instid0(VALU_DEP_1) | instskip(NEXT) | instid1(VALU_DEP_3)
	v_max_i32_e32 v3, v1, v3
	v_add_nc_u32_e32 v2, v4, v2
	s_delay_alu instid0(VALU_DEP_1) | instskip(NEXT) | instid1(VALU_DEP_1)
	v_mul_hi_u32 v2, v3, v2
	v_mul_lo_u32 v4, v2, s3
	s_delay_alu instid0(VALU_DEP_1) | instskip(NEXT) | instid1(VALU_DEP_1)
	v_sub_nc_u32_e32 v3, v3, v4
	v_subrev_nc_u32_e32 v5, s3, v3
	v_cmp_le_u32_e32 vcc_lo, s3, v3
	s_delay_alu instid0(VALU_DEP_2) | instskip(NEXT) | instid1(VALU_DEP_1)
	v_dual_cndmask_b32 v3, v3, v5 :: v_dual_add_nc_u32 v4, 1, v2
	v_cndmask_b32_e32 v2, v2, v4, vcc_lo
	v_xor_b32_e32 v4, s2, v1
	s_delay_alu instid0(VALU_DEP_3) | instskip(NEXT) | instid1(VALU_DEP_3)
	v_cmp_le_u32_e32 vcc_lo, s3, v3
	v_add_nc_u32_e32 v5, 1, v2
	s_delay_alu instid0(VALU_DEP_3) | instskip(SKIP_1) | instid1(VALU_DEP_2)
	v_ashrrev_i32_e32 v4, 31, v4
	s_mov_b32 s3, exec_lo
	v_cndmask_b32_e32 v2, v2, v5, vcc_lo
	s_delay_alu instid0(VALU_DEP_1) | instskip(NEXT) | instid1(VALU_DEP_1)
	v_xor_b32_e32 v2, v2, v4
	v_sub_nc_u32_e32 v2, v2, v4
	s_delay_alu instid0(VALU_DEP_1)
	v_cmpx_gt_i32_e64 s12, v2
	s_cbranch_execz .LBB1_4
; %bb.1:
	v_mul_lo_u32 v3, v2, s2
	s_add_i32 s2, s2, s10
	v_and_b32_e32 v4, 31, v0
	v_mul_lo_u32 v5, v2, s2
	s_load_b64 s[2:3], s[0:1], 0x0
	s_delay_alu instid0(VALU_DEP_3) | instskip(NEXT) | instid1(VALU_DEP_1)
	v_sub_nc_u32_e32 v1, v1, v3
	v_cmp_gt_i32_e32 vcc_lo, s8, v1
	v_cndmask_b32_e64 v3, s8, 0, vcc_lo
	s_delay_alu instid0(VALU_DEP_1) | instskip(SKIP_1) | instid1(VALU_DEP_2)
	v_sub_nc_u32_e32 v0, v1, v3
	v_lshlrev_b32_e32 v1, 1, v4
	v_add3_u32 v0, v5, v3, v0
	s_delay_alu instid0(VALU_DEP_1) | instskip(NEXT) | instid1(VALU_DEP_1)
	v_lshl_or_b32 v0, v0, 6, v1
	v_ashrrev_i32_e32 v1, 31, v0
	s_delay_alu instid0(VALU_DEP_1) | instskip(SKIP_1) | instid1(VALU_DEP_1)
	v_lshlrev_b64 v[0:1], 1, v[0:1]
	s_waitcnt lgkmcnt(0)
	v_add_co_u32 v0, s2, s2, v0
	s_delay_alu instid0(VALU_DEP_1)
	v_add_co_ci_u32_e64 v1, s2, s3, v1, s2
	s_load_b256 s[0:7], s[0:1], 0x18
	global_load_b32 v3, v[0:1], off
	s_waitcnt lgkmcnt(0)
	v_dual_mov_b32 v6, s1 :: v_dual_mov_b32 v5, s0
	v_lshlrev_b32_e32 v8, 2, v4
	s_lshr_b32 s0, s13, 31
	s_delay_alu instid0(VALU_DEP_2) | instskip(NEXT) | instid1(VALU_DEP_3)
	v_cndmask_b32_e32 v6, s3, v6, vcc_lo
	v_cndmask_b32_e32 v5, s2, v5, vcc_lo
	s_add_i32 s0, s13, s0
	s_mov_b32 s2, exec_lo
	s_ashr_i32 s0, s0, 1
	s_delay_alu instid0(VALU_DEP_1) | instskip(SKIP_3) | instid1(VALU_DEP_1)
	v_add_co_u32 v5, vcc_lo, v5, v8
	v_add_co_ci_u32_e32 v6, vcc_lo, 0, v6, vcc_lo
	global_load_b32 v6, v[5:6], off
	v_mbcnt_lo_u32_b32 v5, -1, 0
	v_xor_b32_e32 v7, 16, v5
	v_xor_b32_e32 v11, 8, v5
	s_delay_alu instid0(VALU_DEP_2) | instskip(SKIP_1) | instid1(VALU_DEP_3)
	v_cmp_gt_i32_e32 vcc_lo, 32, v7
	v_cndmask_b32_e32 v7, v5, v7, vcc_lo
	v_cmp_gt_i32_e32 vcc_lo, 32, v11
	s_delay_alu instid0(VALU_DEP_2) | instskip(SKIP_1) | instid1(VALU_DEP_1)
	v_lshlrev_b32_e32 v7, 2, v7
	v_cndmask_b32_e32 v11, v5, v11, vcc_lo
	v_lshlrev_b32_e32 v11, 2, v11
	s_waitcnt vmcnt(1)
	v_cvt_f32_f16_e32 v9, v3
	s_delay_alu instid0(VALU_DEP_1) | instskip(NEXT) | instid1(VALU_DEP_1)
	v_mul_f32_e32 v10, v9, v9
	v_fma_mix_f32 v10, v3, v3, v10 op_sel:[1,1,0] op_sel_hi:[1,1,0]
	v_lshrrev_b32_e32 v3, 16, v3
	ds_bpermute_b32 v7, v7, v10
	v_cvt_f32_f16_e32 v3, v3
	s_waitcnt lgkmcnt(0)
	v_add_f32_e32 v7, v10, v7
	ds_bpermute_b32 v10, v11, v7
	v_xor_b32_e32 v11, 4, v5
	s_delay_alu instid0(VALU_DEP_1) | instskip(SKIP_1) | instid1(VALU_DEP_1)
	v_cmp_gt_i32_e32 vcc_lo, 32, v11
	v_cndmask_b32_e32 v11, v5, v11, vcc_lo
	v_lshlrev_b32_e32 v11, 2, v11
	s_waitcnt lgkmcnt(0)
	v_add_f32_e32 v7, v7, v10
	ds_bpermute_b32 v10, v11, v7
	v_xor_b32_e32 v11, 2, v5
	s_delay_alu instid0(VALU_DEP_1) | instskip(SKIP_1) | instid1(VALU_DEP_1)
	v_cmp_gt_i32_e32 vcc_lo, 32, v11
	v_cndmask_b32_e32 v11, v5, v11, vcc_lo
	v_lshlrev_b32_e32 v11, 2, v11
	;; [unrolled: 8-line block ×3, first 2 shown]
	s_waitcnt lgkmcnt(0)
	v_add_f32_e32 v7, v7, v10
	ds_bpermute_b32 v10, v11, v7
	v_mov_b32_e32 v11, s11
	s_waitcnt lgkmcnt(0)
	v_add_f32_e32 v7, v7, v10
	s_delay_alu instid0(VALU_DEP_1) | instskip(SKIP_3) | instid1(VALU_DEP_3)
	v_fmamk_f32 v7, v7, 0x3c800000, v11
	s_waitcnt vmcnt(0)
	v_lshrrev_b32_e32 v11, 16, v6
	v_cvt_f32_f16_e32 v6, v6
	v_mul_f32_e32 v10, 0x4b800000, v7
	v_cmp_gt_f32_e32 vcc_lo, 0x800000, v7
	s_delay_alu instid0(VALU_DEP_2) | instskip(NEXT) | instid1(VALU_DEP_1)
	v_cndmask_b32_e32 v7, v7, v10, vcc_lo
	v_rsq_f32_e32 v7, v7
	s_waitcnt_depctr 0xfff
	v_mul_f32_e32 v10, 0x45800000, v7
	s_delay_alu instid0(VALU_DEP_1) | instskip(SKIP_1) | instid1(VALU_DEP_2)
	v_cndmask_b32_e32 v7, v7, v10, vcc_lo
	v_cvt_f32_f16_e32 v10, v11
	v_mul_f32_e32 v6, v7, v6
	s_delay_alu instid0(VALU_DEP_1) | instskip(NEXT) | instid1(VALU_DEP_1)
	v_dual_mul_f32 v10, v7, v10 :: v_dual_mul_f32 v7, v6, v9
	v_mul_f32_e32 v6, v10, v3
	v_cmpx_gt_i32_e64 s0, v4
	s_cbranch_execz .LBB1_3
; %bb.2:
	v_ashrrev_i32_e32 v3, 31, v2
	s_abs_i32 s3, s13
	v_or_b32_e32 v11, 2, v8
	v_cvt_f32_u32_e32 v9, s3
	s_sub_i32 s1, 0, s3
	v_lshlrev_b64 v[2:3], 3, v[2:3]
	s_delay_alu instid0(VALU_DEP_2) | instskip(NEXT) | instid1(VALU_DEP_1)
	v_rcp_iflag_f32_e32 v9, v9
	v_add_co_u32 v2, vcc_lo, s6, v2
	s_delay_alu instid0(VALU_DEP_2) | instskip(SKIP_4) | instid1(VALU_DEP_1)
	v_add_co_ci_u32_e32 v3, vcc_lo, s7, v3, vcc_lo
	s_waitcnt_depctr 0xfff
	v_mul_f32_e32 v9, 0x4f7ffffe, v9
	global_load_b64 v[2:3], v[2:3], off
	; wave barrier
	v_cvt_u32_f32_e32 v9, v9
	v_mul_lo_u32 v10, s1, v9
	s_ashr_i32 s1, s13, 31
	s_delay_alu instid0(VALU_DEP_1) | instskip(NEXT) | instid1(VALU_DEP_1)
	v_mul_hi_u32 v10, v9, v10
	v_add_nc_u32_e32 v9, v9, v10
	s_delay_alu instid0(VALU_DEP_1) | instskip(SKIP_1) | instid1(VALU_DEP_2)
	v_mul_hi_u32 v10, v8, v9
	v_mul_hi_u32 v9, v11, v9
	v_mul_lo_u32 v10, v10, s3
	s_delay_alu instid0(VALU_DEP_2) | instskip(NEXT) | instid1(VALU_DEP_2)
	v_mul_lo_u32 v9, v9, s3
	v_sub_nc_u32_e32 v8, v8, v10
	s_delay_alu instid0(VALU_DEP_2) | instskip(NEXT) | instid1(VALU_DEP_2)
	v_sub_nc_u32_e32 v11, v11, v9
	v_subrev_nc_u32_e32 v10, s3, v8
	v_cmp_le_u32_e32 vcc_lo, s3, v8
	s_delay_alu instid0(VALU_DEP_3) | instskip(NEXT) | instid1(VALU_DEP_3)
	v_subrev_nc_u32_e32 v12, s3, v11
	v_cndmask_b32_e32 v10, v8, v10, vcc_lo
	v_cmp_le_u32_e32 vcc_lo, s3, v11
	s_delay_alu instid0(VALU_DEP_2) | instskip(NEXT) | instid1(VALU_DEP_4)
	v_subrev_nc_u32_e32 v13, s3, v10
	v_cndmask_b32_e32 v11, v11, v12, vcc_lo
	v_cmp_le_u32_e32 vcc_lo, s3, v10
	s_waitcnt vmcnt(0)
	v_mul_lo_u32 v3, v3, s13
	v_mul_lo_u32 v14, v2, s1
	v_mad_u64_u32 v[8:9], null, v2, s13, 0
	v_cndmask_b32_e32 v2, v10, v13, vcc_lo
	v_subrev_nc_u32_e32 v10, s3, v11
	v_cmp_le_u32_e32 vcc_lo, s3, v11
	s_mov_b32 s1, 0
	s_delay_alu instid0(VALU_DEP_3) | instskip(SKIP_4) | instid1(VALU_DEP_2)
	v_lshrrev_b32_e32 v2, 1, v2
	v_add3_u32 v9, v9, v14, v3
	v_dual_mov_b32 v3, 0 :: v_dual_cndmask_b32 v12, v11, v10
	s_lshl_b64 s[6:7], s[0:1], 2
	s_lshr_b32 s0, s0, 1
	v_lshlrev_b64 v[8:9], 2, v[8:9]
	s_delay_alu instid0(VALU_DEP_2) | instskip(SKIP_1) | instid1(VALU_DEP_3)
	v_lshlrev_b64 v[10:11], 2, v[2:3]
	v_lshrrev_b32_e32 v2, 1, v12
	v_add_co_u32 v14, vcc_lo, s4, v8
	s_delay_alu instid0(VALU_DEP_4) | instskip(NEXT) | instid1(VALU_DEP_3)
	v_add_co_ci_u32_e32 v15, vcc_lo, s5, v9, vcc_lo
	v_lshlrev_b64 v[2:3], 2, v[2:3]
	s_delay_alu instid0(VALU_DEP_3) | instskip(NEXT) | instid1(VALU_DEP_3)
	v_add_co_u32 v12, vcc_lo, v14, s6
	v_add_co_ci_u32_e32 v13, vcc_lo, s7, v15, vcc_lo
	v_add_co_u32 v8, vcc_lo, v14, v10
	v_add_co_ci_u32_e32 v9, vcc_lo, v15, v11, vcc_lo
	s_delay_alu instid0(VALU_DEP_4) | instskip(NEXT) | instid1(VALU_DEP_4)
	v_add_co_u32 v10, vcc_lo, v12, v10
	v_add_co_ci_u32_e32 v11, vcc_lo, v13, v11, vcc_lo
	v_add_co_u32 v12, vcc_lo, v12, v2
	v_add_co_ci_u32_e32 v13, vcc_lo, v13, v3, vcc_lo
	v_add_co_u32 v2, vcc_lo, v14, v2
	v_add_co_ci_u32_e32 v3, vcc_lo, v15, v3, vcc_lo
	s_clause 0x3
	global_load_b32 v10, v[10:11], off
	global_load_b32 v11, v[12:13], off
	;; [unrolled: 1-line block ×4, first 2 shown]
	v_xor_b32_e32 v3, s0, v5
	; wave barrier
	s_delay_alu instid0(VALU_DEP_1) | instskip(SKIP_2) | instid1(VALU_DEP_2)
	v_cmp_gt_i32_e32 vcc_lo, 32, v3
	v_cndmask_b32_e32 v3, v5, v3, vcc_lo
	v_cmp_gt_u32_e32 vcc_lo, s0, v4
	v_lshlrev_b32_e32 v3, 2, v3
	ds_bpermute_b32 v5, v3, v7
	ds_bpermute_b32 v3, v3, v6
	s_waitcnt lgkmcnt(1)
	v_cndmask_b32_e64 v4, v5, -v5, vcc_lo
	s_waitcnt lgkmcnt(0)
	v_cndmask_b32_e64 v3, v3, -v3, vcc_lo
	s_waitcnt vmcnt(2)
	s_delay_alu instid0(VALU_DEP_1) | instskip(SKIP_1) | instid1(VALU_DEP_1)
	v_dual_mul_f32 v4, v4, v10 :: v_dual_mul_f32 v3, v3, v11
	s_waitcnt vmcnt(0)
	v_dual_fmac_f32 v4, v7, v8 :: v_dual_fmac_f32 v3, v6, v2
	s_delay_alu instid0(VALU_DEP_1)
	v_dual_mov_b32 v7, v4 :: v_dual_mov_b32 v6, v3
.LBB1_3:
	s_or_b32 exec_lo, exec_lo, s2
	s_delay_alu instid0(VALU_DEP_1) | instskip(NEXT) | instid1(VALU_DEP_2)
	v_cvt_f16_f32_e32 v2, v7
	v_cvt_f16_f32_e32 v3, v6
	s_delay_alu instid0(VALU_DEP_1)
	v_pack_b32_f16 v2, v2, v3
	global_store_b32 v[0:1], v2, off
.LBB1_4:
	s_nop 0
	s_sendmsg sendmsg(MSG_DEALLOC_VGPRS)
	s_endpgm
	.section	.rodata,"a",@progbits
	.p2align	6, 0x0
	.amdhsa_kernel _ZN12tensorrt_llm7kernels21fusedQKNormRopeKernelIN3c104HalfEfLi64ELb0EEEvPviiifPKvS6_S6_PKlii
		.amdhsa_group_segment_fixed_size 0
		.amdhsa_private_segment_fixed_size 0
		.amdhsa_kernarg_size 320
		.amdhsa_user_sgpr_count 15
		.amdhsa_user_sgpr_dispatch_ptr 0
		.amdhsa_user_sgpr_queue_ptr 0
		.amdhsa_user_sgpr_kernarg_segment_ptr 1
		.amdhsa_user_sgpr_dispatch_id 0
		.amdhsa_user_sgpr_private_segment_size 0
		.amdhsa_wavefront_size32 1
		.amdhsa_uses_dynamic_stack 0
		.amdhsa_enable_private_segment 0
		.amdhsa_system_sgpr_workgroup_id_x 1
		.amdhsa_system_sgpr_workgroup_id_y 0
		.amdhsa_system_sgpr_workgroup_id_z 0
		.amdhsa_system_sgpr_workgroup_info 0
		.amdhsa_system_vgpr_workitem_id 0
		.amdhsa_next_free_vgpr 16
		.amdhsa_next_free_sgpr 16
		.amdhsa_reserve_vcc 1
		.amdhsa_float_round_mode_32 0
		.amdhsa_float_round_mode_16_64 0
		.amdhsa_float_denorm_mode_32 3
		.amdhsa_float_denorm_mode_16_64 3
		.amdhsa_dx10_clamp 1
		.amdhsa_ieee_mode 1
		.amdhsa_fp16_overflow 0
		.amdhsa_workgroup_processor_mode 1
		.amdhsa_memory_ordered 1
		.amdhsa_forward_progress 0
		.amdhsa_shared_vgpr_count 0
		.amdhsa_exception_fp_ieee_invalid_op 0
		.amdhsa_exception_fp_denorm_src 0
		.amdhsa_exception_fp_ieee_div_zero 0
		.amdhsa_exception_fp_ieee_overflow 0
		.amdhsa_exception_fp_ieee_underflow 0
		.amdhsa_exception_fp_ieee_inexact 0
		.amdhsa_exception_int_div_zero 0
	.end_amdhsa_kernel
	.section	.text._ZN12tensorrt_llm7kernels21fusedQKNormRopeKernelIN3c104HalfEfLi64ELb0EEEvPviiifPKvS6_S6_PKlii,"axG",@progbits,_ZN12tensorrt_llm7kernels21fusedQKNormRopeKernelIN3c104HalfEfLi64ELb0EEEvPviiifPKvS6_S6_PKlii,comdat
.Lfunc_end1:
	.size	_ZN12tensorrt_llm7kernels21fusedQKNormRopeKernelIN3c104HalfEfLi64ELb0EEEvPviiifPKvS6_S6_PKlii, .Lfunc_end1-_ZN12tensorrt_llm7kernels21fusedQKNormRopeKernelIN3c104HalfEfLi64ELb0EEEvPviiifPKvS6_S6_PKlii
                                        ; -- End function
	.section	.AMDGPU.csdata,"",@progbits
; Kernel info:
; codeLenInByte = 1360
; NumSgprs: 18
; NumVgprs: 16
; ScratchSize: 0
; MemoryBound: 0
; FloatMode: 240
; IeeeMode: 1
; LDSByteSize: 0 bytes/workgroup (compile time only)
; SGPRBlocks: 2
; VGPRBlocks: 1
; NumSGPRsForWavesPerEU: 18
; NumVGPRsForWavesPerEU: 16
; Occupancy: 16
; WaveLimiterHint : 1
; COMPUTE_PGM_RSRC2:SCRATCH_EN: 0
; COMPUTE_PGM_RSRC2:USER_SGPR: 15
; COMPUTE_PGM_RSRC2:TRAP_HANDLER: 0
; COMPUTE_PGM_RSRC2:TGID_X_EN: 1
; COMPUTE_PGM_RSRC2:TGID_Y_EN: 0
; COMPUTE_PGM_RSRC2:TGID_Z_EN: 0
; COMPUTE_PGM_RSRC2:TIDIG_COMP_CNT: 0
	.section	.text._ZN12tensorrt_llm7kernels21fusedQKNormRopeKernelIN3c104HalfEfLi128ELb1EEEvPviiifPKvS6_S6_PKlii,"axG",@progbits,_ZN12tensorrt_llm7kernels21fusedQKNormRopeKernelIN3c104HalfEfLi128ELb1EEEvPviiifPKvS6_S6_PKlii,comdat
	.protected	_ZN12tensorrt_llm7kernels21fusedQKNormRopeKernelIN3c104HalfEfLi128ELb1EEEvPviiifPKvS6_S6_PKlii ; -- Begin function _ZN12tensorrt_llm7kernels21fusedQKNormRopeKernelIN3c104HalfEfLi128ELb1EEEvPviiifPKvS6_S6_PKlii
	.globl	_ZN12tensorrt_llm7kernels21fusedQKNormRopeKernelIN3c104HalfEfLi128ELb1EEEvPviiifPKvS6_S6_PKlii
	.p2align	8
	.type	_ZN12tensorrt_llm7kernels21fusedQKNormRopeKernelIN3c104HalfEfLi128ELb1EEEvPviiifPKvS6_S6_PKlii,@function
_ZN12tensorrt_llm7kernels21fusedQKNormRopeKernelIN3c104HalfEfLi128ELb1EEEvPviiifPKvS6_S6_PKlii: ; @_ZN12tensorrt_llm7kernels21fusedQKNormRopeKernelIN3c104HalfEfLi128ELb1EEEvPviiifPKvS6_S6_PKlii
; %bb.0:
	s_clause 0x2
	s_load_b128 s[8:11], s[0:1], 0x8
	s_load_b64 s[12:13], s[0:1], 0x38
	s_load_b32 s4, s[0:1], 0x4c
	v_lshrrev_b32_e32 v3, 5, v0
	s_waitcnt lgkmcnt(0)
	s_add_i32 s2, s9, s8
	s_bfe_u32 s4, s4, 0xb0005
	s_abs_i32 s3, s2
	s_delay_alu instid0(SALU_CYCLE_1) | instskip(SKIP_1) | instid1(VALU_DEP_1)
	v_cvt_f32_u32_e32 v1, s3
	s_sub_i32 s5, 0, s3
	v_rcp_iflag_f32_e32 v1, v1
	s_waitcnt_depctr 0xfff
	v_mul_f32_e32 v1, 0x4f7ffffe, v1
	s_delay_alu instid0(VALU_DEP_1) | instskip(NEXT) | instid1(VALU_DEP_1)
	v_cvt_u32_f32_e32 v4, v1
	v_mul_lo_u32 v5, s5, v4
	v_mad_u64_u32 v[1:2], null, s15, s4, v[3:4]
	s_delay_alu instid0(VALU_DEP_2) | instskip(NEXT) | instid1(VALU_DEP_2)
	v_mul_hi_u32 v2, v4, v5
	v_sub_nc_u32_e32 v3, 0, v1
	s_delay_alu instid0(VALU_DEP_1) | instskip(NEXT) | instid1(VALU_DEP_3)
	v_max_i32_e32 v3, v1, v3
	v_add_nc_u32_e32 v2, v4, v2
	s_delay_alu instid0(VALU_DEP_1) | instskip(NEXT) | instid1(VALU_DEP_1)
	v_mul_hi_u32 v2, v3, v2
	v_mul_lo_u32 v4, v2, s3
	s_delay_alu instid0(VALU_DEP_1) | instskip(NEXT) | instid1(VALU_DEP_1)
	v_sub_nc_u32_e32 v3, v3, v4
	v_subrev_nc_u32_e32 v5, s3, v3
	v_cmp_le_u32_e32 vcc_lo, s3, v3
	s_delay_alu instid0(VALU_DEP_2) | instskip(NEXT) | instid1(VALU_DEP_1)
	v_dual_cndmask_b32 v3, v3, v5 :: v_dual_add_nc_u32 v4, 1, v2
	v_cndmask_b32_e32 v2, v2, v4, vcc_lo
	v_xor_b32_e32 v4, s2, v1
	s_delay_alu instid0(VALU_DEP_3) | instskip(NEXT) | instid1(VALU_DEP_3)
	v_cmp_le_u32_e32 vcc_lo, s3, v3
	v_add_nc_u32_e32 v5, 1, v2
	s_delay_alu instid0(VALU_DEP_3) | instskip(SKIP_1) | instid1(VALU_DEP_2)
	v_ashrrev_i32_e32 v4, 31, v4
	s_mov_b32 s3, exec_lo
	v_cndmask_b32_e32 v2, v2, v5, vcc_lo
	s_delay_alu instid0(VALU_DEP_1) | instskip(NEXT) | instid1(VALU_DEP_1)
	v_xor_b32_e32 v2, v2, v4
	v_sub_nc_u32_e32 v2, v2, v4
	s_delay_alu instid0(VALU_DEP_1)
	v_cmpx_gt_i32_e64 s12, v2
	s_cbranch_execz .LBB2_4
; %bb.1:
	v_mul_lo_u32 v3, v2, s2
	s_add_i32 s2, s2, s10
	v_mbcnt_lo_u32_b32 v10, -1, 0
	v_mul_lo_u32 v4, v2, s2
	s_load_b64 s[2:3], s[0:1], 0x0
	s_delay_alu instid0(VALU_DEP_2) | instskip(NEXT) | instid1(VALU_DEP_4)
	v_xor_b32_e32 v12, 16, v10
	v_sub_nc_u32_e32 v1, v1, v3
	v_xor_b32_e32 v13, 8, v10
	s_delay_alu instid0(VALU_DEP_2) | instskip(SKIP_2) | instid1(VALU_DEP_1)
	v_cmp_gt_i32_e32 vcc_lo, s8, v1
	v_and_b32_e32 v9, 31, v0
	v_cndmask_b32_e64 v3, s8, 0, vcc_lo
	v_sub_nc_u32_e32 v0, v1, v3
	s_delay_alu instid0(VALU_DEP_3) | instskip(NEXT) | instid1(VALU_DEP_2)
	v_lshlrev_b32_e32 v1, 2, v9
	v_add3_u32 v0, v4, v3, v0
	s_delay_alu instid0(VALU_DEP_1) | instskip(NEXT) | instid1(VALU_DEP_1)
	v_lshl_or_b32 v0, v0, 7, v1
	v_ashrrev_i32_e32 v1, 31, v0
	s_delay_alu instid0(VALU_DEP_1) | instskip(SKIP_1) | instid1(VALU_DEP_1)
	v_lshlrev_b64 v[0:1], 1, v[0:1]
	s_waitcnt lgkmcnt(0)
	v_add_co_u32 v0, s2, s2, v0
	s_delay_alu instid0(VALU_DEP_1)
	v_add_co_ci_u32_e64 v1, s2, s3, v1, s2
	s_load_b256 s[0:7], s[0:1], 0x18
	global_load_b64 v[5:6], v[0:1], off
	s_waitcnt lgkmcnt(0)
	v_mov_b32_e32 v7, s1
	s_ashr_i32 s1, s13, 31
	s_delay_alu instid0(VALU_DEP_1) | instskip(SKIP_2) | instid1(SALU_CYCLE_1)
	v_cndmask_b32_e32 v8, s3, v7, vcc_lo
	v_dual_mov_b32 v3, s0 :: v_dual_lshlrev_b32 v4, 3, v9
	s_lshr_b32 s0, s1, 30
	s_add_i32 s0, s13, s0
	s_delay_alu instid0(VALU_DEP_1) | instskip(SKIP_1) | instid1(VALU_DEP_1)
	v_cndmask_b32_e32 v3, s2, v3, vcc_lo
	s_ashr_i32 s0, s0, 2
	v_add_co_u32 v7, vcc_lo, v3, v4
	v_add_co_ci_u32_e32 v8, vcc_lo, 0, v8, vcc_lo
	v_cmp_gt_i32_e32 vcc_lo, 32, v12
	global_load_b64 v[7:8], v[7:8], off
	v_cndmask_b32_e32 v12, v10, v12, vcc_lo
	v_cmp_gt_i32_e32 vcc_lo, 32, v13
	s_delay_alu instid0(VALU_DEP_2) | instskip(NEXT) | instid1(VALU_DEP_1)
	v_dual_cndmask_b32 v13, v10, v13 :: v_dual_lshlrev_b32 v12, 2, v12
	v_lshlrev_b32_e32 v13, 2, v13
	s_waitcnt vmcnt(1)
	v_lshrrev_b32_e32 v3, 16, v5
	v_lshrrev_b32_e32 v14, 16, v6
	s_delay_alu instid0(VALU_DEP_2) | instskip(NEXT) | instid1(VALU_DEP_1)
	v_cvt_f32_f16_e32 v3, v3
	v_mul_f32_e32 v11, v3, v3
	s_delay_alu instid0(VALU_DEP_1) | instskip(SKIP_1) | instid1(VALU_DEP_2)
	v_fma_mix_f32 v11, v5, v5, v11 op_sel_hi:[1,1,0]
	v_cvt_f32_f16_e32 v5, v5
	v_fma_mix_f32 v11, v6, v6, v11 op_sel_hi:[1,1,0]
	s_delay_alu instid0(VALU_DEP_1)
	v_fma_mix_f32 v11, v6, v6, v11 op_sel:[1,1,0] op_sel_hi:[1,1,0]
	v_cvt_f32_f16_e32 v6, v6
	ds_bpermute_b32 v12, v12, v11
	s_waitcnt lgkmcnt(0)
	v_add_f32_e32 v11, v11, v12
	ds_bpermute_b32 v12, v13, v11
	v_xor_b32_e32 v13, 4, v10
	s_delay_alu instid0(VALU_DEP_1) | instskip(SKIP_1) | instid1(VALU_DEP_1)
	v_cmp_gt_i32_e32 vcc_lo, 32, v13
	v_cndmask_b32_e32 v13, v10, v13, vcc_lo
	v_lshlrev_b32_e32 v13, 2, v13
	s_waitcnt lgkmcnt(0)
	v_add_f32_e32 v11, v11, v12
	ds_bpermute_b32 v12, v13, v11
	v_xor_b32_e32 v13, 2, v10
	s_delay_alu instid0(VALU_DEP_1) | instskip(SKIP_1) | instid1(VALU_DEP_1)
	v_cmp_gt_i32_e32 vcc_lo, 32, v13
	v_cndmask_b32_e32 v13, v10, v13, vcc_lo
	v_lshlrev_b32_e32 v13, 2, v13
	s_waitcnt lgkmcnt(0)
	v_add_f32_e32 v11, v11, v12
	ds_bpermute_b32 v12, v13, v11
	v_xor_b32_e32 v13, 1, v10
	s_delay_alu instid0(VALU_DEP_1) | instskip(SKIP_2) | instid1(VALU_DEP_1)
	v_cmp_gt_i32_e32 vcc_lo, 32, v13
	v_cndmask_b32_e32 v10, v10, v13, vcc_lo
	s_waitcnt lgkmcnt(0)
	v_dual_add_f32 v11, v11, v12 :: v_dual_lshlrev_b32 v10, 2, v10
	v_mov_b32_e32 v12, s11
	ds_bpermute_b32 v10, v10, v11
	s_waitcnt lgkmcnt(0)
	v_add_f32_e32 v10, v11, v10
	s_delay_alu instid0(VALU_DEP_1) | instskip(SKIP_3) | instid1(VALU_DEP_3)
	v_fmamk_f32 v10, v10, 0x3c000000, v12
	s_waitcnt vmcnt(0)
	v_lshrrev_b32_e32 v12, 16, v8
	v_cvt_f32_f16_e32 v8, v8
	v_cmp_gt_f32_e32 vcc_lo, 0x800000, v10
	s_delay_alu instid0(VALU_DEP_3) | instskip(SKIP_1) | instid1(VALU_DEP_1)
	v_cvt_f32_f16_e32 v12, v12
	v_mul_f32_e32 v11, 0x4b800000, v10
	v_cndmask_b32_e32 v10, v10, v11, vcc_lo
	v_lshrrev_b32_e32 v11, 16, v7
	v_cvt_f32_f16_e32 v7, v7
	s_delay_alu instid0(VALU_DEP_3) | instskip(NEXT) | instid1(VALU_DEP_2)
	v_rsq_f32_e32 v10, v10
	v_cvt_f32_f16_e32 v11, v11
	s_waitcnt_depctr 0xfff
	v_mul_f32_e32 v13, 0x45800000, v10
	s_delay_alu instid0(VALU_DEP_1) | instskip(SKIP_2) | instid1(VALU_DEP_3)
	v_cndmask_b32_e32 v10, v10, v13, vcc_lo
	v_cvt_f32_f16_e32 v13, v14
	v_cmp_gt_i32_e32 vcc_lo, s0, v9
	v_mul_f32_e32 v7, v10, v7
	v_mul_f32_e32 v11, v10, v11
	;; [unrolled: 1-line block ×3, first 2 shown]
	s_delay_alu instid0(VALU_DEP_3) | instskip(NEXT) | instid1(VALU_DEP_2)
	v_dual_mul_f32 v10, v10, v12 :: v_dual_mul_f32 v7, v7, v5
	v_dual_mul_f32 v5, v11, v3 :: v_dual_mul_f32 v8, v8, v6
	s_delay_alu instid0(VALU_DEP_2)
	v_mul_f32_e32 v6, v10, v13
	s_and_saveexec_b32 s0, vcc_lo
	s_cbranch_execz .LBB2_3
; %bb.2:
	v_ashrrev_i32_e32 v3, 31, v2
	s_delay_alu instid0(VALU_DEP_1) | instskip(NEXT) | instid1(VALU_DEP_1)
	v_lshlrev_b64 v[2:3], 3, v[2:3]
	v_add_co_u32 v2, vcc_lo, s6, v2
	s_delay_alu instid0(VALU_DEP_2)
	v_add_co_ci_u32_e32 v3, vcc_lo, s7, v3, vcc_lo
	global_load_b64 v[2:3], v[2:3], off
	s_waitcnt vmcnt(0)
	v_mul_lo_u32 v3, v3, s13
	v_mul_lo_u32 v11, v2, s1
	v_mad_u64_u32 v[9:10], null, v2, s13, 0
	s_lshr_b32 s1, s13, 31
	s_delay_alu instid0(SALU_CYCLE_1) | instskip(NEXT) | instid1(SALU_CYCLE_1)
	s_add_i32 s1, s13, s1
	s_ashr_i32 s2, s1, 1
	s_delay_alu instid0(VALU_DEP_1) | instskip(SKIP_1) | instid1(SALU_CYCLE_1)
	v_add3_u32 v10, v10, v11, v3
	s_ashr_i32 s3, s2, 31
	s_lshl_b64 s[2:3], s[2:3], 2
	s_delay_alu instid0(VALU_DEP_1) | instskip(NEXT) | instid1(VALU_DEP_1)
	v_lshlrev_b64 v[2:3], 2, v[9:10]
	v_add_co_u32 v2, vcc_lo, s4, v2
	s_delay_alu instid0(VALU_DEP_2) | instskip(NEXT) | instid1(VALU_DEP_2)
	v_add_co_ci_u32_e32 v3, vcc_lo, s5, v3, vcc_lo
	v_add_co_u32 v2, vcc_lo, v2, v4
	s_delay_alu instid0(VALU_DEP_2) | instskip(NEXT) | instid1(VALU_DEP_2)
	v_add_co_ci_u32_e32 v3, vcc_lo, 0, v3, vcc_lo
	v_add_co_u32 v9, vcc_lo, v2, s2
	s_delay_alu instid0(VALU_DEP_2)
	v_add_co_ci_u32_e32 v10, vcc_lo, s3, v3, vcc_lo
	s_clause 0x1
	global_load_b64 v[9:10], v[9:10], off
	global_load_b64 v[2:3], v[2:3], off
	s_waitcnt vmcnt(1)
	v_dual_mul_f32 v4, v5, v9 :: v_dual_mul_f32 v11, v6, v10
	v_dual_mul_f32 v9, v7, v9 :: v_dual_mul_f32 v10, v8, v10
	s_waitcnt vmcnt(0)
	s_delay_alu instid0(VALU_DEP_2) | instskip(NEXT) | instid1(VALU_DEP_3)
	v_fma_f32 v7, v7, v2, -v4
	v_fma_f32 v8, v8, v3, -v11
	s_delay_alu instid0(VALU_DEP_3) | instskip(NEXT) | instid1(VALU_DEP_1)
	v_dual_fmac_f32 v9, v5, v2 :: v_dual_fmac_f32 v10, v6, v3
	v_dual_mov_b32 v5, v9 :: v_dual_mov_b32 v6, v10
.LBB2_3:
	s_or_b32 exec_lo, exec_lo, s0
	v_cvt_f16_f32_e32 v2, v7
	v_cvt_f16_f32_e32 v3, v8
	s_delay_alu instid0(VALU_DEP_3) | instskip(SKIP_1) | instid1(VALU_DEP_2)
	v_cvt_f16_f32_e32 v4, v6
	v_cvt_f16_f32_e32 v5, v5
	v_pack_b32_f16 v3, v3, v4
	s_delay_alu instid0(VALU_DEP_2)
	v_pack_b32_f16 v2, v2, v5
	global_store_b64 v[0:1], v[2:3], off
.LBB2_4:
	s_nop 0
	s_sendmsg sendmsg(MSG_DEALLOC_VGPRS)
	s_endpgm
	.section	.rodata,"a",@progbits
	.p2align	6, 0x0
	.amdhsa_kernel _ZN12tensorrt_llm7kernels21fusedQKNormRopeKernelIN3c104HalfEfLi128ELb1EEEvPviiifPKvS6_S6_PKlii
		.amdhsa_group_segment_fixed_size 0
		.amdhsa_private_segment_fixed_size 0
		.amdhsa_kernarg_size 320
		.amdhsa_user_sgpr_count 15
		.amdhsa_user_sgpr_dispatch_ptr 0
		.amdhsa_user_sgpr_queue_ptr 0
		.amdhsa_user_sgpr_kernarg_segment_ptr 1
		.amdhsa_user_sgpr_dispatch_id 0
		.amdhsa_user_sgpr_private_segment_size 0
		.amdhsa_wavefront_size32 1
		.amdhsa_uses_dynamic_stack 0
		.amdhsa_enable_private_segment 0
		.amdhsa_system_sgpr_workgroup_id_x 1
		.amdhsa_system_sgpr_workgroup_id_y 0
		.amdhsa_system_sgpr_workgroup_id_z 0
		.amdhsa_system_sgpr_workgroup_info 0
		.amdhsa_system_vgpr_workitem_id 0
		.amdhsa_next_free_vgpr 15
		.amdhsa_next_free_sgpr 16
		.amdhsa_reserve_vcc 1
		.amdhsa_float_round_mode_32 0
		.amdhsa_float_round_mode_16_64 0
		.amdhsa_float_denorm_mode_32 3
		.amdhsa_float_denorm_mode_16_64 3
		.amdhsa_dx10_clamp 1
		.amdhsa_ieee_mode 1
		.amdhsa_fp16_overflow 0
		.amdhsa_workgroup_processor_mode 1
		.amdhsa_memory_ordered 1
		.amdhsa_forward_progress 0
		.amdhsa_shared_vgpr_count 0
		.amdhsa_exception_fp_ieee_invalid_op 0
		.amdhsa_exception_fp_denorm_src 0
		.amdhsa_exception_fp_ieee_div_zero 0
		.amdhsa_exception_fp_ieee_overflow 0
		.amdhsa_exception_fp_ieee_underflow 0
		.amdhsa_exception_fp_ieee_inexact 0
		.amdhsa_exception_int_div_zero 0
	.end_amdhsa_kernel
	.section	.text._ZN12tensorrt_llm7kernels21fusedQKNormRopeKernelIN3c104HalfEfLi128ELb1EEEvPviiifPKvS6_S6_PKlii,"axG",@progbits,_ZN12tensorrt_llm7kernels21fusedQKNormRopeKernelIN3c104HalfEfLi128ELb1EEEvPviiifPKvS6_S6_PKlii,comdat
.Lfunc_end2:
	.size	_ZN12tensorrt_llm7kernels21fusedQKNormRopeKernelIN3c104HalfEfLi128ELb1EEEvPviiifPKvS6_S6_PKlii, .Lfunc_end2-_ZN12tensorrt_llm7kernels21fusedQKNormRopeKernelIN3c104HalfEfLi128ELb1EEEvPviiifPKvS6_S6_PKlii
                                        ; -- End function
	.section	.AMDGPU.csdata,"",@progbits
; Kernel info:
; codeLenInByte = 1168
; NumSgprs: 18
; NumVgprs: 15
; ScratchSize: 0
; MemoryBound: 0
; FloatMode: 240
; IeeeMode: 1
; LDSByteSize: 0 bytes/workgroup (compile time only)
; SGPRBlocks: 2
; VGPRBlocks: 1
; NumSGPRsForWavesPerEU: 18
; NumVGPRsForWavesPerEU: 15
; Occupancy: 16
; WaveLimiterHint : 1
; COMPUTE_PGM_RSRC2:SCRATCH_EN: 0
; COMPUTE_PGM_RSRC2:USER_SGPR: 15
; COMPUTE_PGM_RSRC2:TRAP_HANDLER: 0
; COMPUTE_PGM_RSRC2:TGID_X_EN: 1
; COMPUTE_PGM_RSRC2:TGID_Y_EN: 0
; COMPUTE_PGM_RSRC2:TGID_Z_EN: 0
; COMPUTE_PGM_RSRC2:TIDIG_COMP_CNT: 0
	.section	.text._ZN12tensorrt_llm7kernels21fusedQKNormRopeKernelIN3c104HalfEfLi128ELb0EEEvPviiifPKvS6_S6_PKlii,"axG",@progbits,_ZN12tensorrt_llm7kernels21fusedQKNormRopeKernelIN3c104HalfEfLi128ELb0EEEvPviiifPKvS6_S6_PKlii,comdat
	.protected	_ZN12tensorrt_llm7kernels21fusedQKNormRopeKernelIN3c104HalfEfLi128ELb0EEEvPviiifPKvS6_S6_PKlii ; -- Begin function _ZN12tensorrt_llm7kernels21fusedQKNormRopeKernelIN3c104HalfEfLi128ELb0EEEvPviiifPKvS6_S6_PKlii
	.globl	_ZN12tensorrt_llm7kernels21fusedQKNormRopeKernelIN3c104HalfEfLi128ELb0EEEvPviiifPKvS6_S6_PKlii
	.p2align	8
	.type	_ZN12tensorrt_llm7kernels21fusedQKNormRopeKernelIN3c104HalfEfLi128ELb0EEEvPviiifPKvS6_S6_PKlii,@function
_ZN12tensorrt_llm7kernels21fusedQKNormRopeKernelIN3c104HalfEfLi128ELb0EEEvPviiifPKvS6_S6_PKlii: ; @_ZN12tensorrt_llm7kernels21fusedQKNormRopeKernelIN3c104HalfEfLi128ELb0EEEvPviiifPKvS6_S6_PKlii
; %bb.0:
	s_clause 0x2
	s_load_b128 s[8:11], s[0:1], 0x8
	s_load_b64 s[12:13], s[0:1], 0x38
	s_load_b32 s4, s[0:1], 0x4c
	v_lshrrev_b32_e32 v3, 5, v0
	s_waitcnt lgkmcnt(0)
	s_add_i32 s2, s9, s8
	s_bfe_u32 s4, s4, 0xb0005
	s_abs_i32 s3, s2
	s_delay_alu instid0(SALU_CYCLE_1) | instskip(SKIP_1) | instid1(VALU_DEP_1)
	v_cvt_f32_u32_e32 v1, s3
	s_sub_i32 s5, 0, s3
	v_rcp_iflag_f32_e32 v1, v1
	s_waitcnt_depctr 0xfff
	v_mul_f32_e32 v1, 0x4f7ffffe, v1
	s_delay_alu instid0(VALU_DEP_1) | instskip(NEXT) | instid1(VALU_DEP_1)
	v_cvt_u32_f32_e32 v4, v1
	v_mul_lo_u32 v5, s5, v4
	v_mad_u64_u32 v[1:2], null, s15, s4, v[3:4]
	s_delay_alu instid0(VALU_DEP_2) | instskip(NEXT) | instid1(VALU_DEP_2)
	v_mul_hi_u32 v2, v4, v5
	v_sub_nc_u32_e32 v3, 0, v1
	s_delay_alu instid0(VALU_DEP_1) | instskip(NEXT) | instid1(VALU_DEP_3)
	v_max_i32_e32 v3, v1, v3
	v_add_nc_u32_e32 v2, v4, v2
	s_delay_alu instid0(VALU_DEP_1) | instskip(NEXT) | instid1(VALU_DEP_1)
	v_mul_hi_u32 v2, v3, v2
	v_mul_lo_u32 v4, v2, s3
	s_delay_alu instid0(VALU_DEP_1) | instskip(NEXT) | instid1(VALU_DEP_1)
	v_sub_nc_u32_e32 v3, v3, v4
	v_subrev_nc_u32_e32 v5, s3, v3
	v_cmp_le_u32_e32 vcc_lo, s3, v3
	s_delay_alu instid0(VALU_DEP_2) | instskip(NEXT) | instid1(VALU_DEP_1)
	v_dual_cndmask_b32 v3, v3, v5 :: v_dual_add_nc_u32 v4, 1, v2
	v_cndmask_b32_e32 v2, v2, v4, vcc_lo
	v_xor_b32_e32 v4, s2, v1
	s_delay_alu instid0(VALU_DEP_3) | instskip(NEXT) | instid1(VALU_DEP_3)
	v_cmp_le_u32_e32 vcc_lo, s3, v3
	v_add_nc_u32_e32 v5, 1, v2
	s_delay_alu instid0(VALU_DEP_3) | instskip(SKIP_1) | instid1(VALU_DEP_2)
	v_ashrrev_i32_e32 v4, 31, v4
	s_mov_b32 s3, exec_lo
	v_cndmask_b32_e32 v2, v2, v5, vcc_lo
	s_delay_alu instid0(VALU_DEP_1) | instskip(NEXT) | instid1(VALU_DEP_1)
	v_xor_b32_e32 v2, v2, v4
	v_sub_nc_u32_e32 v2, v2, v4
	s_delay_alu instid0(VALU_DEP_1)
	v_cmpx_gt_i32_e64 s12, v2
	s_cbranch_execz .LBB3_4
; %bb.1:
	v_mul_lo_u32 v3, v2, s2
	s_add_i32 s2, s2, s10
	v_and_b32_e32 v4, 31, v0
	v_mul_lo_u32 v5, v2, s2
	s_load_b64 s[2:3], s[0:1], 0x0
	s_delay_alu instid0(VALU_DEP_3) | instskip(NEXT) | instid1(VALU_DEP_1)
	v_sub_nc_u32_e32 v1, v1, v3
	v_cmp_gt_i32_e32 vcc_lo, s8, v1
	v_cndmask_b32_e64 v3, s8, 0, vcc_lo
	s_delay_alu instid0(VALU_DEP_1) | instskip(SKIP_1) | instid1(VALU_DEP_2)
	v_sub_nc_u32_e32 v0, v1, v3
	v_lshlrev_b32_e32 v1, 2, v4
	v_add3_u32 v0, v5, v3, v0
	s_delay_alu instid0(VALU_DEP_1) | instskip(NEXT) | instid1(VALU_DEP_1)
	v_lshl_or_b32 v0, v0, 7, v1
	v_ashrrev_i32_e32 v1, 31, v0
	s_delay_alu instid0(VALU_DEP_1) | instskip(SKIP_1) | instid1(VALU_DEP_1)
	v_lshlrev_b64 v[0:1], 1, v[0:1]
	s_waitcnt lgkmcnt(0)
	v_add_co_u32 v0, s2, s2, v0
	s_delay_alu instid0(VALU_DEP_1)
	v_add_co_ci_u32_e64 v1, s2, s3, v1, s2
	s_load_b256 s[0:7], s[0:1], 0x18
	global_load_b64 v[6:7], v[0:1], off
	s_waitcnt lgkmcnt(0)
	v_mov_b32_e32 v3, s0
	v_dual_mov_b32 v5, s1 :: v_dual_lshlrev_b32 v10, 3, v4
	s_ashr_i32 s1, s13, 31
	s_delay_alu instid0(VALU_DEP_2) | instskip(NEXT) | instid1(VALU_DEP_2)
	v_cndmask_b32_e32 v3, s2, v3, vcc_lo
	v_cndmask_b32_e32 v5, s3, v5, vcc_lo
	s_lshr_b32 s0, s1, 30
	s_delay_alu instid0(SALU_CYCLE_1) | instskip(NEXT) | instid1(VALU_DEP_2)
	s_add_i32 s0, s13, s0
	v_add_co_u32 v8, vcc_lo, v3, v10
	s_delay_alu instid0(VALU_DEP_2)
	v_add_co_ci_u32_e32 v9, vcc_lo, 0, v5, vcc_lo
	v_mbcnt_lo_u32_b32 v5, -1, 0
	s_ashr_i32 s0, s0, 2
	global_load_b64 v[8:9], v[8:9], off
	v_xor_b32_e32 v12, 16, v5
	v_xor_b32_e32 v13, 8, v5
	s_delay_alu instid0(VALU_DEP_2) | instskip(SKIP_1) | instid1(VALU_DEP_3)
	v_cmp_gt_i32_e32 vcc_lo, 32, v12
	v_cndmask_b32_e32 v12, v5, v12, vcc_lo
	v_cmp_gt_i32_e32 vcc_lo, 32, v13
	s_delay_alu instid0(VALU_DEP_2) | instskip(NEXT) | instid1(VALU_DEP_1)
	v_dual_cndmask_b32 v13, v5, v13 :: v_dual_lshlrev_b32 v12, 2, v12
	v_lshlrev_b32_e32 v13, 2, v13
	s_waitcnt vmcnt(1)
	v_lshrrev_b32_e32 v3, 16, v6
	v_lshrrev_b32_e32 v15, 16, v7
	s_delay_alu instid0(VALU_DEP_2) | instskip(NEXT) | instid1(VALU_DEP_1)
	v_cvt_f32_f16_e32 v3, v3
	v_mul_f32_e32 v11, v3, v3
	s_delay_alu instid0(VALU_DEP_1) | instskip(SKIP_1) | instid1(VALU_DEP_2)
	v_fma_mix_f32 v11, v6, v6, v11 op_sel_hi:[1,1,0]
	v_cvt_f32_f16_e32 v6, v6
	v_fma_mix_f32 v11, v7, v7, v11 op_sel_hi:[1,1,0]
	s_delay_alu instid0(VALU_DEP_1)
	v_fma_mix_f32 v11, v7, v7, v11 op_sel:[1,1,0] op_sel_hi:[1,1,0]
	v_cvt_f32_f16_e32 v7, v7
	ds_bpermute_b32 v12, v12, v11
	s_waitcnt lgkmcnt(0)
	v_add_f32_e32 v11, v11, v12
	ds_bpermute_b32 v12, v13, v11
	v_xor_b32_e32 v13, 4, v5
	s_delay_alu instid0(VALU_DEP_1) | instskip(SKIP_1) | instid1(VALU_DEP_1)
	v_cmp_gt_i32_e32 vcc_lo, 32, v13
	v_cndmask_b32_e32 v13, v5, v13, vcc_lo
	v_lshlrev_b32_e32 v13, 2, v13
	s_waitcnt lgkmcnt(0)
	v_add_f32_e32 v11, v11, v12
	ds_bpermute_b32 v12, v13, v11
	v_xor_b32_e32 v13, 2, v5
	s_delay_alu instid0(VALU_DEP_1) | instskip(SKIP_1) | instid1(VALU_DEP_1)
	v_cmp_gt_i32_e32 vcc_lo, 32, v13
	v_cndmask_b32_e32 v13, v5, v13, vcc_lo
	v_lshlrev_b32_e32 v13, 2, v13
	;; [unrolled: 8-line block ×3, first 2 shown]
	s_waitcnt lgkmcnt(0)
	v_add_f32_e32 v11, v11, v12
	ds_bpermute_b32 v12, v13, v11
	v_mov_b32_e32 v13, s11
	s_waitcnt lgkmcnt(0)
	v_add_f32_e32 v11, v11, v12
	s_delay_alu instid0(VALU_DEP_1) | instskip(SKIP_3) | instid1(VALU_DEP_3)
	v_fmamk_f32 v11, v11, 0x3c000000, v13
	s_waitcnt vmcnt(0)
	v_lshrrev_b32_e32 v13, 16, v9
	v_cvt_f32_f16_e32 v9, v9
	v_mul_f32_e32 v12, 0x4b800000, v11
	v_cmp_gt_f32_e32 vcc_lo, 0x800000, v11
	s_delay_alu instid0(VALU_DEP_4) | instskip(NEXT) | instid1(VALU_DEP_3)
	v_cvt_f32_f16_e32 v13, v13
	v_cndmask_b32_e32 v11, v11, v12, vcc_lo
	v_lshrrev_b32_e32 v12, 16, v8
	v_cvt_f32_f16_e32 v8, v8
	s_delay_alu instid0(VALU_DEP_3) | instskip(NEXT) | instid1(VALU_DEP_2)
	v_rsq_f32_e32 v11, v11
	v_cvt_f32_f16_e32 v12, v12
	s_waitcnt_depctr 0xfff
	v_mul_f32_e32 v14, 0x45800000, v11
	s_delay_alu instid0(VALU_DEP_1) | instskip(SKIP_2) | instid1(VALU_DEP_3)
	v_cndmask_b32_e32 v11, v11, v14, vcc_lo
	v_cvt_f32_f16_e32 v14, v15
	v_cmp_gt_i32_e32 vcc_lo, s0, v4
	v_mul_f32_e32 v8, v11, v8
	v_mul_f32_e32 v12, v11, v12
	;; [unrolled: 1-line block ×3, first 2 shown]
	s_delay_alu instid0(VALU_DEP_3) | instskip(NEXT) | instid1(VALU_DEP_3)
	v_dual_mul_f32 v11, v11, v13 :: v_dual_mul_f32 v8, v8, v6
	v_mul_f32_e32 v6, v12, v3
	s_delay_alu instid0(VALU_DEP_3) | instskip(NEXT) | instid1(VALU_DEP_3)
	v_mul_f32_e32 v9, v9, v7
	v_mul_f32_e32 v7, v11, v14
	s_and_saveexec_b32 s0, vcc_lo
	s_cbranch_execz .LBB3_3
; %bb.2:
	v_ashrrev_i32_e32 v3, 31, v2
	v_or_b32_e32 v14, 4, v10
	v_or_b32_e32 v17, 6, v10
	s_delay_alu instid0(VALU_DEP_3) | instskip(NEXT) | instid1(VALU_DEP_1)
	v_lshlrev_b64 v[2:3], 3, v[2:3]
	v_add_co_u32 v2, vcc_lo, s6, v2
	s_delay_alu instid0(VALU_DEP_2) | instskip(SKIP_1) | instid1(SALU_CYCLE_1)
	v_add_co_ci_u32_e32 v3, vcc_lo, s7, v3, vcc_lo
	s_abs_i32 s6, s13
	v_cvt_f32_u32_e32 v11, s6
	global_load_b64 v[2:3], v[2:3], off
	s_sub_i32 s2, 0, s6
	; wave barrier
	v_rcp_iflag_f32_e32 v11, v11
	s_waitcnt_depctr 0xfff
	v_mul_f32_e32 v11, 0x4f7ffffe, v11
	s_delay_alu instid0(VALU_DEP_1) | instskip(NEXT) | instid1(VALU_DEP_1)
	v_cvt_u32_f32_e32 v11, v11
	v_mul_lo_u32 v12, s2, v11
	s_lshr_b32 s2, s13, 31
	s_delay_alu instid0(SALU_CYCLE_1) | instskip(NEXT) | instid1(SALU_CYCLE_1)
	s_add_i32 s2, s13, s2
	s_ashr_i32 s2, s2, 1
	s_delay_alu instid0(SALU_CYCLE_1) | instskip(NEXT) | instid1(VALU_DEP_1)
	s_ashr_i32 s3, s2, 31
	v_mul_hi_u32 v12, v11, v12
	s_lshl_b64 s[2:3], s[2:3], 2
	s_delay_alu instid0(VALU_DEP_1) | instskip(SKIP_1) | instid1(VALU_DEP_2)
	v_add_nc_u32_e32 v11, v11, v12
	v_or_b32_e32 v12, 2, v10
	v_mul_hi_u32 v13, v10, v11
	s_delay_alu instid0(VALU_DEP_2) | instskip(NEXT) | instid1(VALU_DEP_2)
	v_mul_hi_u32 v15, v12, v11
	v_mul_lo_u32 v13, v13, s6
	s_delay_alu instid0(VALU_DEP_2) | instskip(NEXT) | instid1(VALU_DEP_2)
	v_mul_lo_u32 v15, v15, s6
	v_sub_nc_u32_e32 v10, v10, v13
	s_delay_alu instid0(VALU_DEP_2) | instskip(NEXT) | instid1(VALU_DEP_2)
	v_sub_nc_u32_e32 v12, v12, v15
	v_subrev_nc_u32_e32 v15, s6, v10
	v_cmp_le_u32_e32 vcc_lo, s6, v10
	s_delay_alu instid0(VALU_DEP_2) | instskip(SKIP_3) | instid1(VALU_DEP_3)
	v_cndmask_b32_e32 v10, v10, v15, vcc_lo
	v_mul_hi_u32 v16, v14, v11
	v_mul_hi_u32 v18, v17, v11
	v_cmp_le_u32_e32 vcc_lo, s6, v12
	v_mul_lo_u32 v16, v16, s6
	s_delay_alu instid0(VALU_DEP_3) | instskip(NEXT) | instid1(VALU_DEP_2)
	v_mul_lo_u32 v13, v18, s6
	v_sub_nc_u32_e32 v14, v14, v16
	v_subrev_nc_u32_e32 v16, s6, v12
	s_delay_alu instid0(VALU_DEP_2) | instskip(NEXT) | instid1(VALU_DEP_2)
	v_subrev_nc_u32_e32 v15, s6, v14
	v_cndmask_b32_e32 v12, v12, v16, vcc_lo
	v_cmp_le_u32_e32 vcc_lo, s6, v14
	v_mov_b32_e32 v11, 0
	v_sub_nc_u32_e32 v16, v17, v13
	v_subrev_nc_u32_e32 v13, s6, v10
	v_cndmask_b32_e32 v14, v14, v15, vcc_lo
	v_cmp_le_u32_e32 vcc_lo, s6, v10
	v_subrev_nc_u32_e32 v15, s6, v12
	v_subrev_nc_u32_e32 v17, s6, v16
	s_delay_alu instid0(VALU_DEP_4) | instskip(SKIP_4) | instid1(VALU_DEP_4)
	v_subrev_nc_u32_e32 v18, s6, v14
	v_cndmask_b32_e32 v10, v10, v13, vcc_lo
	v_cmp_le_u32_e32 vcc_lo, s6, v12
	v_cndmask_b32_e32 v15, v12, v15, vcc_lo
	v_cmp_le_u32_e32 vcc_lo, s6, v16
	v_lshrrev_b32_e32 v10, 1, v10
	v_cndmask_b32_e32 v16, v16, v17, vcc_lo
	v_cmp_le_u32_e32 vcc_lo, s6, v14
	v_cndmask_b32_e32 v17, v14, v18, vcc_lo
	s_delay_alu instid0(VALU_DEP_3) | instskip(SKIP_1) | instid1(VALU_DEP_2)
	v_subrev_nc_u32_e32 v18, s6, v16
	v_cmp_le_u32_e32 vcc_lo, s6, v16
	v_cndmask_b32_e32 v18, v16, v18, vcc_lo
	s_waitcnt vmcnt(0)
	v_mul_lo_u32 v19, v3, s13
	v_mul_lo_u32 v20, v2, s1
	v_mad_u64_u32 v[12:13], null, v2, s13, 0
	v_lshlrev_b64 v[2:3], 2, v[10:11]
	v_lshrrev_b32_e32 v10, 1, v15
	s_lshr_b32 s1, s1, 29
	s_delay_alu instid0(SALU_CYCLE_1) | instskip(NEXT) | instid1(VALU_DEP_3)
	s_add_i32 s1, s13, s1
	v_add3_u32 v13, v13, v20, v19
	s_delay_alu instid0(VALU_DEP_2) | instskip(SKIP_2) | instid1(VALU_DEP_3)
	v_lshlrev_b64 v[14:15], 2, v[10:11]
	v_lshrrev_b32_e32 v10, 1, v17
	s_ashr_i32 s1, s1, 3
	v_lshlrev_b64 v[12:13], 2, v[12:13]
	s_delay_alu instid0(VALU_DEP_2) | instskip(SKIP_1) | instid1(VALU_DEP_3)
	v_lshlrev_b64 v[16:17], 2, v[10:11]
	v_lshrrev_b32_e32 v10, 1, v18
	v_add_co_u32 v22, vcc_lo, s4, v12
	s_delay_alu instid0(VALU_DEP_4) | instskip(NEXT) | instid1(VALU_DEP_3)
	v_add_co_ci_u32_e32 v23, vcc_lo, s5, v13, vcc_lo
	v_lshlrev_b64 v[10:11], 2, v[10:11]
	s_delay_alu instid0(VALU_DEP_3) | instskip(NEXT) | instid1(VALU_DEP_3)
	v_add_co_u32 v24, vcc_lo, v22, s2
	v_add_co_ci_u32_e32 v25, vcc_lo, s3, v23, vcc_lo
	v_add_co_u32 v12, vcc_lo, v22, v2
	v_add_co_ci_u32_e32 v13, vcc_lo, v23, v3, vcc_lo
	;; [unrolled: 2-line block ×9, first 2 shown]
	s_clause 0x7
	global_load_b32 v2, v[2:3], off
	global_load_b32 v3, v[14:15], off
	;; [unrolled: 1-line block ×8, first 2 shown]
	v_xor_b32_e32 v16, s1, v5
	; wave barrier
	s_delay_alu instid0(VALU_DEP_1) | instskip(SKIP_2) | instid1(VALU_DEP_2)
	v_cmp_gt_i32_e32 vcc_lo, 32, v16
	v_cndmask_b32_e32 v5, v5, v16, vcc_lo
	v_cmp_gt_i32_e32 vcc_lo, s1, v4
	v_lshlrev_b32_e32 v5, 2, v5
	ds_bpermute_b32 v16, v5, v8
	s_waitcnt lgkmcnt(0)
	v_cndmask_b32_e64 v4, v16, -v16, vcc_lo
	s_waitcnt vmcnt(7)
	s_delay_alu instid0(VALU_DEP_1)
	v_mul_f32_e32 v2, v4, v2
	ds_bpermute_b32 v17, v5, v6
	ds_bpermute_b32 v18, v5, v9
	;; [unrolled: 1-line block ×3, first 2 shown]
	s_waitcnt vmcnt(3)
	v_fmac_f32_e32 v2, v8, v11
	s_delay_alu instid0(VALU_DEP_1)
	v_mov_b32_e32 v8, v2
	s_waitcnt lgkmcnt(2)
	v_cndmask_b32_e64 v16, v17, -v17, vcc_lo
	s_waitcnt lgkmcnt(1)
	v_cndmask_b32_e64 v17, v18, -v18, vcc_lo
	s_waitcnt lgkmcnt(0)
	v_cndmask_b32_e64 v5, v5, -v5, vcc_lo
	s_delay_alu instid0(VALU_DEP_2) | instskip(NEXT) | instid1(VALU_DEP_2)
	v_dual_mul_f32 v3, v16, v3 :: v_dual_mul_f32 v4, v17, v14
	v_mul_f32_e32 v5, v5, v10
	s_waitcnt vmcnt(1)
	s_delay_alu instid0(VALU_DEP_2) | instskip(SKIP_1) | instid1(VALU_DEP_2)
	v_dual_fmac_f32 v3, v6, v12 :: v_dual_fmac_f32 v4, v9, v13
	s_waitcnt vmcnt(0)
	v_fmac_f32_e32 v5, v7, v15
	s_delay_alu instid0(VALU_DEP_2) | instskip(NEXT) | instid1(VALU_DEP_2)
	v_dual_mov_b32 v6, v3 :: v_dual_mov_b32 v9, v4
	v_mov_b32_e32 v7, v5
.LBB3_3:
	s_or_b32 exec_lo, exec_lo, s0
	v_cvt_f16_f32_e32 v2, v8
	s_delay_alu instid0(VALU_DEP_3) | instskip(NEXT) | instid1(VALU_DEP_3)
	v_cvt_f16_f32_e32 v3, v9
	v_cvt_f16_f32_e32 v4, v7
	;; [unrolled: 1-line block ×3, first 2 shown]
	s_delay_alu instid0(VALU_DEP_2) | instskip(NEXT) | instid1(VALU_DEP_2)
	v_pack_b32_f16 v3, v3, v4
	v_pack_b32_f16 v2, v2, v5
	global_store_b64 v[0:1], v[2:3], off
.LBB3_4:
	s_nop 0
	s_sendmsg sendmsg(MSG_DEALLOC_VGPRS)
	s_endpgm
	.section	.rodata,"a",@progbits
	.p2align	6, 0x0
	.amdhsa_kernel _ZN12tensorrt_llm7kernels21fusedQKNormRopeKernelIN3c104HalfEfLi128ELb0EEEvPviiifPKvS6_S6_PKlii
		.amdhsa_group_segment_fixed_size 0
		.amdhsa_private_segment_fixed_size 0
		.amdhsa_kernarg_size 320
		.amdhsa_user_sgpr_count 15
		.amdhsa_user_sgpr_dispatch_ptr 0
		.amdhsa_user_sgpr_queue_ptr 0
		.amdhsa_user_sgpr_kernarg_segment_ptr 1
		.amdhsa_user_sgpr_dispatch_id 0
		.amdhsa_user_sgpr_private_segment_size 0
		.amdhsa_wavefront_size32 1
		.amdhsa_uses_dynamic_stack 0
		.amdhsa_enable_private_segment 0
		.amdhsa_system_sgpr_workgroup_id_x 1
		.amdhsa_system_sgpr_workgroup_id_y 0
		.amdhsa_system_sgpr_workgroup_id_z 0
		.amdhsa_system_sgpr_workgroup_info 0
		.amdhsa_system_vgpr_workitem_id 0
		.amdhsa_next_free_vgpr 26
		.amdhsa_next_free_sgpr 16
		.amdhsa_reserve_vcc 1
		.amdhsa_float_round_mode_32 0
		.amdhsa_float_round_mode_16_64 0
		.amdhsa_float_denorm_mode_32 3
		.amdhsa_float_denorm_mode_16_64 3
		.amdhsa_dx10_clamp 1
		.amdhsa_ieee_mode 1
		.amdhsa_fp16_overflow 0
		.amdhsa_workgroup_processor_mode 1
		.amdhsa_memory_ordered 1
		.amdhsa_forward_progress 0
		.amdhsa_shared_vgpr_count 0
		.amdhsa_exception_fp_ieee_invalid_op 0
		.amdhsa_exception_fp_denorm_src 0
		.amdhsa_exception_fp_ieee_div_zero 0
		.amdhsa_exception_fp_ieee_overflow 0
		.amdhsa_exception_fp_ieee_underflow 0
		.amdhsa_exception_fp_ieee_inexact 0
		.amdhsa_exception_int_div_zero 0
	.end_amdhsa_kernel
	.section	.text._ZN12tensorrt_llm7kernels21fusedQKNormRopeKernelIN3c104HalfEfLi128ELb0EEEvPviiifPKvS6_S6_PKlii,"axG",@progbits,_ZN12tensorrt_llm7kernels21fusedQKNormRopeKernelIN3c104HalfEfLi128ELb0EEEvPviiifPKvS6_S6_PKlii,comdat
.Lfunc_end3:
	.size	_ZN12tensorrt_llm7kernels21fusedQKNormRopeKernelIN3c104HalfEfLi128ELb0EEEvPviiifPKvS6_S6_PKlii, .Lfunc_end3-_ZN12tensorrt_llm7kernels21fusedQKNormRopeKernelIN3c104HalfEfLi128ELb0EEEvPviiifPKvS6_S6_PKlii
                                        ; -- End function
	.section	.AMDGPU.csdata,"",@progbits
; Kernel info:
; codeLenInByte = 1776
; NumSgprs: 18
; NumVgprs: 26
; ScratchSize: 0
; MemoryBound: 0
; FloatMode: 240
; IeeeMode: 1
; LDSByteSize: 0 bytes/workgroup (compile time only)
; SGPRBlocks: 2
; VGPRBlocks: 3
; NumSGPRsForWavesPerEU: 18
; NumVGPRsForWavesPerEU: 26
; Occupancy: 16
; WaveLimiterHint : 1
; COMPUTE_PGM_RSRC2:SCRATCH_EN: 0
; COMPUTE_PGM_RSRC2:USER_SGPR: 15
; COMPUTE_PGM_RSRC2:TRAP_HANDLER: 0
; COMPUTE_PGM_RSRC2:TGID_X_EN: 1
; COMPUTE_PGM_RSRC2:TGID_Y_EN: 0
; COMPUTE_PGM_RSRC2:TGID_Z_EN: 0
; COMPUTE_PGM_RSRC2:TIDIG_COMP_CNT: 0
	.section	.text._ZN12tensorrt_llm7kernels21fusedQKNormRopeKernelIN3c104HalfEfLi256ELb1EEEvPviiifPKvS6_S6_PKlii,"axG",@progbits,_ZN12tensorrt_llm7kernels21fusedQKNormRopeKernelIN3c104HalfEfLi256ELb1EEEvPviiifPKvS6_S6_PKlii,comdat
	.protected	_ZN12tensorrt_llm7kernels21fusedQKNormRopeKernelIN3c104HalfEfLi256ELb1EEEvPviiifPKvS6_S6_PKlii ; -- Begin function _ZN12tensorrt_llm7kernels21fusedQKNormRopeKernelIN3c104HalfEfLi256ELb1EEEvPviiifPKvS6_S6_PKlii
	.globl	_ZN12tensorrt_llm7kernels21fusedQKNormRopeKernelIN3c104HalfEfLi256ELb1EEEvPviiifPKvS6_S6_PKlii
	.p2align	8
	.type	_ZN12tensorrt_llm7kernels21fusedQKNormRopeKernelIN3c104HalfEfLi256ELb1EEEvPviiifPKvS6_S6_PKlii,@function
_ZN12tensorrt_llm7kernels21fusedQKNormRopeKernelIN3c104HalfEfLi256ELb1EEEvPviiifPKvS6_S6_PKlii: ; @_ZN12tensorrt_llm7kernels21fusedQKNormRopeKernelIN3c104HalfEfLi256ELb1EEEvPviiifPKvS6_S6_PKlii
; %bb.0:
	s_clause 0x2
	s_load_b128 s[8:11], s[0:1], 0x8
	s_load_b64 s[12:13], s[0:1], 0x38
	s_load_b32 s4, s[0:1], 0x4c
	v_lshrrev_b32_e32 v3, 5, v0
	s_waitcnt lgkmcnt(0)
	s_add_i32 s2, s9, s8
	s_bfe_u32 s4, s4, 0xb0005
	s_abs_i32 s3, s2
	s_delay_alu instid0(SALU_CYCLE_1) | instskip(SKIP_1) | instid1(VALU_DEP_1)
	v_cvt_f32_u32_e32 v1, s3
	s_sub_i32 s5, 0, s3
	v_rcp_iflag_f32_e32 v1, v1
	s_waitcnt_depctr 0xfff
	v_mul_f32_e32 v1, 0x4f7ffffe, v1
	s_delay_alu instid0(VALU_DEP_1) | instskip(NEXT) | instid1(VALU_DEP_1)
	v_cvt_u32_f32_e32 v4, v1
	v_mul_lo_u32 v5, s5, v4
	v_mad_u64_u32 v[1:2], null, s15, s4, v[3:4]
	s_delay_alu instid0(VALU_DEP_2) | instskip(NEXT) | instid1(VALU_DEP_2)
	v_mul_hi_u32 v2, v4, v5
	v_sub_nc_u32_e32 v3, 0, v1
	s_delay_alu instid0(VALU_DEP_1) | instskip(NEXT) | instid1(VALU_DEP_3)
	v_max_i32_e32 v3, v1, v3
	v_add_nc_u32_e32 v2, v4, v2
	s_delay_alu instid0(VALU_DEP_1) | instskip(NEXT) | instid1(VALU_DEP_1)
	v_mul_hi_u32 v2, v3, v2
	v_mul_lo_u32 v4, v2, s3
	s_delay_alu instid0(VALU_DEP_1) | instskip(NEXT) | instid1(VALU_DEP_1)
	v_sub_nc_u32_e32 v3, v3, v4
	v_subrev_nc_u32_e32 v5, s3, v3
	v_cmp_le_u32_e32 vcc_lo, s3, v3
	s_delay_alu instid0(VALU_DEP_2) | instskip(NEXT) | instid1(VALU_DEP_1)
	v_dual_cndmask_b32 v3, v3, v5 :: v_dual_add_nc_u32 v4, 1, v2
	v_cndmask_b32_e32 v2, v2, v4, vcc_lo
	v_xor_b32_e32 v4, s2, v1
	s_delay_alu instid0(VALU_DEP_3) | instskip(NEXT) | instid1(VALU_DEP_3)
	v_cmp_le_u32_e32 vcc_lo, s3, v3
	v_add_nc_u32_e32 v5, 1, v2
	s_delay_alu instid0(VALU_DEP_3) | instskip(SKIP_1) | instid1(VALU_DEP_2)
	v_ashrrev_i32_e32 v4, 31, v4
	s_mov_b32 s3, exec_lo
	v_cndmask_b32_e32 v2, v2, v5, vcc_lo
	s_delay_alu instid0(VALU_DEP_1) | instskip(NEXT) | instid1(VALU_DEP_1)
	v_xor_b32_e32 v2, v2, v4
	v_sub_nc_u32_e32 v2, v2, v4
	s_delay_alu instid0(VALU_DEP_1)
	v_cmpx_gt_i32_e64 s12, v2
	s_cbranch_execz .LBB4_4
; %bb.1:
	v_mul_lo_u32 v3, v2, s2
	s_add_i32 s2, s2, s10
	v_mbcnt_lo_u32_b32 v15, -1, 0
	v_mul_lo_u32 v4, v2, s2
	s_load_b64 s[2:3], s[0:1], 0x0
	s_delay_alu instid0(VALU_DEP_2) | instskip(NEXT) | instid1(VALU_DEP_4)
	v_xor_b32_e32 v16, 16, v15
	v_sub_nc_u32_e32 v1, v1, v3
	v_xor_b32_e32 v17, 8, v15
	s_delay_alu instid0(VALU_DEP_2) | instskip(SKIP_2) | instid1(VALU_DEP_1)
	v_cmp_gt_i32_e32 vcc_lo, s8, v1
	v_and_b32_e32 v13, 31, v0
	v_cndmask_b32_e64 v3, s8, 0, vcc_lo
	v_sub_nc_u32_e32 v0, v1, v3
	s_delay_alu instid0(VALU_DEP_3) | instskip(NEXT) | instid1(VALU_DEP_2)
	v_lshlrev_b32_e32 v1, 3, v13
	v_add3_u32 v0, v4, v3, v0
	s_delay_alu instid0(VALU_DEP_1) | instskip(NEXT) | instid1(VALU_DEP_1)
	v_lshl_or_b32 v0, v0, 8, v1
	v_ashrrev_i32_e32 v1, 31, v0
	s_delay_alu instid0(VALU_DEP_1) | instskip(SKIP_1) | instid1(VALU_DEP_1)
	v_lshlrev_b64 v[0:1], 1, v[0:1]
	s_waitcnt lgkmcnt(0)
	v_add_co_u32 v0, s2, s2, v0
	s_delay_alu instid0(VALU_DEP_1)
	v_add_co_ci_u32_e64 v1, s2, s3, v1, s2
	s_load_b256 s[0:7], s[0:1], 0x18
	global_load_b128 v[5:8], v[0:1], off
	s_waitcnt lgkmcnt(0)
	v_mov_b32_e32 v9, s1
	s_ashr_i32 s1, s13, 31
	s_delay_alu instid0(VALU_DEP_1) | instskip(SKIP_2) | instid1(SALU_CYCLE_1)
	v_cndmask_b32_e32 v10, s3, v9, vcc_lo
	v_dual_mov_b32 v3, s0 :: v_dual_lshlrev_b32 v4, 4, v13
	s_lshr_b32 s0, s1, 29
	s_add_i32 s0, s13, s0
	s_delay_alu instid0(VALU_DEP_1) | instskip(SKIP_1) | instid1(VALU_DEP_1)
	v_cndmask_b32_e32 v3, s2, v3, vcc_lo
	s_ashr_i32 s0, s0, 3
	v_add_co_u32 v9, vcc_lo, v3, v4
	v_add_co_ci_u32_e32 v10, vcc_lo, 0, v10, vcc_lo
	v_cmp_gt_i32_e32 vcc_lo, 32, v16
	global_load_b128 v[9:12], v[9:10], off
	v_cndmask_b32_e32 v16, v15, v16, vcc_lo
	v_cmp_gt_i32_e32 vcc_lo, 32, v17
	s_delay_alu instid0(VALU_DEP_2)
	v_lshlrev_b32_e32 v16, 2, v16
	s_waitcnt vmcnt(1)
	v_lshrrev_b32_e32 v3, 16, v5
	v_cvt_f32_f16_e32 v21, v7
	v_cvt_f32_f16_e32 v19, v6
	v_lshrrev_b32_e32 v22, 16, v8
	s_delay_alu instid0(VALU_DEP_4) | instskip(NEXT) | instid1(VALU_DEP_1)
	v_cvt_f32_f16_e32 v3, v3
	v_mul_f32_e32 v14, v3, v3
	s_delay_alu instid0(VALU_DEP_1) | instskip(SKIP_1) | instid1(VALU_DEP_2)
	v_fma_mix_f32 v14, v5, v5, v14 op_sel_hi:[1,1,0]
	v_cvt_f32_f16_e32 v5, v5
	v_fma_mix_f32 v14, v6, v6, v14 op_sel_hi:[1,1,0]
	s_delay_alu instid0(VALU_DEP_1) | instskip(SKIP_1) | instid1(VALU_DEP_2)
	v_fma_mix_f32 v14, v6, v6, v14 op_sel:[1,1,0] op_sel_hi:[1,1,0]
	v_lshrrev_b32_e32 v6, 16, v6
	v_fma_mix_f32 v14, v7, v7, v14 op_sel_hi:[1,1,0]
	s_delay_alu instid0(VALU_DEP_2) | instskip(NEXT) | instid1(VALU_DEP_2)
	v_cvt_f32_f16_e32 v6, v6
	v_fma_mix_f32 v14, v7, v7, v14 op_sel:[1,1,0] op_sel_hi:[1,1,0]
	v_lshrrev_b32_e32 v7, 16, v7
	s_waitcnt vmcnt(0)
	v_lshrrev_b32_e32 v18, 16, v12
	s_delay_alu instid0(VALU_DEP_3) | instskip(SKIP_2) | instid1(VALU_DEP_4)
	v_fma_mix_f32 v14, v8, v8, v14 op_sel_hi:[1,1,0]
	v_cvt_f32_f16_e32 v12, v12
	v_cvt_f32_f16_e32 v7, v7
	;; [unrolled: 1-line block ×3, first 2 shown]
	s_delay_alu instid0(VALU_DEP_4) | instskip(SKIP_4) | instid1(VALU_DEP_1)
	v_fma_mix_f32 v14, v8, v8, v14 op_sel:[1,1,0] op_sel_hi:[1,1,0]
	v_cvt_f32_f16_e32 v8, v8
	ds_bpermute_b32 v16, v16, v14
	s_waitcnt lgkmcnt(0)
	v_dual_cndmask_b32 v17, v15, v17 :: v_dual_add_f32 v14, v14, v16
	v_lshlrev_b32_e32 v17, 2, v17
	ds_bpermute_b32 v16, v17, v14
	v_xor_b32_e32 v17, 4, v15
	s_delay_alu instid0(VALU_DEP_1) | instskip(SKIP_2) | instid1(VALU_DEP_1)
	v_cmp_gt_i32_e32 vcc_lo, 32, v17
	s_waitcnt lgkmcnt(0)
	v_dual_add_f32 v14, v14, v16 :: v_dual_cndmask_b32 v17, v15, v17
	v_lshlrev_b32_e32 v17, 2, v17
	ds_bpermute_b32 v16, v17, v14
	v_xor_b32_e32 v17, 2, v15
	s_delay_alu instid0(VALU_DEP_1) | instskip(SKIP_2) | instid1(VALU_DEP_1)
	v_cmp_gt_i32_e32 vcc_lo, 32, v17
	v_cndmask_b32_e32 v17, v15, v17, vcc_lo
	s_waitcnt lgkmcnt(0)
	v_dual_add_f32 v14, v14, v16 :: v_dual_lshlrev_b32 v17, 2, v17
	ds_bpermute_b32 v16, v17, v14
	v_xor_b32_e32 v17, 1, v15
	s_delay_alu instid0(VALU_DEP_1)
	v_cmp_gt_i32_e32 vcc_lo, 32, v17
	s_waitcnt lgkmcnt(0)
	v_add_f32_e32 v14, v14, v16
	v_dual_mov_b32 v16, s11 :: v_dual_cndmask_b32 v15, v15, v17
	v_lshrrev_b32_e32 v17, 16, v11
	v_cvt_f32_f16_e32 v11, v11
	s_delay_alu instid0(VALU_DEP_3) | instskip(NEXT) | instid1(VALU_DEP_3)
	v_lshlrev_b32_e32 v15, 2, v15
	v_cvt_f32_f16_e32 v17, v17
	ds_bpermute_b32 v15, v15, v14
	s_waitcnt lgkmcnt(0)
	v_add_f32_e32 v14, v14, v15
	s_delay_alu instid0(VALU_DEP_1) | instskip(SKIP_2) | instid1(VALU_DEP_3)
	v_fmamk_f32 v14, v14, 0x3b800000, v16
	v_lshrrev_b32_e32 v16, 16, v9
	v_cvt_f32_f16_e32 v9, v9
	v_cmp_gt_f32_e32 vcc_lo, 0x800000, v14
	v_mul_f32_e32 v15, 0x4b800000, v14
	s_delay_alu instid0(VALU_DEP_4) | instskip(NEXT) | instid1(VALU_DEP_2)
	v_cvt_f32_f16_e32 v16, v16
	v_cndmask_b32_e32 v14, v14, v15, vcc_lo
	v_lshrrev_b32_e32 v15, 16, v10
	v_cvt_f32_f16_e32 v10, v10
	s_delay_alu instid0(VALU_DEP_3) | instskip(NEXT) | instid1(VALU_DEP_2)
	v_rsq_f32_e32 v14, v14
	v_cvt_f32_f16_e32 v15, v15
	s_waitcnt_depctr 0xfff
	v_mul_f32_e32 v20, 0x45800000, v14
	s_delay_alu instid0(VALU_DEP_1) | instskip(SKIP_2) | instid1(VALU_DEP_3)
	v_cndmask_b32_e32 v14, v14, v20, vcc_lo
	v_cvt_f32_f16_e32 v20, v22
	v_cmp_gt_i32_e32 vcc_lo, s0, v13
	v_mul_f32_e32 v11, v14, v11
	v_mul_f32_e32 v17, v14, v17
	;; [unrolled: 1-line block ×3, first 2 shown]
	s_delay_alu instid0(VALU_DEP_3) | instskip(NEXT) | instid1(VALU_DEP_3)
	v_dual_mul_f32 v16, v14, v16 :: v_dual_mul_f32 v11, v11, v21
	v_dual_mul_f32 v10, v14, v10 :: v_dual_mul_f32 v7, v17, v7
	s_delay_alu instid0(VALU_DEP_3) | instskip(SKIP_2) | instid1(VALU_DEP_2)
	v_dual_mul_f32 v15, v14, v15 :: v_dual_mul_f32 v12, v12, v8
	v_mul_f32_e32 v9, v14, v9
	v_mul_f32_e32 v14, v14, v18
	v_dual_mul_f32 v6, v15, v6 :: v_dual_mul_f32 v9, v9, v5
	v_mul_f32_e32 v5, v16, v3
	v_mul_f32_e32 v10, v10, v19
	s_delay_alu instid0(VALU_DEP_4)
	v_mul_f32_e32 v8, v14, v20
	s_and_saveexec_b32 s0, vcc_lo
	s_cbranch_execz .LBB4_3
; %bb.2:
	v_ashrrev_i32_e32 v3, 31, v2
	s_delay_alu instid0(VALU_DEP_1) | instskip(NEXT) | instid1(VALU_DEP_1)
	v_lshlrev_b64 v[2:3], 3, v[2:3]
	v_add_co_u32 v2, vcc_lo, s6, v2
	s_delay_alu instid0(VALU_DEP_2)
	v_add_co_ci_u32_e32 v3, vcc_lo, s7, v3, vcc_lo
	global_load_b64 v[2:3], v[2:3], off
	s_waitcnt vmcnt(0)
	v_mul_lo_u32 v3, v3, s13
	v_mul_lo_u32 v15, v2, s1
	v_mad_u64_u32 v[13:14], null, v2, s13, 0
	s_lshr_b32 s1, s13, 31
	s_delay_alu instid0(SALU_CYCLE_1) | instskip(NEXT) | instid1(SALU_CYCLE_1)
	s_add_i32 s1, s13, s1
	s_ashr_i32 s2, s1, 1
	s_delay_alu instid0(VALU_DEP_1) | instskip(SKIP_1) | instid1(SALU_CYCLE_1)
	v_add3_u32 v14, v14, v15, v3
	s_ashr_i32 s3, s2, 31
	s_lshl_b64 s[2:3], s[2:3], 2
	s_delay_alu instid0(VALU_DEP_1) | instskip(NEXT) | instid1(VALU_DEP_1)
	v_lshlrev_b64 v[2:3], 2, v[13:14]
	v_add_co_u32 v2, vcc_lo, s4, v2
	s_delay_alu instid0(VALU_DEP_2) | instskip(NEXT) | instid1(VALU_DEP_2)
	v_add_co_ci_u32_e32 v3, vcc_lo, s5, v3, vcc_lo
	v_add_co_u32 v2, vcc_lo, v2, v4
	s_delay_alu instid0(VALU_DEP_2) | instskip(NEXT) | instid1(VALU_DEP_2)
	v_add_co_ci_u32_e32 v3, vcc_lo, 0, v3, vcc_lo
	v_add_co_u32 v13, vcc_lo, v2, s2
	s_delay_alu instid0(VALU_DEP_2)
	v_add_co_ci_u32_e32 v14, vcc_lo, s3, v3, vcc_lo
	s_clause 0x1
	global_load_b128 v[13:16], v[13:14], off
	global_load_b128 v[17:20], v[2:3], off
	s_waitcnt vmcnt(1)
	v_mul_f32_e32 v2, v5, v13
	v_dual_mul_f32 v3, v9, v13 :: v_dual_mul_f32 v4, v6, v14
	v_dual_mul_f32 v13, v10, v14 :: v_dual_mul_f32 v14, v7, v15
	v_mul_f32_e32 v21, v8, v16
	v_dual_mul_f32 v15, v11, v15 :: v_dual_mul_f32 v16, v12, v16
	s_waitcnt vmcnt(0)
	v_fmac_f32_e32 v3, v5, v17
	v_fma_f32 v9, v9, v17, -v2
	v_fma_f32 v10, v10, v18, -v4
	v_fma_f32 v11, v11, v19, -v14
	v_dual_fmac_f32 v16, v8, v20 :: v_dual_fmac_f32 v13, v6, v18
	v_fma_f32 v12, v12, v20, -v21
	s_delay_alu instid0(VALU_DEP_2) | instskip(NEXT) | instid1(VALU_DEP_3)
	v_dual_mov_b32 v5, v3 :: v_dual_mov_b32 v8, v16
	v_dual_fmac_f32 v15, v7, v19 :: v_dual_mov_b32 v6, v13
	s_delay_alu instid0(VALU_DEP_1)
	v_mov_b32_e32 v7, v15
.LBB4_3:
	s_or_b32 exec_lo, exec_lo, s0
	v_cvt_f16_f32_e32 v2, v9
	v_cvt_f16_f32_e32 v3, v10
	;; [unrolled: 1-line block ×8, first 2 shown]
	s_delay_alu instid0(VALU_DEP_4) | instskip(NEXT) | instid1(VALU_DEP_4)
	v_pack_b32_f16 v5, v9, v8
	v_pack_b32_f16 v4, v4, v7
	s_delay_alu instid0(VALU_DEP_4) | instskip(NEXT) | instid1(VALU_DEP_4)
	v_pack_b32_f16 v3, v3, v6
	v_pack_b32_f16 v2, v2, v10
	global_store_b128 v[0:1], v[2:5], off
.LBB4_4:
	s_nop 0
	s_sendmsg sendmsg(MSG_DEALLOC_VGPRS)
	s_endpgm
	.section	.rodata,"a",@progbits
	.p2align	6, 0x0
	.amdhsa_kernel _ZN12tensorrt_llm7kernels21fusedQKNormRopeKernelIN3c104HalfEfLi256ELb1EEEvPviiifPKvS6_S6_PKlii
		.amdhsa_group_segment_fixed_size 0
		.amdhsa_private_segment_fixed_size 0
		.amdhsa_kernarg_size 320
		.amdhsa_user_sgpr_count 15
		.amdhsa_user_sgpr_dispatch_ptr 0
		.amdhsa_user_sgpr_queue_ptr 0
		.amdhsa_user_sgpr_kernarg_segment_ptr 1
		.amdhsa_user_sgpr_dispatch_id 0
		.amdhsa_user_sgpr_private_segment_size 0
		.amdhsa_wavefront_size32 1
		.amdhsa_uses_dynamic_stack 0
		.amdhsa_enable_private_segment 0
		.amdhsa_system_sgpr_workgroup_id_x 1
		.amdhsa_system_sgpr_workgroup_id_y 0
		.amdhsa_system_sgpr_workgroup_id_z 0
		.amdhsa_system_sgpr_workgroup_info 0
		.amdhsa_system_vgpr_workitem_id 0
		.amdhsa_next_free_vgpr 23
		.amdhsa_next_free_sgpr 16
		.amdhsa_reserve_vcc 1
		.amdhsa_float_round_mode_32 0
		.amdhsa_float_round_mode_16_64 0
		.amdhsa_float_denorm_mode_32 3
		.amdhsa_float_denorm_mode_16_64 3
		.amdhsa_dx10_clamp 1
		.amdhsa_ieee_mode 1
		.amdhsa_fp16_overflow 0
		.amdhsa_workgroup_processor_mode 1
		.amdhsa_memory_ordered 1
		.amdhsa_forward_progress 0
		.amdhsa_shared_vgpr_count 0
		.amdhsa_exception_fp_ieee_invalid_op 0
		.amdhsa_exception_fp_denorm_src 0
		.amdhsa_exception_fp_ieee_div_zero 0
		.amdhsa_exception_fp_ieee_overflow 0
		.amdhsa_exception_fp_ieee_underflow 0
		.amdhsa_exception_fp_ieee_inexact 0
		.amdhsa_exception_int_div_zero 0
	.end_amdhsa_kernel
	.section	.text._ZN12tensorrt_llm7kernels21fusedQKNormRopeKernelIN3c104HalfEfLi256ELb1EEEvPviiifPKvS6_S6_PKlii,"axG",@progbits,_ZN12tensorrt_llm7kernels21fusedQKNormRopeKernelIN3c104HalfEfLi256ELb1EEEvPviiifPKvS6_S6_PKlii,comdat
.Lfunc_end4:
	.size	_ZN12tensorrt_llm7kernels21fusedQKNormRopeKernelIN3c104HalfEfLi256ELb1EEEvPviiifPKvS6_S6_PKlii, .Lfunc_end4-_ZN12tensorrt_llm7kernels21fusedQKNormRopeKernelIN3c104HalfEfLi256ELb1EEEvPviiifPKvS6_S6_PKlii
                                        ; -- End function
	.section	.AMDGPU.csdata,"",@progbits
; Kernel info:
; codeLenInByte = 1380
; NumSgprs: 18
; NumVgprs: 23
; ScratchSize: 0
; MemoryBound: 0
; FloatMode: 240
; IeeeMode: 1
; LDSByteSize: 0 bytes/workgroup (compile time only)
; SGPRBlocks: 2
; VGPRBlocks: 2
; NumSGPRsForWavesPerEU: 18
; NumVGPRsForWavesPerEU: 23
; Occupancy: 16
; WaveLimiterHint : 1
; COMPUTE_PGM_RSRC2:SCRATCH_EN: 0
; COMPUTE_PGM_RSRC2:USER_SGPR: 15
; COMPUTE_PGM_RSRC2:TRAP_HANDLER: 0
; COMPUTE_PGM_RSRC2:TGID_X_EN: 1
; COMPUTE_PGM_RSRC2:TGID_Y_EN: 0
; COMPUTE_PGM_RSRC2:TGID_Z_EN: 0
; COMPUTE_PGM_RSRC2:TIDIG_COMP_CNT: 0
	.section	.text._ZN12tensorrt_llm7kernels21fusedQKNormRopeKernelIN3c104HalfEfLi256ELb0EEEvPviiifPKvS6_S6_PKlii,"axG",@progbits,_ZN12tensorrt_llm7kernels21fusedQKNormRopeKernelIN3c104HalfEfLi256ELb0EEEvPviiifPKvS6_S6_PKlii,comdat
	.protected	_ZN12tensorrt_llm7kernels21fusedQKNormRopeKernelIN3c104HalfEfLi256ELb0EEEvPviiifPKvS6_S6_PKlii ; -- Begin function _ZN12tensorrt_llm7kernels21fusedQKNormRopeKernelIN3c104HalfEfLi256ELb0EEEvPviiifPKvS6_S6_PKlii
	.globl	_ZN12tensorrt_llm7kernels21fusedQKNormRopeKernelIN3c104HalfEfLi256ELb0EEEvPviiifPKvS6_S6_PKlii
	.p2align	8
	.type	_ZN12tensorrt_llm7kernels21fusedQKNormRopeKernelIN3c104HalfEfLi256ELb0EEEvPviiifPKvS6_S6_PKlii,@function
_ZN12tensorrt_llm7kernels21fusedQKNormRopeKernelIN3c104HalfEfLi256ELb0EEEvPviiifPKvS6_S6_PKlii: ; @_ZN12tensorrt_llm7kernels21fusedQKNormRopeKernelIN3c104HalfEfLi256ELb0EEEvPviiifPKvS6_S6_PKlii
; %bb.0:
	s_clause 0x2
	s_load_b128 s[8:11], s[0:1], 0x8
	s_load_b64 s[12:13], s[0:1], 0x38
	s_load_b32 s4, s[0:1], 0x4c
	v_lshrrev_b32_e32 v3, 5, v0
	s_waitcnt lgkmcnt(0)
	s_add_i32 s2, s9, s8
	s_bfe_u32 s4, s4, 0xb0005
	s_abs_i32 s3, s2
	s_delay_alu instid0(SALU_CYCLE_1) | instskip(SKIP_1) | instid1(VALU_DEP_1)
	v_cvt_f32_u32_e32 v1, s3
	s_sub_i32 s5, 0, s3
	v_rcp_iflag_f32_e32 v1, v1
	s_waitcnt_depctr 0xfff
	v_mul_f32_e32 v1, 0x4f7ffffe, v1
	s_delay_alu instid0(VALU_DEP_1) | instskip(NEXT) | instid1(VALU_DEP_1)
	v_cvt_u32_f32_e32 v4, v1
	v_mul_lo_u32 v5, s5, v4
	v_mad_u64_u32 v[1:2], null, s15, s4, v[3:4]
	s_delay_alu instid0(VALU_DEP_2) | instskip(NEXT) | instid1(VALU_DEP_2)
	v_mul_hi_u32 v2, v4, v5
	v_sub_nc_u32_e32 v3, 0, v1
	s_delay_alu instid0(VALU_DEP_1) | instskip(NEXT) | instid1(VALU_DEP_3)
	v_max_i32_e32 v3, v1, v3
	v_add_nc_u32_e32 v2, v4, v2
	s_delay_alu instid0(VALU_DEP_1) | instskip(NEXT) | instid1(VALU_DEP_1)
	v_mul_hi_u32 v2, v3, v2
	v_mul_lo_u32 v4, v2, s3
	s_delay_alu instid0(VALU_DEP_1) | instskip(NEXT) | instid1(VALU_DEP_1)
	v_sub_nc_u32_e32 v3, v3, v4
	v_subrev_nc_u32_e32 v5, s3, v3
	v_cmp_le_u32_e32 vcc_lo, s3, v3
	s_delay_alu instid0(VALU_DEP_2) | instskip(NEXT) | instid1(VALU_DEP_1)
	v_dual_cndmask_b32 v3, v3, v5 :: v_dual_add_nc_u32 v4, 1, v2
	v_cndmask_b32_e32 v2, v2, v4, vcc_lo
	v_xor_b32_e32 v4, s2, v1
	s_delay_alu instid0(VALU_DEP_3) | instskip(NEXT) | instid1(VALU_DEP_3)
	v_cmp_le_u32_e32 vcc_lo, s3, v3
	v_add_nc_u32_e32 v5, 1, v2
	s_delay_alu instid0(VALU_DEP_3) | instskip(SKIP_1) | instid1(VALU_DEP_2)
	v_ashrrev_i32_e32 v4, 31, v4
	s_mov_b32 s3, exec_lo
	v_cndmask_b32_e32 v2, v2, v5, vcc_lo
	s_delay_alu instid0(VALU_DEP_1) | instskip(NEXT) | instid1(VALU_DEP_1)
	v_xor_b32_e32 v2, v2, v4
	v_sub_nc_u32_e32 v2, v2, v4
	s_delay_alu instid0(VALU_DEP_1)
	v_cmpx_gt_i32_e64 s12, v2
	s_cbranch_execz .LBB5_4
; %bb.1:
	v_mul_lo_u32 v3, v2, s2
	s_add_i32 s2, s2, s10
	v_and_b32_e32 v4, 31, v0
	v_mul_lo_u32 v5, v2, s2
	s_load_b64 s[2:3], s[0:1], 0x0
	s_delay_alu instid0(VALU_DEP_3) | instskip(NEXT) | instid1(VALU_DEP_1)
	v_sub_nc_u32_e32 v1, v1, v3
	v_cmp_gt_i32_e32 vcc_lo, s8, v1
	v_cndmask_b32_e64 v3, s8, 0, vcc_lo
	s_delay_alu instid0(VALU_DEP_1) | instskip(SKIP_1) | instid1(VALU_DEP_2)
	v_sub_nc_u32_e32 v0, v1, v3
	v_lshlrev_b32_e32 v1, 3, v4
	v_add3_u32 v0, v5, v3, v0
	s_delay_alu instid0(VALU_DEP_1) | instskip(NEXT) | instid1(VALU_DEP_1)
	v_lshl_or_b32 v0, v0, 8, v1
	v_ashrrev_i32_e32 v1, 31, v0
	s_delay_alu instid0(VALU_DEP_1) | instskip(SKIP_1) | instid1(VALU_DEP_1)
	v_lshlrev_b64 v[0:1], 1, v[0:1]
	s_waitcnt lgkmcnt(0)
	v_add_co_u32 v0, s2, s2, v0
	s_delay_alu instid0(VALU_DEP_1)
	v_add_co_ci_u32_e64 v1, s2, s3, v1, s2
	s_load_b256 s[0:7], s[0:1], 0x18
	global_load_b128 v[6:9], v[0:1], off
	s_waitcnt lgkmcnt(0)
	v_mov_b32_e32 v3, s0
	v_dual_mov_b32 v5, s1 :: v_dual_lshlrev_b32 v14, 4, v4
	s_delay_alu instid0(VALU_DEP_2) | instskip(NEXT) | instid1(VALU_DEP_2)
	v_cndmask_b32_e32 v3, s2, v3, vcc_lo
	v_cndmask_b32_e32 v5, s3, v5, vcc_lo
	s_ashr_i32 s2, s13, 31
	s_mov_b32 s3, exec_lo
	s_lshr_b32 s0, s2, 29
	v_add_co_u32 v10, vcc_lo, v3, v14
	v_add_co_ci_u32_e32 v11, vcc_lo, 0, v5, vcc_lo
	s_add_i32 s0, s13, s0
	s_delay_alu instid0(SALU_CYCLE_1)
	s_ashr_i32 s0, s0, 3
	global_load_b128 v[10:13], v[10:11], off
	s_waitcnt vmcnt(1)
	v_lshrrev_b32_e32 v3, 16, v6
	v_cvt_f32_f16_e32 v22, v8
	v_cvt_f32_f16_e32 v20, v7
	v_lshrrev_b32_e32 v23, 16, v9
	s_delay_alu instid0(VALU_DEP_4) | instskip(NEXT) | instid1(VALU_DEP_1)
	v_cvt_f32_f16_e32 v3, v3
	v_mul_f32_e32 v5, v3, v3
	s_delay_alu instid0(VALU_DEP_1) | instskip(SKIP_1) | instid1(VALU_DEP_2)
	v_fma_mix_f32 v5, v6, v6, v5 op_sel_hi:[1,1,0]
	v_cvt_f32_f16_e32 v6, v6
	v_fma_mix_f32 v5, v7, v7, v5 op_sel_hi:[1,1,0]
	s_delay_alu instid0(VALU_DEP_1) | instskip(SKIP_2) | instid1(VALU_DEP_3)
	v_fma_mix_f32 v15, v7, v7, v5 op_sel:[1,1,0] op_sel_hi:[1,1,0]
	v_mbcnt_lo_u32_b32 v5, -1, 0
	v_lshrrev_b32_e32 v7, 16, v7
	v_fma_mix_f32 v15, v8, v8, v15 op_sel_hi:[1,1,0]
	s_delay_alu instid0(VALU_DEP_3) | instskip(SKIP_1) | instid1(VALU_DEP_4)
	v_xor_b32_e32 v16, 16, v5
	v_xor_b32_e32 v17, 8, v5
	v_cvt_f32_f16_e32 v7, v7
	s_waitcnt vmcnt(0)
	v_lshrrev_b32_e32 v18, 16, v12
	v_fma_mix_f32 v15, v8, v8, v15 op_sel:[1,1,0] op_sel_hi:[1,1,0]
	v_cmp_gt_i32_e32 vcc_lo, 32, v16
	v_cvt_f32_f16_e32 v12, v12
	v_lshrrev_b32_e32 v8, 16, v8
	v_cvt_f32_f16_e32 v18, v18
	v_fma_mix_f32 v15, v9, v9, v15 op_sel_hi:[1,1,0]
	v_cndmask_b32_e32 v16, v5, v16, vcc_lo
	v_cmp_gt_i32_e32 vcc_lo, 32, v17
	v_cvt_f32_f16_e32 v8, v8
	v_lshrrev_b32_e32 v19, 16, v13
	v_fma_mix_f32 v15, v9, v9, v15 op_sel:[1,1,0] op_sel_hi:[1,1,0]
	v_cvt_f32_f16_e32 v13, v13
	v_cndmask_b32_e32 v17, v5, v17, vcc_lo
	v_cvt_f32_f16_e32 v9, v9
	v_cvt_f32_f16_e32 v19, v19
	s_delay_alu instid0(VALU_DEP_3)
	v_lshlrev_b32_e32 v17, 2, v17
	v_lshlrev_b32_e32 v16, 2, v16
	ds_bpermute_b32 v16, v16, v15
	s_waitcnt lgkmcnt(0)
	v_add_f32_e32 v15, v15, v16
	ds_bpermute_b32 v16, v17, v15
	v_xor_b32_e32 v17, 4, v5
	s_delay_alu instid0(VALU_DEP_1) | instskip(SKIP_1) | instid1(VALU_DEP_1)
	v_cmp_gt_i32_e32 vcc_lo, 32, v17
	v_cndmask_b32_e32 v17, v5, v17, vcc_lo
	v_lshlrev_b32_e32 v17, 2, v17
	s_waitcnt lgkmcnt(0)
	v_add_f32_e32 v15, v15, v16
	ds_bpermute_b32 v16, v17, v15
	v_xor_b32_e32 v17, 2, v5
	s_delay_alu instid0(VALU_DEP_1) | instskip(SKIP_1) | instid1(VALU_DEP_1)
	v_cmp_gt_i32_e32 vcc_lo, 32, v17
	v_cndmask_b32_e32 v17, v5, v17, vcc_lo
	v_lshlrev_b32_e32 v17, 2, v17
	;; [unrolled: 8-line block ×3, first 2 shown]
	s_waitcnt lgkmcnt(0)
	v_add_f32_e32 v15, v15, v16
	ds_bpermute_b32 v16, v17, v15
	v_mov_b32_e32 v17, s11
	s_waitcnt lgkmcnt(0)
	v_add_f32_e32 v15, v15, v16
	s_delay_alu instid0(VALU_DEP_1) | instskip(SKIP_2) | instid1(VALU_DEP_3)
	v_fmamk_f32 v15, v15, 0x3b800000, v17
	v_lshrrev_b32_e32 v17, 16, v10
	v_cvt_f32_f16_e32 v10, v10
	v_mul_f32_e32 v16, 0x4b800000, v15
	v_cmp_gt_f32_e32 vcc_lo, 0x800000, v15
	s_delay_alu instid0(VALU_DEP_4) | instskip(NEXT) | instid1(VALU_DEP_3)
	v_cvt_f32_f16_e32 v17, v17
	v_cndmask_b32_e32 v15, v15, v16, vcc_lo
	v_lshrrev_b32_e32 v16, 16, v11
	v_cvt_f32_f16_e32 v11, v11
	s_delay_alu instid0(VALU_DEP_3) | instskip(NEXT) | instid1(VALU_DEP_2)
	v_rsq_f32_e32 v15, v15
	v_cvt_f32_f16_e32 v16, v16
	s_waitcnt_depctr 0xfff
	v_mul_f32_e32 v21, 0x45800000, v15
	s_delay_alu instid0(VALU_DEP_1) | instskip(SKIP_1) | instid1(VALU_DEP_2)
	v_cndmask_b32_e32 v15, v15, v21, vcc_lo
	v_cvt_f32_f16_e32 v21, v23
	v_mul_f32_e32 v10, v15, v10
	v_mul_f32_e32 v17, v15, v17
	;; [unrolled: 1-line block ×7, first 2 shown]
	v_dual_mul_f32 v15, v15, v19 :: v_dual_mul_f32 v10, v10, v6
	v_mul_f32_e32 v6, v17, v3
	s_delay_alu instid0(VALU_DEP_4)
	v_mul_f32_e32 v8, v18, v8
	v_mul_f32_e32 v11, v11, v20
	v_mul_f32_e32 v7, v16, v7
	v_dual_mul_f32 v12, v12, v22 :: v_dual_mul_f32 v13, v13, v9
	v_mul_f32_e32 v9, v15, v21
	v_cmpx_gt_i32_e64 s0, v4
	s_cbranch_execz .LBB5_3
; %bb.2:
	v_ashrrev_i32_e32 v3, 31, v2
	v_or_b32_e32 v18, 2, v14
	v_or_b32_e32 v19, 4, v14
	;; [unrolled: 1-line block ×4, first 2 shown]
	v_lshlrev_b64 v[2:3], 3, v[2:3]
	v_or_b32_e32 v22, 10, v14
	v_or_b32_e32 v23, 14, v14
	s_delay_alu instid0(VALU_DEP_3) | instskip(NEXT) | instid1(VALU_DEP_4)
	v_add_co_u32 v2, vcc_lo, s6, v2
	v_add_co_ci_u32_e32 v3, vcc_lo, s7, v3, vcc_lo
	s_abs_i32 s6, s13
	s_delay_alu instid0(SALU_CYCLE_1)
	v_cvt_f32_u32_e32 v15, s6
	global_load_b64 v[2:3], v[2:3], off
	s_sub_i32 s0, 0, s6
	; wave barrier
	v_rcp_iflag_f32_e32 v15, v15
	s_waitcnt_depctr 0xfff
	v_mul_f32_e32 v15, 0x4f7ffffe, v15
	s_delay_alu instid0(VALU_DEP_1) | instskip(NEXT) | instid1(VALU_DEP_1)
	v_cvt_u32_f32_e32 v16, v15
	v_mul_lo_u32 v15, s0, v16
	s_lshr_b32 s0, s13, 31
	s_delay_alu instid0(SALU_CYCLE_1) | instskip(NEXT) | instid1(SALU_CYCLE_1)
	s_add_i32 s0, s13, s0
	s_ashr_i32 s0, s0, 1
	s_delay_alu instid0(SALU_CYCLE_1) | instskip(NEXT) | instid1(VALU_DEP_1)
	s_ashr_i32 s1, s0, 31
	v_mul_hi_u32 v17, v16, v15
	s_lshl_b64 s[0:1], s[0:1], 2
	s_delay_alu instid0(VALU_DEP_1) | instskip(SKIP_1) | instid1(VALU_DEP_2)
	v_add_nc_u32_e32 v16, v16, v17
	v_or_b32_e32 v17, 12, v14
	v_mul_hi_u32 v24, v14, v16
	v_mul_hi_u32 v25, v18, v16
	v_mul_hi_u32 v26, v19, v16
	v_mul_hi_u32 v27, v20, v16
	v_mul_hi_u32 v28, v21, v16
	v_mul_hi_u32 v29, v22, v16
	v_mul_hi_u32 v30, v17, v16
	v_mul_hi_u32 v16, v23, v16
	v_mul_lo_u32 v24, v24, s6
	v_mul_lo_u32 v25, v25, s6
	;; [unrolled: 1-line block ×8, first 2 shown]
	v_sub_nc_u32_e32 v14, v14, v24
	v_sub_nc_u32_e32 v18, v18, v25
	;; [unrolled: 1-line block ×5, first 2 shown]
	v_cmp_le_u32_e32 vcc_lo, s6, v14
	v_sub_nc_u32_e32 v24, v17, v30
	v_sub_nc_u32_e32 v26, v23, v16
	v_subrev_nc_u32_e32 v16, s6, v14
	v_mov_b32_e32 v15, 0
	v_subrev_nc_u32_e32 v17, s6, v18
	v_subrev_nc_u32_e32 v23, s6, v19
	;; [unrolled: 1-line block ×3, first 2 shown]
	v_cndmask_b32_e32 v14, v14, v16, vcc_lo
	v_cmp_le_u32_e32 vcc_lo, s6, v18
	v_subrev_nc_u32_e32 v25, s6, v20
	v_sub_nc_u32_e32 v22, v22, v29
	v_subrev_nc_u32_e32 v29, s6, v24
	v_subrev_nc_u32_e32 v30, s6, v26
	v_cndmask_b32_e32 v16, v18, v17, vcc_lo
	v_cmp_le_u32_e32 vcc_lo, s6, v19
	v_subrev_nc_u32_e32 v17, s6, v14
	v_subrev_nc_u32_e32 v28, s6, v22
	v_cndmask_b32_e32 v18, v19, v23, vcc_lo
	v_cmp_le_u32_e32 vcc_lo, s6, v20
	v_cndmask_b32_e32 v19, v20, v25, vcc_lo
	v_cmp_le_u32_e32 vcc_lo, s6, v14
	s_delay_alu instid0(VALU_DEP_4) | instskip(NEXT) | instid1(VALU_DEP_3)
	v_subrev_nc_u32_e32 v20, s6, v18
	v_subrev_nc_u32_e32 v25, s6, v19
	v_cndmask_b32_e32 v14, v14, v17, vcc_lo
	v_cmp_le_u32_e32 vcc_lo, s6, v21
	s_delay_alu instid0(VALU_DEP_2) | instskip(SKIP_3) | instid1(VALU_DEP_2)
	v_lshrrev_b32_e32 v14, 1, v14
	v_cndmask_b32_e32 v23, v21, v27, vcc_lo
	v_subrev_nc_u32_e32 v17, s6, v16
	v_cmp_le_u32_e32 vcc_lo, s6, v16
	v_cndmask_b32_e32 v21, v16, v17, vcc_lo
	v_cmp_le_u32_e32 vcc_lo, s6, v18
	v_lshlrev_b64 v[16:17], 2, v[14:15]
	v_cndmask_b32_e32 v20, v18, v20, vcc_lo
	v_cmp_le_u32_e32 vcc_lo, s6, v22
	v_lshrrev_b32_e32 v14, 1, v21
	v_cndmask_b32_e32 v22, v22, v28, vcc_lo
	v_cmp_le_u32_e32 vcc_lo, s6, v19
	v_cndmask_b32_e32 v25, v19, v25, vcc_lo
	v_cmp_le_u32_e32 vcc_lo, s6, v24
	v_lshlrev_b64 v[18:19], 2, v[14:15]
	v_lshrrev_b32_e32 v14, 1, v20
	v_subrev_nc_u32_e32 v28, s6, v22
	v_cndmask_b32_e32 v27, v24, v29, vcc_lo
	v_subrev_nc_u32_e32 v24, s6, v23
	v_cmp_le_u32_e32 vcc_lo, s6, v23
	v_lshlrev_b64 v[20:21], 2, v[14:15]
	v_lshrrev_b32_e32 v14, 1, v25
	s_delay_alu instid0(VALU_DEP_4)
	v_cndmask_b32_e32 v24, v23, v24, vcc_lo
	v_cmp_le_u32_e32 vcc_lo, s6, v22
	v_subrev_nc_u32_e32 v29, s6, v27
	v_cndmask_b32_e32 v28, v22, v28, vcc_lo
	v_lshlrev_b64 v[22:23], 2, v[14:15]
	v_lshrrev_b32_e32 v14, 1, v24
	v_cmp_le_u32_e32 vcc_lo, s6, v26
	v_cndmask_b32_e32 v30, v26, v30, vcc_lo
	v_cmp_le_u32_e32 vcc_lo, s6, v27
	s_waitcnt vmcnt(0)
	v_mul_lo_u32 v31, v3, s13
	v_mul_lo_u32 v32, v2, s2
	v_mad_u64_u32 v[24:25], null, v2, s13, 0
	v_lshlrev_b64 v[2:3], 2, v[14:15]
	v_lshrrev_b32_e32 v14, 1, v28
	v_cndmask_b32_e32 v28, v27, v29, vcc_lo
	v_subrev_nc_u32_e32 v29, s6, v30
	v_cmp_le_u32_e32 vcc_lo, s6, v30
	v_add3_u32 v25, v25, v32, v31
	v_lshlrev_b64 v[26:27], 2, v[14:15]
	v_lshrrev_b32_e32 v14, 1, v28
	v_cndmask_b32_e32 v30, v30, v29, vcc_lo
	s_delay_alu instid0(VALU_DEP_4) | instskip(NEXT) | instid1(VALU_DEP_3)
	v_lshlrev_b64 v[24:25], 2, v[24:25]
	v_lshlrev_b64 v[28:29], 2, v[14:15]
	s_delay_alu instid0(VALU_DEP_3) | instskip(NEXT) | instid1(VALU_DEP_3)
	v_lshrrev_b32_e32 v14, 1, v30
	v_add_co_u32 v44, vcc_lo, s4, v24
	s_delay_alu instid0(VALU_DEP_4) | instskip(NEXT) | instid1(VALU_DEP_3)
	v_add_co_ci_u32_e32 v45, vcc_lo, s5, v25, vcc_lo
	v_lshlrev_b64 v[14:15], 2, v[14:15]
	s_delay_alu instid0(VALU_DEP_3) | instskip(NEXT) | instid1(VALU_DEP_3)
	v_add_co_u32 v42, vcc_lo, v44, s0
	v_add_co_ci_u32_e32 v43, vcc_lo, s1, v45, vcc_lo
	v_add_co_u32 v24, vcc_lo, v44, v16
	v_add_co_ci_u32_e32 v25, vcc_lo, v45, v17, vcc_lo
	;; [unrolled: 2-line block ×16, first 2 shown]
	s_clause 0xa
	global_load_b32 v24, v[24:25], off
	global_load_b32 v16, v[16:17], off
	;; [unrolled: 1-line block ×11, first 2 shown]
	v_add_co_u32 v2, vcc_lo, v44, v14
	v_add_co_ci_u32_e32 v3, vcc_lo, v45, v15, vcc_lo
	s_clause 0x4
	global_load_b32 v14, v[34:35], off
	global_load_b32 v15, v[36:37], off
	;; [unrolled: 1-line block ×5, first 2 shown]
	s_lshr_b32 s0, s2, 28
	s_delay_alu instid0(SALU_CYCLE_1) | instskip(NEXT) | instid1(SALU_CYCLE_1)
	s_add_i32 s0, s13, s0
	; wave barrier
	s_ashr_i32 s0, s0, 4
	s_delay_alu instid0(SALU_CYCLE_1) | instskip(NEXT) | instid1(VALU_DEP_1)
	v_xor_b32_e32 v3, s0, v5
	v_cmp_gt_i32_e32 vcc_lo, 32, v3
	v_cndmask_b32_e32 v3, v5, v3, vcc_lo
	v_cmp_gt_i32_e32 vcc_lo, s0, v4
	s_delay_alu instid0(VALU_DEP_2)
	v_lshlrev_b32_e32 v3, 2, v3
	ds_bpermute_b32 v5, v3, v10
	ds_bpermute_b32 v29, v3, v6
	;; [unrolled: 1-line block ×8, first 2 shown]
	s_waitcnt lgkmcnt(7)
	v_cndmask_b32_e64 v4, v5, -v5, vcc_lo
	s_waitcnt lgkmcnt(6)
	v_cndmask_b32_e64 v5, v29, -v29, vcc_lo
	;; [unrolled: 2-line block ×8, first 2 shown]
	s_waitcnt vmcnt(12)
	v_dual_mul_f32 v5, v5, v18 :: v_dual_mul_f32 v4, v4, v16
	s_delay_alu instid0(VALU_DEP_1) | instskip(SKIP_3) | instid1(VALU_DEP_3)
	v_fmac_f32_e32 v5, v6, v17
	s_waitcnt vmcnt(5)
	v_dual_mul_f32 v3, v3, v26 :: v_dual_mul_f32 v18, v30, v21
	v_dual_mul_f32 v21, v32, v23 :: v_dual_mul_f32 v16, v29, v20
	v_mov_b32_e32 v6, v5
	s_waitcnt vmcnt(0)
	s_delay_alu instid0(VALU_DEP_3) | instskip(NEXT) | instid1(VALU_DEP_3)
	v_fmac_f32_e32 v3, v9, v2
	v_dual_fmac_f32 v18, v7, v14 :: v_dual_fmac_f32 v21, v8, v27
	v_fmac_f32_e32 v16, v11, v19
	v_mul_f32_e32 v20, v31, v22
	s_delay_alu instid0(VALU_DEP_3) | instskip(SKIP_2) | instid1(VALU_DEP_3)
	v_dual_mul_f32 v22, v33, v25 :: v_dual_mov_b32 v7, v18
	v_dual_fmac_f32 v4, v10, v24 :: v_dual_mov_b32 v9, v3
	v_mov_b32_e32 v8, v21
	v_fmac_f32_e32 v22, v13, v28
	s_delay_alu instid0(VALU_DEP_1) | instskip(SKIP_2) | instid1(VALU_DEP_1)
	v_dual_mov_b32 v10, v4 :: v_dual_mov_b32 v13, v22
	v_mov_b32_e32 v11, v16
	v_fmac_f32_e32 v20, v12, v15
	v_mov_b32_e32 v12, v20
.LBB5_3:
	s_or_b32 exec_lo, exec_lo, s3
	v_cvt_f16_f32_e32 v2, v10
	v_cvt_f16_f32_e32 v3, v11
	s_delay_alu instid0(VALU_DEP_3)
	v_cvt_f16_f32_e32 v4, v12
	v_cvt_f16_f32_e32 v5, v13
	;; [unrolled: 1-line block ×6, first 2 shown]
	s_delay_alu instid0(VALU_DEP_4) | instskip(NEXT) | instid1(VALU_DEP_4)
	v_pack_b32_f16 v5, v5, v9
	v_pack_b32_f16 v4, v4, v8
	s_delay_alu instid0(VALU_DEP_4) | instskip(NEXT) | instid1(VALU_DEP_4)
	v_pack_b32_f16 v3, v3, v7
	v_pack_b32_f16 v2, v2, v6
	global_store_b128 v[0:1], v[2:5], off
.LBB5_4:
	s_nop 0
	s_sendmsg sendmsg(MSG_DEALLOC_VGPRS)
	s_endpgm
	.section	.rodata,"a",@progbits
	.p2align	6, 0x0
	.amdhsa_kernel _ZN12tensorrt_llm7kernels21fusedQKNormRopeKernelIN3c104HalfEfLi256ELb0EEEvPviiifPKvS6_S6_PKlii
		.amdhsa_group_segment_fixed_size 0
		.amdhsa_private_segment_fixed_size 0
		.amdhsa_kernarg_size 320
		.amdhsa_user_sgpr_count 15
		.amdhsa_user_sgpr_dispatch_ptr 0
		.amdhsa_user_sgpr_queue_ptr 0
		.amdhsa_user_sgpr_kernarg_segment_ptr 1
		.amdhsa_user_sgpr_dispatch_id 0
		.amdhsa_user_sgpr_private_segment_size 0
		.amdhsa_wavefront_size32 1
		.amdhsa_uses_dynamic_stack 0
		.amdhsa_enable_private_segment 0
		.amdhsa_system_sgpr_workgroup_id_x 1
		.amdhsa_system_sgpr_workgroup_id_y 0
		.amdhsa_system_sgpr_workgroup_id_z 0
		.amdhsa_system_sgpr_workgroup_info 0
		.amdhsa_system_vgpr_workitem_id 0
		.amdhsa_next_free_vgpr 46
		.amdhsa_next_free_sgpr 16
		.amdhsa_reserve_vcc 1
		.amdhsa_float_round_mode_32 0
		.amdhsa_float_round_mode_16_64 0
		.amdhsa_float_denorm_mode_32 3
		.amdhsa_float_denorm_mode_16_64 3
		.amdhsa_dx10_clamp 1
		.amdhsa_ieee_mode 1
		.amdhsa_fp16_overflow 0
		.amdhsa_workgroup_processor_mode 1
		.amdhsa_memory_ordered 1
		.amdhsa_forward_progress 0
		.amdhsa_shared_vgpr_count 0
		.amdhsa_exception_fp_ieee_invalid_op 0
		.amdhsa_exception_fp_denorm_src 0
		.amdhsa_exception_fp_ieee_div_zero 0
		.amdhsa_exception_fp_ieee_overflow 0
		.amdhsa_exception_fp_ieee_underflow 0
		.amdhsa_exception_fp_ieee_inexact 0
		.amdhsa_exception_int_div_zero 0
	.end_amdhsa_kernel
	.section	.text._ZN12tensorrt_llm7kernels21fusedQKNormRopeKernelIN3c104HalfEfLi256ELb0EEEvPviiifPKvS6_S6_PKlii,"axG",@progbits,_ZN12tensorrt_llm7kernels21fusedQKNormRopeKernelIN3c104HalfEfLi256ELb0EEEvPviiifPKvS6_S6_PKlii,comdat
.Lfunc_end5:
	.size	_ZN12tensorrt_llm7kernels21fusedQKNormRopeKernelIN3c104HalfEfLi256ELb0EEEvPviiifPKvS6_S6_PKlii, .Lfunc_end5-_ZN12tensorrt_llm7kernels21fusedQKNormRopeKernelIN3c104HalfEfLi256ELb0EEEvPviiifPKvS6_S6_PKlii
                                        ; -- End function
	.section	.AMDGPU.csdata,"",@progbits
; Kernel info:
; codeLenInByte = 2428
; NumSgprs: 18
; NumVgprs: 46
; ScratchSize: 0
; MemoryBound: 0
; FloatMode: 240
; IeeeMode: 1
; LDSByteSize: 0 bytes/workgroup (compile time only)
; SGPRBlocks: 2
; VGPRBlocks: 5
; NumSGPRsForWavesPerEU: 18
; NumVGPRsForWavesPerEU: 46
; Occupancy: 16
; WaveLimiterHint : 1
; COMPUTE_PGM_RSRC2:SCRATCH_EN: 0
; COMPUTE_PGM_RSRC2:USER_SGPR: 15
; COMPUTE_PGM_RSRC2:TRAP_HANDLER: 0
; COMPUTE_PGM_RSRC2:TGID_X_EN: 1
; COMPUTE_PGM_RSRC2:TGID_Y_EN: 0
; COMPUTE_PGM_RSRC2:TGID_Z_EN: 0
; COMPUTE_PGM_RSRC2:TIDIG_COMP_CNT: 0
	.section	.text._ZN12tensorrt_llm7kernels32fusedQKNormRopeKernelNTokenHeadsIN3c104HalfEfLi64ELb1ELi2EEEvPviiifPKvS6_S6_PKlii,"axG",@progbits,_ZN12tensorrt_llm7kernels32fusedQKNormRopeKernelNTokenHeadsIN3c104HalfEfLi64ELb1ELi2EEEvPviiifPKvS6_S6_PKlii,comdat
	.protected	_ZN12tensorrt_llm7kernels32fusedQKNormRopeKernelNTokenHeadsIN3c104HalfEfLi64ELb1ELi2EEEvPviiifPKvS6_S6_PKlii ; -- Begin function _ZN12tensorrt_llm7kernels32fusedQKNormRopeKernelNTokenHeadsIN3c104HalfEfLi64ELb1ELi2EEEvPviiifPKvS6_S6_PKlii
	.globl	_ZN12tensorrt_llm7kernels32fusedQKNormRopeKernelNTokenHeadsIN3c104HalfEfLi64ELb1ELi2EEEvPviiifPKvS6_S6_PKlii
	.p2align	8
	.type	_ZN12tensorrt_llm7kernels32fusedQKNormRopeKernelNTokenHeadsIN3c104HalfEfLi64ELb1ELi2EEEvPviiifPKvS6_S6_PKlii,@function
_ZN12tensorrt_llm7kernels32fusedQKNormRopeKernelNTokenHeadsIN3c104HalfEfLi64ELb1ELi2EEEvPviiifPKvS6_S6_PKlii: ; @_ZN12tensorrt_llm7kernels32fusedQKNormRopeKernelNTokenHeadsIN3c104HalfEfLi64ELb1ELi2EEEvPviiifPKvS6_S6_PKlii
; %bb.0:
	s_clause 0x1
	s_load_b128 s[16:19], s[0:1], 0x8
	s_load_b64 s[2:3], s[0:1], 0x38
	v_lshrrev_b32_e32 v2, 5, v0
	s_waitcnt lgkmcnt(0)
	s_add_i32 s4, s17, s16
	s_delay_alu instid0(SALU_CYCLE_1) | instskip(NEXT) | instid1(SALU_CYCLE_1)
	s_add_i32 s5, s4, 1
	s_lshr_b32 s6, s5, 31
	s_delay_alu instid0(SALU_CYCLE_1) | instskip(NEXT) | instid1(SALU_CYCLE_1)
	s_add_i32 s5, s5, s6
	s_ashr_i32 s14, s5, 1
	s_load_b32 s5, s[0:1], 0x4c
	s_abs_i32 s6, s14
	s_delay_alu instid0(SALU_CYCLE_1) | instskip(SKIP_1) | instid1(VALU_DEP_1)
	v_cvt_f32_u32_e32 v1, s6
	s_sub_i32 s7, 0, s6
	v_rcp_iflag_f32_e32 v1, v1
	s_waitcnt_depctr 0xfff
	v_mul_f32_e32 v1, 0x4f7ffffe, v1
	s_waitcnt lgkmcnt(0)
	s_bfe_u32 s5, s5, 0xb0005
	s_delay_alu instid0(SALU_CYCLE_1) | instskip(NEXT) | instid1(VALU_DEP_2)
	v_mad_u64_u32 v[3:4], null, s15, s5, v[2:3]
	v_cvt_u32_f32_e32 v1, v1
	s_delay_alu instid0(VALU_DEP_1) | instskip(NEXT) | instid1(VALU_DEP_1)
	v_mul_lo_u32 v5, s7, v1
	v_mul_hi_u32 v4, v1, v5
	s_delay_alu instid0(VALU_DEP_4) | instskip(NEXT) | instid1(VALU_DEP_1)
	v_sub_nc_u32_e32 v5, 0, v3
	v_max_i32_e32 v5, v3, v5
	s_delay_alu instid0(VALU_DEP_3) | instskip(NEXT) | instid1(VALU_DEP_1)
	v_add_nc_u32_e32 v1, v1, v4
	v_mul_hi_u32 v1, v5, v1
	s_delay_alu instid0(VALU_DEP_1) | instskip(NEXT) | instid1(VALU_DEP_1)
	v_mul_lo_u32 v4, v1, s6
	v_sub_nc_u32_e32 v4, v5, v4
	v_add_nc_u32_e32 v5, 1, v1
	s_delay_alu instid0(VALU_DEP_2) | instskip(SKIP_1) | instid1(VALU_DEP_2)
	v_subrev_nc_u32_e32 v6, s6, v4
	v_cmp_le_u32_e32 vcc_lo, s6, v4
	v_dual_cndmask_b32 v4, v4, v6 :: v_dual_cndmask_b32 v1, v1, v5
	v_xor_b32_e32 v5, s14, v3
	s_delay_alu instid0(VALU_DEP_2) | instskip(NEXT) | instid1(VALU_DEP_3)
	v_cmp_le_u32_e32 vcc_lo, s6, v4
	v_add_nc_u32_e32 v6, 1, v1
	s_delay_alu instid0(VALU_DEP_3) | instskip(NEXT) | instid1(VALU_DEP_2)
	v_ashrrev_i32_e32 v5, 31, v5
	v_cndmask_b32_e32 v1, v1, v6, vcc_lo
	s_delay_alu instid0(VALU_DEP_1) | instskip(NEXT) | instid1(VALU_DEP_1)
	v_xor_b32_e32 v1, v1, v5
	v_sub_nc_u32_e32 v1, v1, v5
	s_delay_alu instid0(VALU_DEP_1)
	v_cmp_gt_i32_e32 vcc_lo, s2, v1
	s_and_saveexec_b32 s2, vcc_lo
	s_cbranch_execz .LBB6_12
; %bb.1:
	v_mul_lo_u32 v4, v1, s14
	s_load_b64 s[12:13], s[0:1], 0x0
	v_and_b32_e32 v0, 31, v0
	v_lshlrev_b32_e32 v9, 8, v2
	v_lshlrev_b32_e32 v8, 7, v3
	s_lshl_b32 s20, s3, 2
	s_delay_alu instid0(VALU_DEP_3) | instskip(SKIP_2) | instid1(VALU_DEP_1)
	v_lshlrev_b32_e32 v7, 2, v0
	v_sub_nc_u32_e32 v4, v3, v4
	s_mul_i32 s15, s20, s5
	v_lshlrev_b32_e32 v5, 1, v4
	s_delay_alu instid0(VALU_DEP_1) | instskip(SKIP_1) | instid1(VALU_DEP_2)
	v_add_nc_u32_e32 v4, 2, v5
	v_sub_nc_u32_e32 v6, s4, v5
	v_cmp_lt_i32_e32 vcc_lo, s4, v4
	s_delay_alu instid0(VALU_DEP_2) | instskip(NEXT) | instid1(VALU_DEP_1)
	v_cndmask_b32_e32 v6, 2, v6, vcc_lo
	v_cmp_lt_i32_e32 vcc_lo, 0, v6
	s_and_saveexec_b32 s4, vcc_lo
	s_cbranch_execz .LBB6_4
; %bb.2:
	s_add_i32 s2, s18, s17
	s_lshl_b32 s5, s14, 1
	s_add_i32 s2, s2, s16
	s_mov_b32 s6, 0
	s_sub_i32 s2, s2, s5
	s_mov_b32 s5, 0
	v_mul_lo_u32 v3, s2, v1
	s_add_i32 s2, s15, 0
	s_delay_alu instid0(SALU_CYCLE_1) | instskip(NEXT) | instid1(VALU_DEP_2)
	v_add3_u32 v10, s2, v9, v7
	v_lshl_add_u32 v3, v3, 6, v8
	s_delay_alu instid0(VALU_DEP_1)
	v_lshl_or_b32 v3, v0, 1, v3
	.p2align	6
.LBB6_3:                                ; =>This Inner Loop Header: Depth=1
	s_delay_alu instid0(VALU_DEP_1) | instskip(SKIP_1) | instid1(VALU_DEP_1)
	v_ashrrev_i32_e32 v4, 31, v3
	s_add_i32 s6, s6, 1
	v_lshlrev_b64 v[11:12], 1, v[3:4]
	v_add_nc_u32_e32 v3, 64, v3
	s_waitcnt lgkmcnt(0)
	s_delay_alu instid0(VALU_DEP_2) | instskip(NEXT) | instid1(VALU_DEP_1)
	v_add_co_u32 v11, s2, s12, v11
	v_add_co_ci_u32_e64 v12, s2, s13, v12, s2
	v_cmp_ge_i32_e64 s2, s6, v6
	global_load_b32 v4, v[11:12], off
	s_or_b32 s5, s2, s5
	s_waitcnt vmcnt(0)
	ds_store_b32 v10, v4
	v_add_nc_u32_e32 v10, 0x80, v10
	s_and_not1_b32 exec_lo, exec_lo, s5
	s_cbranch_execnz .LBB6_3
.LBB6_4:
	s_or_b32 exec_lo, exec_lo, s4
	s_load_b256 s[4:11], s[0:1], 0x18
	v_mul_lo_u32 v2, v2, s3
	s_add_i32 s0, s20, 15
	s_mov_b32 s20, exec_lo
	s_ashr_i32 s1, s0, 31
	s_delay_alu instid0(SALU_CYCLE_1) | instskip(NEXT) | instid1(SALU_CYCLE_1)
	s_lshr_b32 s1, s1, 28
	s_add_i32 s0, s0, s1
	s_delay_alu instid0(VALU_DEP_1) | instskip(SKIP_1) | instid1(SALU_CYCLE_1)
	v_lshlrev_b32_e32 v4, 2, v2
	s_ashr_i32 s2, s0, 4
	v_cmpx_gt_i32_e64 s2, v0
	s_cbranch_execz .LBB6_7
; %bb.5:
	v_ashrrev_i32_e32 v2, 31, v1
	s_delay_alu instid0(VALU_DEP_1) | instskip(SKIP_1) | instid1(VALU_DEP_1)
	v_lshlrev_b64 v[2:3], 3, v[1:2]
	s_waitcnt lgkmcnt(0)
	v_add_co_u32 v2, s0, s10, v2
	s_delay_alu instid0(VALU_DEP_1)
	v_add_co_ci_u32_e64 v3, s0, s11, v3, s0
	s_ashr_i32 s0, s3, 31
	global_load_b64 v[2:3], v[2:3], off
	s_waitcnt vmcnt(0)
	v_mul_lo_u32 v3, v3, s3
	v_mul_lo_u32 v12, v2, s0
	v_mad_u64_u32 v[10:11], null, v2, s3, 0
	s_delay_alu instid0(VALU_DEP_1) | instskip(NEXT) | instid1(VALU_DEP_1)
	v_add3_u32 v11, v11, v12, v3
	v_lshlrev_b64 v[2:3], 2, v[10:11]
	v_dual_mov_b32 v11, v0 :: v_dual_lshlrev_b32 v10, 4, v0
	s_delay_alu instid0(VALU_DEP_1) | instskip(NEXT) | instid1(VALU_DEP_1)
	v_add_co_u32 v2, s0, v2, v10
	v_add_co_ci_u32_e64 v3, s0, 0, v3, s0
	v_add3_u32 v10, v4, v10, 0
	s_delay_alu instid0(VALU_DEP_3) | instskip(NEXT) | instid1(VALU_DEP_1)
	v_add_co_u32 v2, s0, s8, v2
	v_add_co_ci_u32_e64 v3, s0, s9, v3, s0
	s_mov_b32 s8, 0
	.p2align	6
.LBB6_6:                                ; =>This Inner Loop Header: Depth=1
	global_load_b128 v[12:15], v[2:3], off
	v_add_nc_u32_e32 v11, 32, v11
	v_add_co_u32 v2, s0, 0x200, v2
	s_delay_alu instid0(VALU_DEP_1) | instskip(NEXT) | instid1(VALU_DEP_3)
	v_add_co_ci_u32_e64 v3, s0, 0, v3, s0
	v_cmp_le_i32_e64 s1, s2, v11
	s_delay_alu instid0(VALU_DEP_1)
	s_or_b32 s8, s1, s8
	s_waitcnt vmcnt(0)
	ds_store_b128 v10, v[12:15]
	v_add_nc_u32_e32 v10, 0x200, v10
	s_and_not1_b32 exec_lo, exec_lo, s8
	s_cbranch_execnz .LBB6_6
.LBB6_7:
	s_or_b32 exec_lo, exec_lo, s20
	s_delay_alu instid0(SALU_CYCLE_1)
	s_and_b32 exec_lo, exec_lo, vcc_lo
	s_cbranch_execz .LBB6_12
; %bb.8:
	s_waitcnt lgkmcnt(0)
	s_clause 0x1
	global_load_b32 v2, v7, s[4:5]
	global_load_b32 v3, v7, s[6:7]
	v_mbcnt_lo_u32_b32 v10, -1, 0
	s_lshr_b32 s0, s3, 31
	v_add3_u32 v4, 0, v4, v7
	s_add_i32 s0, s3, s0
	v_add_nc_u32_e32 v16, s15, v9
	v_xor_b32_e32 v11, 16, v10
	s_ashr_i32 s0, s0, 1
	v_xor_b32_e32 v12, 8, v10
	v_cmp_gt_i32_e32 vcc_lo, s0, v0
	v_lshl_add_u32 v9, s0, 2, v4
	v_cmp_gt_i32_e64 s0, 32, v11
	v_xor_b32_e32 v13, 4, v10
	v_xor_b32_e32 v14, 2, v10
	s_add_i32 s1, s18, s17
	s_lshl_b32 s2, s14, 1
	v_cndmask_b32_e64 v11, v10, v11, s0
	v_cmp_gt_i32_e64 s0, 32, v12
	s_add_i32 s1, s1, s16
	v_xor_b32_e32 v15, 1, v10
	s_sub_i32 s1, s1, s2
	v_add3_u32 v7, v16, v7, 0
	v_cndmask_b32_e64 v12, v10, v12, s0
	v_cmp_gt_i32_e64 s0, 32, v13
	v_mul_lo_u32 v1, s1, v1
	s_mov_b32 s2, 0
	s_mov_b32 s3, 0
	s_delay_alu instid0(VALU_DEP_2) | instskip(SKIP_1) | instid1(VALU_DEP_3)
	v_cndmask_b32_e64 v13, v10, v13, s0
	v_cmp_gt_i32_e64 s0, 32, v14
	v_lshl_add_u32 v1, v1, 6, v8
	v_lshlrev_b32_e32 v8, 2, v11
	s_delay_alu instid0(VALU_DEP_3) | instskip(SKIP_3) | instid1(VALU_DEP_3)
	v_cndmask_b32_e64 v14, v10, v14, s0
	v_cmp_gt_i32_e64 s0, 32, v15
	v_lshlrev_b32_e32 v11, 2, v13
	v_lshl_or_b32 v0, v0, 1, v1
	v_cndmask_b32_e64 v15, v10, v15, s0
	v_lshlrev_b32_e32 v10, 2, v12
	v_lshlrev_b32_e32 v12, 2, v14
	s_delay_alu instid0(VALU_DEP_3)
	v_lshlrev_b32_e32 v13, 2, v15
	s_waitcnt vmcnt(1)
	v_lshrrev_b32_e32 v14, 16, v2
	s_waitcnt vmcnt(0)
	v_lshrrev_b32_e32 v15, 16, v3
	s_branch .LBB6_10
.LBB6_9:                                ;   in Loop: Header=BB6_10 Depth=1
	s_or_b32 exec_lo, exec_lo, s0
	v_ashrrev_i32_e32 v1, 31, v0
	s_delay_alu instid0(VALU_DEP_2)
	v_cvt_f16_f32_e32 v18, v17
	v_cvt_f16_f32_e32 v19, v16
	s_add_i32 s3, s3, 1
	v_add_nc_u32_e32 v7, 0x80, v7
	v_lshlrev_b64 v[16:17], 1, v[0:1]
	v_cmp_ge_i32_e64 s0, s3, v6
	v_pack_b32_f16 v1, v18, v19
	v_add_nc_u32_e32 v0, 64, v0
	s_delay_alu instid0(VALU_DEP_3) | instskip(NEXT) | instid1(VALU_DEP_4)
	s_or_b32 s2, s0, s2
	v_add_co_u32 v16, s1, s12, v16
	s_delay_alu instid0(VALU_DEP_1)
	v_add_co_ci_u32_e64 v17, s1, s13, v17, s1
	global_store_b32 v[16:17], v1, off
	s_and_not1_b32 exec_lo, exec_lo, s2
	s_cbranch_execz .LBB6_12
.LBB6_10:                               ; =>This Inner Loop Header: Depth=1
	ds_load_b32 v1, v7
	s_waitcnt lgkmcnt(0)
	v_cvt_f32_f16_e32 v16, v1
	s_delay_alu instid0(VALU_DEP_1) | instskip(NEXT) | instid1(VALU_DEP_1)
	v_mul_f32_e32 v17, v16, v16
	v_fma_mix_f32 v17, v1, v1, v17 op_sel:[1,1,0] op_sel_hi:[1,1,0]
	v_lshrrev_b32_e32 v1, 16, v1
	ds_bpermute_b32 v18, v8, v17
	v_cvt_f32_f16_e32 v1, v1
	s_waitcnt lgkmcnt(0)
	v_add_f32_e32 v17, v17, v18
	ds_bpermute_b32 v18, v10, v17
	s_waitcnt lgkmcnt(0)
	v_add_f32_e32 v17, v17, v18
	ds_bpermute_b32 v18, v11, v17
	;; [unrolled: 3-line block ×4, first 2 shown]
	s_waitcnt lgkmcnt(0)
	v_add_f32_e32 v17, v17, v18
	s_delay_alu instid0(VALU_DEP_1) | instskip(NEXT) | instid1(VALU_DEP_1)
	v_fma_f32 v17, 0x3c800000, v17, s19
	v_mul_f32_e32 v18, 0x4b800000, v17
	v_cmp_gt_f32_e64 s0, 0x800000, v17
	s_delay_alu instid0(VALU_DEP_1) | instskip(SKIP_1) | instid1(VALU_DEP_2)
	v_cndmask_b32_e64 v17, v17, v18, s0
	v_add_nc_u32_e32 v18, s3, v5
	v_rsq_f32_e32 v17, v17
	s_delay_alu instid0(VALU_DEP_1) | instskip(NEXT) | instid1(VALU_DEP_1)
	v_cmp_gt_i32_e64 s1, s16, v18
	v_cndmask_b32_e64 v18, v3, v2, s1
	v_cndmask_b32_e64 v20, v15, v14, s1
	s_delay_alu instid0(VALU_DEP_2) | instskip(SKIP_2) | instid1(VALU_DEP_1)
	v_cvt_f32_f16_e32 v18, v18
	s_waitcnt_depctr 0xfff
	v_mul_f32_e32 v19, 0x45800000, v17
	v_cndmask_b32_e64 v17, v17, v19, s0
	v_cvt_f32_f16_e32 v19, v20
	s_delay_alu instid0(VALU_DEP_2) | instskip(NEXT) | instid1(VALU_DEP_2)
	v_mul_f32_e32 v18, v17, v18
	v_mul_f32_e32 v19, v17, v19
	s_delay_alu instid0(VALU_DEP_1)
	v_dual_mul_f32 v17, v18, v16 :: v_dual_mul_f32 v16, v19, v1
	s_and_saveexec_b32 s0, vcc_lo
	s_cbranch_execz .LBB6_9
; %bb.11:                               ;   in Loop: Header=BB6_10 Depth=1
	ds_load_b32 v1, v9
	ds_load_b32 v18, v4
	s_waitcnt lgkmcnt(1)
	v_mul_f32_e32 v19, v16, v1
	v_mul_f32_e32 v1, v17, v1
	s_waitcnt lgkmcnt(0)
	s_delay_alu instid0(VALU_DEP_1) | instskip(NEXT) | instid1(VALU_DEP_1)
	v_fmac_f32_e32 v1, v16, v18
	v_mov_b32_e32 v16, v1
	v_fma_f32 v17, v17, v18, -v19
	s_branch .LBB6_9
.LBB6_12:
	s_nop 0
	s_sendmsg sendmsg(MSG_DEALLOC_VGPRS)
	s_endpgm
	.section	.rodata,"a",@progbits
	.p2align	6, 0x0
	.amdhsa_kernel _ZN12tensorrt_llm7kernels32fusedQKNormRopeKernelNTokenHeadsIN3c104HalfEfLi64ELb1ELi2EEEvPviiifPKvS6_S6_PKlii
		.amdhsa_group_segment_fixed_size 0
		.amdhsa_private_segment_fixed_size 0
		.amdhsa_kernarg_size 320
		.amdhsa_user_sgpr_count 15
		.amdhsa_user_sgpr_dispatch_ptr 0
		.amdhsa_user_sgpr_queue_ptr 0
		.amdhsa_user_sgpr_kernarg_segment_ptr 1
		.amdhsa_user_sgpr_dispatch_id 0
		.amdhsa_user_sgpr_private_segment_size 0
		.amdhsa_wavefront_size32 1
		.amdhsa_uses_dynamic_stack 0
		.amdhsa_enable_private_segment 0
		.amdhsa_system_sgpr_workgroup_id_x 1
		.amdhsa_system_sgpr_workgroup_id_y 0
		.amdhsa_system_sgpr_workgroup_id_z 0
		.amdhsa_system_sgpr_workgroup_info 0
		.amdhsa_system_vgpr_workitem_id 0
		.amdhsa_next_free_vgpr 21
		.amdhsa_next_free_sgpr 21
		.amdhsa_reserve_vcc 1
		.amdhsa_float_round_mode_32 0
		.amdhsa_float_round_mode_16_64 0
		.amdhsa_float_denorm_mode_32 3
		.amdhsa_float_denorm_mode_16_64 3
		.amdhsa_dx10_clamp 1
		.amdhsa_ieee_mode 1
		.amdhsa_fp16_overflow 0
		.amdhsa_workgroup_processor_mode 1
		.amdhsa_memory_ordered 1
		.amdhsa_forward_progress 0
		.amdhsa_shared_vgpr_count 0
		.amdhsa_exception_fp_ieee_invalid_op 0
		.amdhsa_exception_fp_denorm_src 0
		.amdhsa_exception_fp_ieee_div_zero 0
		.amdhsa_exception_fp_ieee_overflow 0
		.amdhsa_exception_fp_ieee_underflow 0
		.amdhsa_exception_fp_ieee_inexact 0
		.amdhsa_exception_int_div_zero 0
	.end_amdhsa_kernel
	.section	.text._ZN12tensorrt_llm7kernels32fusedQKNormRopeKernelNTokenHeadsIN3c104HalfEfLi64ELb1ELi2EEEvPviiifPKvS6_S6_PKlii,"axG",@progbits,_ZN12tensorrt_llm7kernels32fusedQKNormRopeKernelNTokenHeadsIN3c104HalfEfLi64ELb1ELi2EEEvPviiifPKvS6_S6_PKlii,comdat
.Lfunc_end6:
	.size	_ZN12tensorrt_llm7kernels32fusedQKNormRopeKernelNTokenHeadsIN3c104HalfEfLi64ELb1ELi2EEEvPviiifPKvS6_S6_PKlii, .Lfunc_end6-_ZN12tensorrt_llm7kernels32fusedQKNormRopeKernelNTokenHeadsIN3c104HalfEfLi64ELb1ELi2EEEvPviiifPKvS6_S6_PKlii
                                        ; -- End function
	.section	.AMDGPU.csdata,"",@progbits
; Kernel info:
; codeLenInByte = 1560
; NumSgprs: 23
; NumVgprs: 21
; ScratchSize: 0
; MemoryBound: 0
; FloatMode: 240
; IeeeMode: 1
; LDSByteSize: 0 bytes/workgroup (compile time only)
; SGPRBlocks: 2
; VGPRBlocks: 2
; NumSGPRsForWavesPerEU: 23
; NumVGPRsForWavesPerEU: 21
; Occupancy: 16
; WaveLimiterHint : 0
; COMPUTE_PGM_RSRC2:SCRATCH_EN: 0
; COMPUTE_PGM_RSRC2:USER_SGPR: 15
; COMPUTE_PGM_RSRC2:TRAP_HANDLER: 0
; COMPUTE_PGM_RSRC2:TGID_X_EN: 1
; COMPUTE_PGM_RSRC2:TGID_Y_EN: 0
; COMPUTE_PGM_RSRC2:TGID_Z_EN: 0
; COMPUTE_PGM_RSRC2:TIDIG_COMP_CNT: 0
	.section	.text._ZN12tensorrt_llm7kernels32fusedQKNormRopeKernelNTokenHeadsIN3c104HalfEfLi64ELb0ELi2EEEvPviiifPKvS6_S6_PKlii,"axG",@progbits,_ZN12tensorrt_llm7kernels32fusedQKNormRopeKernelNTokenHeadsIN3c104HalfEfLi64ELb0ELi2EEEvPviiifPKvS6_S6_PKlii,comdat
	.protected	_ZN12tensorrt_llm7kernels32fusedQKNormRopeKernelNTokenHeadsIN3c104HalfEfLi64ELb0ELi2EEEvPviiifPKvS6_S6_PKlii ; -- Begin function _ZN12tensorrt_llm7kernels32fusedQKNormRopeKernelNTokenHeadsIN3c104HalfEfLi64ELb0ELi2EEEvPviiifPKvS6_S6_PKlii
	.globl	_ZN12tensorrt_llm7kernels32fusedQKNormRopeKernelNTokenHeadsIN3c104HalfEfLi64ELb0ELi2EEEvPviiifPKvS6_S6_PKlii
	.p2align	8
	.type	_ZN12tensorrt_llm7kernels32fusedQKNormRopeKernelNTokenHeadsIN3c104HalfEfLi64ELb0ELi2EEEvPviiifPKvS6_S6_PKlii,@function
_ZN12tensorrt_llm7kernels32fusedQKNormRopeKernelNTokenHeadsIN3c104HalfEfLi64ELb0ELi2EEEvPviiifPKvS6_S6_PKlii: ; @_ZN12tensorrt_llm7kernels32fusedQKNormRopeKernelNTokenHeadsIN3c104HalfEfLi64ELb0ELi2EEEvPviiifPKvS6_S6_PKlii
; %bb.0:
	s_clause 0x1
	s_load_b128 s[16:19], s[0:1], 0x8
	s_load_b64 s[2:3], s[0:1], 0x38
	v_lshrrev_b32_e32 v2, 5, v0
	s_waitcnt lgkmcnt(0)
	s_add_i32 s4, s17, s16
	s_delay_alu instid0(SALU_CYCLE_1) | instskip(NEXT) | instid1(SALU_CYCLE_1)
	s_add_i32 s5, s4, 1
	s_lshr_b32 s6, s5, 31
	s_delay_alu instid0(SALU_CYCLE_1) | instskip(NEXT) | instid1(SALU_CYCLE_1)
	s_add_i32 s5, s5, s6
	s_ashr_i32 s14, s5, 1
	s_load_b32 s5, s[0:1], 0x4c
	s_abs_i32 s6, s14
	s_delay_alu instid0(SALU_CYCLE_1) | instskip(SKIP_1) | instid1(VALU_DEP_1)
	v_cvt_f32_u32_e32 v1, s6
	s_sub_i32 s7, 0, s6
	v_rcp_iflag_f32_e32 v1, v1
	s_waitcnt_depctr 0xfff
	v_mul_f32_e32 v1, 0x4f7ffffe, v1
	s_waitcnt lgkmcnt(0)
	s_bfe_u32 s5, s5, 0xb0005
	s_delay_alu instid0(SALU_CYCLE_1) | instskip(NEXT) | instid1(VALU_DEP_2)
	v_mad_u64_u32 v[3:4], null, s15, s5, v[2:3]
	v_cvt_u32_f32_e32 v1, v1
	s_delay_alu instid0(VALU_DEP_1) | instskip(NEXT) | instid1(VALU_DEP_1)
	v_mul_lo_u32 v5, s7, v1
	v_mul_hi_u32 v4, v1, v5
	s_delay_alu instid0(VALU_DEP_4) | instskip(NEXT) | instid1(VALU_DEP_1)
	v_sub_nc_u32_e32 v5, 0, v3
	v_max_i32_e32 v5, v3, v5
	s_delay_alu instid0(VALU_DEP_3) | instskip(NEXT) | instid1(VALU_DEP_1)
	v_add_nc_u32_e32 v1, v1, v4
	v_mul_hi_u32 v1, v5, v1
	s_delay_alu instid0(VALU_DEP_1) | instskip(NEXT) | instid1(VALU_DEP_1)
	v_mul_lo_u32 v4, v1, s6
	v_sub_nc_u32_e32 v4, v5, v4
	v_add_nc_u32_e32 v5, 1, v1
	s_delay_alu instid0(VALU_DEP_2) | instskip(SKIP_1) | instid1(VALU_DEP_2)
	v_subrev_nc_u32_e32 v6, s6, v4
	v_cmp_le_u32_e32 vcc_lo, s6, v4
	v_dual_cndmask_b32 v4, v4, v6 :: v_dual_cndmask_b32 v1, v1, v5
	v_xor_b32_e32 v5, s14, v3
	s_delay_alu instid0(VALU_DEP_2) | instskip(NEXT) | instid1(VALU_DEP_3)
	v_cmp_le_u32_e32 vcc_lo, s6, v4
	v_add_nc_u32_e32 v6, 1, v1
	s_delay_alu instid0(VALU_DEP_3) | instskip(NEXT) | instid1(VALU_DEP_2)
	v_ashrrev_i32_e32 v5, 31, v5
	v_cndmask_b32_e32 v1, v1, v6, vcc_lo
	s_delay_alu instid0(VALU_DEP_1) | instskip(NEXT) | instid1(VALU_DEP_1)
	v_xor_b32_e32 v1, v1, v5
	v_sub_nc_u32_e32 v1, v1, v5
	s_delay_alu instid0(VALU_DEP_1)
	v_cmp_gt_i32_e32 vcc_lo, s2, v1
	s_and_saveexec_b32 s2, vcc_lo
	s_cbranch_execz .LBB7_12
; %bb.1:
	v_mul_lo_u32 v4, v1, s14
	s_load_b64 s[12:13], s[0:1], 0x0
	v_and_b32_e32 v0, 31, v0
	v_lshlrev_b32_e32 v9, 8, v2
	v_lshlrev_b32_e32 v8, 7, v3
	s_lshl_b32 s20, s3, 2
	s_delay_alu instid0(VALU_DEP_3) | instskip(SKIP_2) | instid1(VALU_DEP_1)
	v_lshlrev_b32_e32 v7, 2, v0
	v_sub_nc_u32_e32 v4, v3, v4
	s_mul_i32 s15, s20, s5
	v_lshlrev_b32_e32 v5, 1, v4
	s_delay_alu instid0(VALU_DEP_1) | instskip(SKIP_1) | instid1(VALU_DEP_2)
	v_add_nc_u32_e32 v4, 2, v5
	v_sub_nc_u32_e32 v6, s4, v5
	v_cmp_lt_i32_e32 vcc_lo, s4, v4
	s_delay_alu instid0(VALU_DEP_2) | instskip(NEXT) | instid1(VALU_DEP_1)
	v_cndmask_b32_e32 v6, 2, v6, vcc_lo
	v_cmp_lt_i32_e32 vcc_lo, 0, v6
	s_and_saveexec_b32 s4, vcc_lo
	s_cbranch_execz .LBB7_4
; %bb.2:
	s_add_i32 s2, s18, s17
	s_lshl_b32 s5, s14, 1
	s_add_i32 s2, s2, s16
	s_mov_b32 s6, 0
	s_sub_i32 s2, s2, s5
	s_mov_b32 s5, 0
	v_mul_lo_u32 v3, s2, v1
	s_add_i32 s2, s15, 0
	s_delay_alu instid0(SALU_CYCLE_1) | instskip(NEXT) | instid1(VALU_DEP_2)
	v_add3_u32 v10, s2, v9, v7
	v_lshl_add_u32 v3, v3, 6, v8
	s_delay_alu instid0(VALU_DEP_1)
	v_lshl_or_b32 v3, v0, 1, v3
	.p2align	6
.LBB7_3:                                ; =>This Inner Loop Header: Depth=1
	s_delay_alu instid0(VALU_DEP_1) | instskip(SKIP_1) | instid1(VALU_DEP_1)
	v_ashrrev_i32_e32 v4, 31, v3
	s_add_i32 s6, s6, 1
	v_lshlrev_b64 v[11:12], 1, v[3:4]
	v_add_nc_u32_e32 v3, 64, v3
	s_waitcnt lgkmcnt(0)
	s_delay_alu instid0(VALU_DEP_2) | instskip(NEXT) | instid1(VALU_DEP_1)
	v_add_co_u32 v11, s2, s12, v11
	v_add_co_ci_u32_e64 v12, s2, s13, v12, s2
	v_cmp_ge_i32_e64 s2, s6, v6
	global_load_b32 v4, v[11:12], off
	s_or_b32 s5, s2, s5
	s_waitcnt vmcnt(0)
	ds_store_b32 v10, v4
	v_add_nc_u32_e32 v10, 0x80, v10
	s_and_not1_b32 exec_lo, exec_lo, s5
	s_cbranch_execnz .LBB7_3
.LBB7_4:
	s_or_b32 exec_lo, exec_lo, s4
	s_load_b256 s[4:11], s[0:1], 0x18
	s_add_i32 s0, s20, 15
	v_mul_lo_u32 v4, v2, s3
	s_ashr_i32 s1, s0, 31
	s_mov_b32 s20, exec_lo
	s_lshr_b32 s1, s1, 28
	s_delay_alu instid0(SALU_CYCLE_1) | instskip(NEXT) | instid1(SALU_CYCLE_1)
	s_add_i32 s0, s0, s1
	s_ashr_i32 s2, s0, 4
	s_delay_alu instid0(SALU_CYCLE_1)
	v_cmpx_gt_i32_e64 s2, v0
	s_cbranch_execz .LBB7_7
; %bb.5:
	v_ashrrev_i32_e32 v2, 31, v1
	s_delay_alu instid0(VALU_DEP_1) | instskip(SKIP_1) | instid1(VALU_DEP_1)
	v_lshlrev_b64 v[2:3], 3, v[1:2]
	s_waitcnt lgkmcnt(0)
	v_add_co_u32 v2, s0, s10, v2
	s_delay_alu instid0(VALU_DEP_1)
	v_add_co_ci_u32_e64 v3, s0, s11, v3, s0
	s_ashr_i32 s0, s3, 31
	global_load_b64 v[2:3], v[2:3], off
	s_waitcnt vmcnt(0)
	v_mul_lo_u32 v3, v3, s3
	v_mul_lo_u32 v12, v2, s0
	v_mad_u64_u32 v[10:11], null, v2, s3, 0
	s_delay_alu instid0(VALU_DEP_1) | instskip(NEXT) | instid1(VALU_DEP_1)
	v_add3_u32 v11, v11, v12, v3
	v_lshlrev_b64 v[2:3], 2, v[10:11]
	v_lshlrev_b32_e32 v10, 4, v0
	v_lshlrev_b32_e32 v11, 2, v4
	s_delay_alu instid0(VALU_DEP_2) | instskip(NEXT) | instid1(VALU_DEP_1)
	v_add_co_u32 v2, s0, v2, v10
	v_add_co_ci_u32_e64 v3, s0, 0, v3, s0
	s_delay_alu instid0(VALU_DEP_3) | instskip(SKIP_1) | instid1(VALU_DEP_4)
	v_add3_u32 v10, v11, v10, 0
	v_mov_b32_e32 v11, v0
	v_add_co_u32 v2, s0, s8, v2
	s_delay_alu instid0(VALU_DEP_1)
	v_add_co_ci_u32_e64 v3, s0, s9, v3, s0
	s_mov_b32 s8, 0
	.p2align	6
.LBB7_6:                                ; =>This Inner Loop Header: Depth=1
	global_load_b128 v[12:15], v[2:3], off
	v_add_nc_u32_e32 v11, 32, v11
	v_add_co_u32 v2, s0, 0x200, v2
	s_delay_alu instid0(VALU_DEP_1) | instskip(NEXT) | instid1(VALU_DEP_3)
	v_add_co_ci_u32_e64 v3, s0, 0, v3, s0
	v_cmp_le_i32_e64 s1, s2, v11
	s_delay_alu instid0(VALU_DEP_1)
	s_or_b32 s8, s1, s8
	s_waitcnt vmcnt(0)
	ds_store_b128 v10, v[12:15]
	v_add_nc_u32_e32 v10, 0x200, v10
	s_and_not1_b32 exec_lo, exec_lo, s8
	s_cbranch_execnz .LBB7_6
.LBB7_7:
	s_or_b32 exec_lo, exec_lo, s20
	s_delay_alu instid0(SALU_CYCLE_1)
	s_and_b32 exec_lo, exec_lo, vcc_lo
	s_cbranch_execz .LBB7_12
; %bb.8:
	s_waitcnt lgkmcnt(0)
	s_clause 0x1
	global_load_b32 v2, v7, s[4:5]
	global_load_b32 v3, v7, s[6:7]
	s_abs_i32 s2, s3
	v_or_b32_e32 v12, 2, v7
	v_cvt_f32_u32_e32 v10, s2
	s_sub_i32 s0, 0, s2
	v_lshl_add_u32 v15, v4, 2, 0
	v_mbcnt_lo_u32_b32 v4, -1, 0
	s_add_i32 s1, s18, s17
	v_rcp_iflag_f32_e32 v10, v10
	s_lshl_b32 s4, s14, 1
	s_add_i32 s1, s1, s16
	v_xor_b32_e32 v13, 8, v4
	s_sub_i32 s1, s1, s4
	v_xor_b32_e32 v14, 4, v4
	v_mul_lo_u32 v1, s1, v1
	v_xor_b32_e32 v16, 2, v4
	v_xor_b32_e32 v17, 1, v4
	s_waitcnt_depctr 0xfff
	v_dual_mul_f32 v10, 0x4f7ffffe, v10 :: v_dual_add_nc_u32 v19, s15, v9
	s_mov_b32 s4, 0
	v_lshl_add_u32 v1, v1, 6, v8
	s_delay_alu instid0(VALU_DEP_2) | instskip(NEXT) | instid1(VALU_DEP_1)
	v_cvt_u32_f32_e32 v10, v10
	v_mul_lo_u32 v11, s0, v10
	s_lshr_b32 s0, s3, 31
	s_delay_alu instid0(SALU_CYCLE_1) | instskip(SKIP_2) | instid1(SALU_CYCLE_1)
	s_add_i32 s0, s3, s0
	s_mov_b32 s3, 0
	s_ashr_i32 s0, s0, 1
	v_lshl_add_u32 v18, s0, 2, v15
	s_delay_alu instid0(VALU_DEP_2) | instskip(SKIP_2) | instid1(SALU_CYCLE_1)
	v_mul_hi_u32 v11, v10, v11
	v_cmp_gt_i32_e32 vcc_lo, s0, v0
	s_lshr_b32 s0, s0, 1
	v_xor_b32_e32 v20, s0, v4
	v_cmp_gt_u32_e64 s0, s0, v0
	v_lshl_or_b32 v0, v0, 1, v1
	v_add_nc_u32_e32 v10, v10, v11
	v_xor_b32_e32 v11, 16, v4
	s_delay_alu instid0(VALU_DEP_2) | instskip(SKIP_1) | instid1(VALU_DEP_3)
	v_mul_hi_u32 v9, v7, v10
	v_mul_hi_u32 v10, v12, v10
	v_cmp_gt_i32_e64 s1, 32, v11
	s_delay_alu instid0(VALU_DEP_1) | instskip(NEXT) | instid1(VALU_DEP_4)
	v_cndmask_b32_e64 v11, v4, v11, s1
	v_mul_lo_u32 v9, v9, s2
	s_delay_alu instid0(VALU_DEP_4) | instskip(SKIP_1) | instid1(VALU_DEP_3)
	v_mul_lo_u32 v10, v10, s2
	v_cmp_gt_i32_e64 s1, 32, v13
	v_sub_nc_u32_e32 v9, v7, v9
	s_delay_alu instid0(VALU_DEP_3) | instskip(NEXT) | instid1(VALU_DEP_3)
	v_sub_nc_u32_e32 v10, v12, v10
	v_cndmask_b32_e64 v12, v4, v13, s1
	v_cmp_gt_i32_e64 s1, 32, v14
	v_add3_u32 v7, v19, v7, 0
	v_subrev_nc_u32_e32 v13, s2, v9
	v_subrev_nc_u32_e32 v21, s2, v10
	v_lshlrev_b32_e32 v8, 2, v12
	v_cndmask_b32_e64 v14, v4, v14, s1
	v_cmp_le_u32_e64 s1, s2, v9
	s_delay_alu instid0(VALU_DEP_1) | instskip(SKIP_1) | instid1(VALU_DEP_1)
	v_cndmask_b32_e64 v9, v9, v13, s1
	v_cmp_le_u32_e64 s1, s2, v10
	v_cndmask_b32_e64 v10, v10, v21, s1
	v_cmp_gt_i32_e64 s1, 32, v16
	s_delay_alu instid0(VALU_DEP_2) | instskip(NEXT) | instid1(VALU_DEP_2)
	v_subrev_nc_u32_e32 v21, s2, v10
	v_cndmask_b32_e64 v13, v4, v16, s1
	v_cmp_gt_i32_e64 s1, 32, v17
	s_delay_alu instid0(VALU_DEP_1) | instskip(SKIP_2) | instid1(VALU_DEP_2)
	v_cndmask_b32_e64 v16, v4, v17, s1
	v_cmp_gt_i32_e64 s1, 32, v20
	v_subrev_nc_u32_e32 v17, s2, v9
	v_cndmask_b32_e64 v20, v4, v20, s1
	v_cmp_le_u32_e64 s1, s2, v9
	v_lshlrev_b32_e32 v4, 2, v11
	s_delay_alu instid0(VALU_DEP_2) | instskip(SKIP_1) | instid1(VALU_DEP_2)
	v_cndmask_b32_e64 v9, v9, v17, s1
	v_cmp_le_u32_e64 s1, s2, v10
	v_lshlrev_b32_e32 v11, 1, v9
	s_delay_alu instid0(VALU_DEP_2) | instskip(SKIP_1) | instid1(VALU_DEP_3)
	v_cndmask_b32_e64 v10, v10, v21, s1
	v_lshlrev_b32_e32 v9, 2, v14
	v_and_b32_e32 v14, -4, v11
	s_delay_alu instid0(VALU_DEP_3) | instskip(SKIP_2) | instid1(VALU_DEP_4)
	v_lshlrev_b32_e32 v12, 1, v10
	v_lshlrev_b32_e32 v11, 2, v16
	;; [unrolled: 1-line block ×3, first 2 shown]
	v_add_nc_u32_e32 v13, v15, v14
	s_delay_alu instid0(VALU_DEP_4) | instskip(SKIP_2) | instid1(VALU_DEP_3)
	v_and_b32_e32 v16, -4, v12
	v_lshlrev_b32_e32 v12, 2, v20
	v_add_nc_u32_e32 v14, v18, v14
	v_add_nc_u32_e32 v15, v15, v16
	v_add_nc_u32_e32 v16, v18, v16
	s_waitcnt vmcnt(1)
	v_lshrrev_b32_e32 v17, 16, v2
	s_waitcnt vmcnt(0)
	v_lshrrev_b32_e32 v18, 16, v3
	s_branch .LBB7_10
.LBB7_9:                                ;   in Loop: Header=BB7_10 Depth=1
	s_or_b32 exec_lo, exec_lo, s1
	v_ashrrev_i32_e32 v1, 31, v0
	v_cvt_f16_f32_e32 v21, v20
	v_cvt_f16_f32_e32 v22, v19
	s_add_i32 s4, s4, 1
	v_add_nc_u32_e32 v7, 0x80, v7
	v_lshlrev_b64 v[19:20], 1, v[0:1]
	v_cmp_ge_i32_e64 s1, s4, v6
	v_pack_b32_f16 v1, v21, v22
	v_add_nc_u32_e32 v0, 64, v0
	s_delay_alu instid0(VALU_DEP_3) | instskip(NEXT) | instid1(VALU_DEP_4)
	s_or_b32 s3, s1, s3
	v_add_co_u32 v19, s2, s12, v19
	s_delay_alu instid0(VALU_DEP_1)
	v_add_co_ci_u32_e64 v20, s2, s13, v20, s2
	global_store_b32 v[19:20], v1, off
	s_and_not1_b32 exec_lo, exec_lo, s3
	s_cbranch_execz .LBB7_12
.LBB7_10:                               ; =>This Inner Loop Header: Depth=1
	ds_load_b32 v1, v7
	s_waitcnt lgkmcnt(0)
	v_cvt_f32_f16_e32 v19, v1
	s_delay_alu instid0(VALU_DEP_1) | instskip(NEXT) | instid1(VALU_DEP_1)
	v_mul_f32_e32 v20, v19, v19
	v_fma_mix_f32 v20, v1, v1, v20 op_sel:[1,1,0] op_sel_hi:[1,1,0]
	v_lshrrev_b32_e32 v1, 16, v1
	ds_bpermute_b32 v21, v4, v20
	v_cvt_f32_f16_e32 v1, v1
	s_waitcnt lgkmcnt(0)
	v_add_f32_e32 v20, v20, v21
	ds_bpermute_b32 v21, v8, v20
	s_waitcnt lgkmcnt(0)
	v_add_f32_e32 v20, v20, v21
	ds_bpermute_b32 v21, v9, v20
	;; [unrolled: 3-line block ×4, first 2 shown]
	s_waitcnt lgkmcnt(0)
	v_add_f32_e32 v20, v20, v21
	s_delay_alu instid0(VALU_DEP_1) | instskip(NEXT) | instid1(VALU_DEP_1)
	v_fma_f32 v20, 0x3c800000, v20, s19
	v_mul_f32_e32 v21, 0x4b800000, v20
	v_cmp_gt_f32_e64 s1, 0x800000, v20
	s_delay_alu instid0(VALU_DEP_1) | instskip(SKIP_1) | instid1(VALU_DEP_2)
	v_cndmask_b32_e64 v20, v20, v21, s1
	v_add_nc_u32_e32 v21, s4, v5
	v_rsq_f32_e32 v20, v20
	s_delay_alu instid0(VALU_DEP_1) | instskip(NEXT) | instid1(VALU_DEP_1)
	v_cmp_gt_i32_e64 s2, s16, v21
	v_cndmask_b32_e64 v21, v3, v2, s2
	v_cndmask_b32_e64 v23, v18, v17, s2
	s_delay_alu instid0(VALU_DEP_2) | instskip(SKIP_2) | instid1(VALU_DEP_1)
	v_cvt_f32_f16_e32 v21, v21
	s_waitcnt_depctr 0xfff
	v_mul_f32_e32 v22, 0x45800000, v20
	v_cndmask_b32_e64 v20, v20, v22, s1
	v_cvt_f32_f16_e32 v22, v23
	s_delay_alu instid0(VALU_DEP_2) | instskip(NEXT) | instid1(VALU_DEP_2)
	v_mul_f32_e32 v21, v20, v21
	v_mul_f32_e32 v22, v20, v22
	s_delay_alu instid0(VALU_DEP_1)
	v_dual_mul_f32 v20, v21, v19 :: v_dual_mul_f32 v19, v22, v1
	s_and_saveexec_b32 s1, vcc_lo
	s_cbranch_execz .LBB7_9
; %bb.11:                               ;   in Loop: Header=BB7_10 Depth=1
	ds_bpermute_b32 v1, v12, v20
	ds_bpermute_b32 v21, v12, v19
	; wave barrier
	ds_load_b32 v22, v14
	ds_load_b32 v23, v16
	;; [unrolled: 1-line block ×4, first 2 shown]
	; wave barrier
	s_waitcnt lgkmcnt(5)
	v_cndmask_b32_e64 v1, v1, -v1, s0
	s_waitcnt lgkmcnt(4)
	v_cndmask_b32_e64 v21, v21, -v21, s0
	s_waitcnt lgkmcnt(3)
	s_delay_alu instid0(VALU_DEP_2) | instskip(SKIP_1) | instid1(VALU_DEP_2)
	v_mul_f32_e32 v1, v1, v22
	s_waitcnt lgkmcnt(2)
	v_mul_f32_e32 v21, v21, v23
	s_waitcnt lgkmcnt(1)
	s_delay_alu instid0(VALU_DEP_2) | instskip(SKIP_1) | instid1(VALU_DEP_1)
	v_fmac_f32_e32 v1, v20, v24
	s_waitcnt lgkmcnt(0)
	v_dual_fmac_f32 v21, v19, v25 :: v_dual_mov_b32 v20, v1
	s_delay_alu instid0(VALU_DEP_1)
	v_mov_b32_e32 v19, v21
	s_branch .LBB7_9
.LBB7_12:
	s_nop 0
	s_sendmsg sendmsg(MSG_DEALLOC_VGPRS)
	s_endpgm
	.section	.rodata,"a",@progbits
	.p2align	6, 0x0
	.amdhsa_kernel _ZN12tensorrt_llm7kernels32fusedQKNormRopeKernelNTokenHeadsIN3c104HalfEfLi64ELb0ELi2EEEvPviiifPKvS6_S6_PKlii
		.amdhsa_group_segment_fixed_size 0
		.amdhsa_private_segment_fixed_size 0
		.amdhsa_kernarg_size 320
		.amdhsa_user_sgpr_count 15
		.amdhsa_user_sgpr_dispatch_ptr 0
		.amdhsa_user_sgpr_queue_ptr 0
		.amdhsa_user_sgpr_kernarg_segment_ptr 1
		.amdhsa_user_sgpr_dispatch_id 0
		.amdhsa_user_sgpr_private_segment_size 0
		.amdhsa_wavefront_size32 1
		.amdhsa_uses_dynamic_stack 0
		.amdhsa_enable_private_segment 0
		.amdhsa_system_sgpr_workgroup_id_x 1
		.amdhsa_system_sgpr_workgroup_id_y 0
		.amdhsa_system_sgpr_workgroup_id_z 0
		.amdhsa_system_sgpr_workgroup_info 0
		.amdhsa_system_vgpr_workitem_id 0
		.amdhsa_next_free_vgpr 26
		.amdhsa_next_free_sgpr 21
		.amdhsa_reserve_vcc 1
		.amdhsa_float_round_mode_32 0
		.amdhsa_float_round_mode_16_64 0
		.amdhsa_float_denorm_mode_32 3
		.amdhsa_float_denorm_mode_16_64 3
		.amdhsa_dx10_clamp 1
		.amdhsa_ieee_mode 1
		.amdhsa_fp16_overflow 0
		.amdhsa_workgroup_processor_mode 1
		.amdhsa_memory_ordered 1
		.amdhsa_forward_progress 0
		.amdhsa_shared_vgpr_count 0
		.amdhsa_exception_fp_ieee_invalid_op 0
		.amdhsa_exception_fp_denorm_src 0
		.amdhsa_exception_fp_ieee_div_zero 0
		.amdhsa_exception_fp_ieee_overflow 0
		.amdhsa_exception_fp_ieee_underflow 0
		.amdhsa_exception_fp_ieee_inexact 0
		.amdhsa_exception_int_div_zero 0
	.end_amdhsa_kernel
	.section	.text._ZN12tensorrt_llm7kernels32fusedQKNormRopeKernelNTokenHeadsIN3c104HalfEfLi64ELb0ELi2EEEvPviiifPKvS6_S6_PKlii,"axG",@progbits,_ZN12tensorrt_llm7kernels32fusedQKNormRopeKernelNTokenHeadsIN3c104HalfEfLi64ELb0ELi2EEEvPviiifPKvS6_S6_PKlii,comdat
.Lfunc_end7:
	.size	_ZN12tensorrt_llm7kernels32fusedQKNormRopeKernelNTokenHeadsIN3c104HalfEfLi64ELb0ELi2EEEvPviiifPKvS6_S6_PKlii, .Lfunc_end7-_ZN12tensorrt_llm7kernels32fusedQKNormRopeKernelNTokenHeadsIN3c104HalfEfLi64ELb0ELi2EEEvPviiifPKvS6_S6_PKlii
                                        ; -- End function
	.section	.AMDGPU.csdata,"",@progbits
; Kernel info:
; codeLenInByte = 1920
; NumSgprs: 23
; NumVgprs: 26
; ScratchSize: 0
; MemoryBound: 0
; FloatMode: 240
; IeeeMode: 1
; LDSByteSize: 0 bytes/workgroup (compile time only)
; SGPRBlocks: 2
; VGPRBlocks: 3
; NumSGPRsForWavesPerEU: 23
; NumVGPRsForWavesPerEU: 26
; Occupancy: 16
; WaveLimiterHint : 0
; COMPUTE_PGM_RSRC2:SCRATCH_EN: 0
; COMPUTE_PGM_RSRC2:USER_SGPR: 15
; COMPUTE_PGM_RSRC2:TRAP_HANDLER: 0
; COMPUTE_PGM_RSRC2:TGID_X_EN: 1
; COMPUTE_PGM_RSRC2:TGID_Y_EN: 0
; COMPUTE_PGM_RSRC2:TGID_Z_EN: 0
; COMPUTE_PGM_RSRC2:TIDIG_COMP_CNT: 0
	.section	.text._ZN12tensorrt_llm7kernels32fusedQKNormRopeKernelNTokenHeadsIN3c104HalfEfLi128ELb1ELi2EEEvPviiifPKvS6_S6_PKlii,"axG",@progbits,_ZN12tensorrt_llm7kernels32fusedQKNormRopeKernelNTokenHeadsIN3c104HalfEfLi128ELb1ELi2EEEvPviiifPKvS6_S6_PKlii,comdat
	.protected	_ZN12tensorrt_llm7kernels32fusedQKNormRopeKernelNTokenHeadsIN3c104HalfEfLi128ELb1ELi2EEEvPviiifPKvS6_S6_PKlii ; -- Begin function _ZN12tensorrt_llm7kernels32fusedQKNormRopeKernelNTokenHeadsIN3c104HalfEfLi128ELb1ELi2EEEvPviiifPKvS6_S6_PKlii
	.globl	_ZN12tensorrt_llm7kernels32fusedQKNormRopeKernelNTokenHeadsIN3c104HalfEfLi128ELb1ELi2EEEvPviiifPKvS6_S6_PKlii
	.p2align	8
	.type	_ZN12tensorrt_llm7kernels32fusedQKNormRopeKernelNTokenHeadsIN3c104HalfEfLi128ELb1ELi2EEEvPviiifPKvS6_S6_PKlii,@function
_ZN12tensorrt_llm7kernels32fusedQKNormRopeKernelNTokenHeadsIN3c104HalfEfLi128ELb1ELi2EEEvPviiifPKvS6_S6_PKlii: ; @_ZN12tensorrt_llm7kernels32fusedQKNormRopeKernelNTokenHeadsIN3c104HalfEfLi128ELb1ELi2EEEvPviiifPKvS6_S6_PKlii
; %bb.0:
	s_clause 0x1
	s_load_b128 s[16:19], s[0:1], 0x8
	s_load_b64 s[2:3], s[0:1], 0x38
	v_lshrrev_b32_e32 v2, 5, v0
	s_waitcnt lgkmcnt(0)
	s_add_i32 s4, s17, s16
	s_delay_alu instid0(SALU_CYCLE_1) | instskip(NEXT) | instid1(SALU_CYCLE_1)
	s_add_i32 s5, s4, 1
	s_lshr_b32 s6, s5, 31
	s_delay_alu instid0(SALU_CYCLE_1) | instskip(NEXT) | instid1(SALU_CYCLE_1)
	s_add_i32 s5, s5, s6
	s_ashr_i32 s14, s5, 1
	s_load_b32 s5, s[0:1], 0x4c
	s_abs_i32 s6, s14
	s_delay_alu instid0(SALU_CYCLE_1) | instskip(SKIP_1) | instid1(VALU_DEP_1)
	v_cvt_f32_u32_e32 v1, s6
	s_sub_i32 s7, 0, s6
	v_rcp_iflag_f32_e32 v1, v1
	s_waitcnt_depctr 0xfff
	v_mul_f32_e32 v1, 0x4f7ffffe, v1
	s_waitcnt lgkmcnt(0)
	s_bfe_u32 s5, s5, 0xb0005
	s_delay_alu instid0(SALU_CYCLE_1) | instskip(NEXT) | instid1(VALU_DEP_2)
	v_mad_u64_u32 v[3:4], null, s15, s5, v[2:3]
	v_cvt_u32_f32_e32 v1, v1
	s_delay_alu instid0(VALU_DEP_1) | instskip(NEXT) | instid1(VALU_DEP_1)
	v_mul_lo_u32 v5, s7, v1
	v_mul_hi_u32 v4, v1, v5
	s_delay_alu instid0(VALU_DEP_4) | instskip(NEXT) | instid1(VALU_DEP_1)
	v_sub_nc_u32_e32 v5, 0, v3
	v_max_i32_e32 v5, v3, v5
	s_delay_alu instid0(VALU_DEP_3) | instskip(NEXT) | instid1(VALU_DEP_1)
	v_add_nc_u32_e32 v1, v1, v4
	v_mul_hi_u32 v1, v5, v1
	s_delay_alu instid0(VALU_DEP_1) | instskip(NEXT) | instid1(VALU_DEP_1)
	v_mul_lo_u32 v4, v1, s6
	v_sub_nc_u32_e32 v4, v5, v4
	v_add_nc_u32_e32 v5, 1, v1
	s_delay_alu instid0(VALU_DEP_2) | instskip(SKIP_1) | instid1(VALU_DEP_2)
	v_subrev_nc_u32_e32 v6, s6, v4
	v_cmp_le_u32_e32 vcc_lo, s6, v4
	v_dual_cndmask_b32 v4, v4, v6 :: v_dual_cndmask_b32 v1, v1, v5
	v_xor_b32_e32 v5, s14, v3
	s_delay_alu instid0(VALU_DEP_2) | instskip(NEXT) | instid1(VALU_DEP_3)
	v_cmp_le_u32_e32 vcc_lo, s6, v4
	v_add_nc_u32_e32 v6, 1, v1
	s_delay_alu instid0(VALU_DEP_3) | instskip(NEXT) | instid1(VALU_DEP_2)
	v_ashrrev_i32_e32 v5, 31, v5
	v_cndmask_b32_e32 v1, v1, v6, vcc_lo
	s_delay_alu instid0(VALU_DEP_1) | instskip(NEXT) | instid1(VALU_DEP_1)
	v_xor_b32_e32 v1, v1, v5
	v_sub_nc_u32_e32 v1, v1, v5
	s_delay_alu instid0(VALU_DEP_1)
	v_cmp_gt_i32_e32 vcc_lo, s2, v1
	s_and_saveexec_b32 s2, vcc_lo
	s_cbranch_execz .LBB8_12
; %bb.1:
	v_mul_lo_u32 v4, v1, s14
	s_load_b64 s[12:13], s[0:1], 0x0
	v_and_b32_e32 v0, 31, v0
	v_lshlrev_b32_e32 v10, 9, v2
	v_lshlrev_b32_e32 v9, 8, v3
	s_lshl_b32 s20, s3, 2
	s_delay_alu instid0(VALU_DEP_3) | instskip(SKIP_2) | instid1(VALU_DEP_1)
	v_lshlrev_b32_e32 v8, 3, v0
	v_sub_nc_u32_e32 v4, v3, v4
	s_mul_i32 s15, s20, s5
	v_lshlrev_b32_e32 v6, 1, v4
	s_delay_alu instid0(VALU_DEP_1) | instskip(SKIP_1) | instid1(VALU_DEP_2)
	v_add_nc_u32_e32 v4, 2, v6
	v_sub_nc_u32_e32 v5, s4, v6
	v_cmp_lt_i32_e32 vcc_lo, s4, v4
	s_delay_alu instid0(VALU_DEP_2) | instskip(NEXT) | instid1(VALU_DEP_1)
	v_cndmask_b32_e32 v7, 2, v5, vcc_lo
	v_cmp_lt_i32_e32 vcc_lo, 0, v7
	s_and_saveexec_b32 s4, vcc_lo
	s_cbranch_execz .LBB8_4
; %bb.2:
	s_add_i32 s2, s18, s17
	s_lshl_b32 s5, s14, 1
	s_add_i32 s2, s2, s16
	s_mov_b32 s6, 0
	s_sub_i32 s2, s2, s5
	s_mov_b32 s5, 0
	v_mul_lo_u32 v3, s2, v1
	s_add_i32 s2, s15, 0
	s_delay_alu instid0(SALU_CYCLE_1) | instskip(NEXT) | instid1(VALU_DEP_2)
	v_add3_u32 v5, s2, v10, v8
	v_lshl_add_u32 v3, v3, 7, v9
	s_delay_alu instid0(VALU_DEP_1)
	v_lshl_or_b32 v3, v0, 2, v3
	.p2align	6
.LBB8_3:                                ; =>This Inner Loop Header: Depth=1
	s_delay_alu instid0(VALU_DEP_1) | instskip(SKIP_1) | instid1(VALU_DEP_1)
	v_ashrrev_i32_e32 v4, 31, v3
	s_add_i32 s6, s6, 1
	v_lshlrev_b64 v[11:12], 1, v[3:4]
	v_add_nc_u32_e32 v3, 0x80, v3
	s_waitcnt lgkmcnt(0)
	s_delay_alu instid0(VALU_DEP_2) | instskip(NEXT) | instid1(VALU_DEP_1)
	v_add_co_u32 v11, s2, s12, v11
	v_add_co_ci_u32_e64 v12, s2, s13, v12, s2
	v_cmp_ge_i32_e64 s2, s6, v7
	global_load_b64 v[11:12], v[11:12], off
	s_or_b32 s5, s2, s5
	s_waitcnt vmcnt(0)
	ds_store_b64 v5, v[11:12]
	v_add_nc_u32_e32 v5, 0x100, v5
	s_and_not1_b32 exec_lo, exec_lo, s5
	s_cbranch_execnz .LBB8_3
.LBB8_4:
	s_or_b32 exec_lo, exec_lo, s4
	s_load_b256 s[4:11], s[0:1], 0x18
	v_mul_lo_u32 v2, v2, s3
	s_add_i32 s0, s20, 15
	s_mov_b32 s20, exec_lo
	s_ashr_i32 s1, s0, 31
	s_delay_alu instid0(SALU_CYCLE_1) | instskip(NEXT) | instid1(SALU_CYCLE_1)
	s_lshr_b32 s1, s1, 28
	s_add_i32 s0, s0, s1
	s_delay_alu instid0(VALU_DEP_1) | instskip(SKIP_1) | instid1(SALU_CYCLE_1)
	v_lshlrev_b32_e32 v11, 2, v2
	s_ashr_i32 s2, s0, 4
	v_cmpx_gt_i32_e64 s2, v0
	s_cbranch_execz .LBB8_7
; %bb.5:
	v_ashrrev_i32_e32 v2, 31, v1
	s_delay_alu instid0(VALU_DEP_1) | instskip(SKIP_1) | instid1(VALU_DEP_1)
	v_lshlrev_b64 v[2:3], 3, v[1:2]
	s_waitcnt lgkmcnt(0)
	v_add_co_u32 v2, s0, s10, v2
	s_delay_alu instid0(VALU_DEP_1)
	v_add_co_ci_u32_e64 v3, s0, s11, v3, s0
	s_ashr_i32 s0, s3, 31
	global_load_b64 v[2:3], v[2:3], off
	s_waitcnt vmcnt(0)
	v_mul_lo_u32 v5, v3, s3
	v_mul_lo_u32 v12, v2, s0
	v_mad_u64_u32 v[3:4], null, v2, s3, 0
	s_delay_alu instid0(VALU_DEP_1) | instskip(SKIP_1) | instid1(VALU_DEP_2)
	v_add3_u32 v4, v4, v12, v5
	v_mov_b32_e32 v5, v0
	v_lshlrev_b64 v[2:3], 2, v[3:4]
	v_lshlrev_b32_e32 v4, 4, v0
	s_delay_alu instid0(VALU_DEP_1) | instskip(NEXT) | instid1(VALU_DEP_1)
	v_add_co_u32 v2, s0, v2, v4
	v_add_co_ci_u32_e64 v3, s0, 0, v3, s0
	v_add3_u32 v4, v11, v4, 0
	s_delay_alu instid0(VALU_DEP_3) | instskip(NEXT) | instid1(VALU_DEP_1)
	v_add_co_u32 v2, s0, s8, v2
	v_add_co_ci_u32_e64 v3, s0, s9, v3, s0
	s_mov_b32 s8, 0
	.p2align	6
.LBB8_6:                                ; =>This Inner Loop Header: Depth=1
	global_load_b128 v[12:15], v[2:3], off
	v_add_nc_u32_e32 v5, 32, v5
	v_add_co_u32 v2, s0, 0x200, v2
	s_delay_alu instid0(VALU_DEP_1) | instskip(NEXT) | instid1(VALU_DEP_3)
	v_add_co_ci_u32_e64 v3, s0, 0, v3, s0
	v_cmp_le_i32_e64 s1, s2, v5
	s_delay_alu instid0(VALU_DEP_1)
	s_or_b32 s8, s1, s8
	s_waitcnt vmcnt(0)
	ds_store_b128 v4, v[12:15]
	v_add_nc_u32_e32 v4, 0x200, v4
	s_and_not1_b32 exec_lo, exec_lo, s8
	s_cbranch_execnz .LBB8_6
.LBB8_7:
	s_or_b32 exec_lo, exec_lo, s20
	s_delay_alu instid0(SALU_CYCLE_1)
	s_and_b32 exec_lo, exec_lo, vcc_lo
	s_cbranch_execz .LBB8_12
; %bb.8:
	s_waitcnt lgkmcnt(0)
	s_clause 0x1
	global_load_b64 v[2:3], v8, s[4:5]
	global_load_b64 v[4:5], v8, s[6:7]
	v_mbcnt_lo_u32_b32 v12, -1, 0
	s_lshr_b32 s0, s3, 31
	v_add3_u32 v11, 0, v11, v8
	s_add_i32 s0, s3, s0
	v_add_nc_u32_e32 v20, s15, v10
	v_xor_b32_e32 v13, 16, v12
	s_lshl_b32 s0, s0, 1
	v_xor_b32_e32 v14, 8, v12
	s_and_b32 s0, s0, -4
	v_xor_b32_e32 v15, 4, v12
	v_add_nc_u32_e32 v10, s0, v11
	v_cmp_gt_i32_e64 s0, 32, v13
	v_xor_b32_e32 v16, 2, v12
	s_add_i32 s2, s18, s17
	s_lshl_b32 s4, s14, 1
	s_add_i32 s2, s2, s16
	v_cndmask_b32_e64 v13, v12, v13, s0
	v_cmp_gt_i32_e64 s0, 32, v14
	s_sub_i32 s2, s2, s4
	v_xor_b32_e32 v17, 1, v12
	v_mul_lo_u32 v1, s2, v1
	s_ashr_i32 s1, s3, 31
	v_cndmask_b32_e64 v14, v12, v14, s0
	v_cmp_gt_i32_e64 s0, 32, v15
	s_lshr_b32 s1, s1, 30
	v_add3_u32 v8, v20, v8, 0
	s_add_i32 s1, s3, s1
	s_mov_b32 s2, 0
	v_cndmask_b32_e64 v15, v12, v15, s0
	v_cmp_gt_i32_e64 s0, 32, v16
	v_lshl_add_u32 v1, v1, 7, v9
	s_ashr_i32 s1, s1, 2
	v_lshlrev_b32_e32 v9, 2, v13
	v_cmp_gt_i32_e32 vcc_lo, s1, v0
	v_cndmask_b32_e64 v16, v12, v16, s0
	v_cmp_gt_i32_e64 s0, 32, v17
	v_lshlrev_b32_e32 v13, 2, v15
	v_lshl_or_b32 v0, v0, 2, v1
	s_mov_b32 s3, 0
	s_delay_alu instid0(VALU_DEP_3) | instskip(SKIP_2) | instid1(VALU_DEP_3)
	v_cndmask_b32_e64 v17, v12, v17, s0
	v_lshlrev_b32_e32 v12, 2, v14
	v_lshlrev_b32_e32 v14, 2, v16
	;; [unrolled: 1-line block ×3, first 2 shown]
	s_waitcnt vmcnt(1)
	v_lshrrev_b32_e32 v16, 16, v2
	v_lshrrev_b32_e32 v17, 16, v3
	s_waitcnt vmcnt(0)
	v_lshrrev_b32_e32 v18, 16, v4
	v_lshrrev_b32_e32 v19, 16, v5
	s_branch .LBB8_10
.LBB8_9:                                ;   in Loop: Header=BB8_10 Depth=1
	s_or_b32 exec_lo, exec_lo, s0
	v_ashrrev_i32_e32 v1, 31, v0
	v_cvt_f16_f32_e32 v24, v23
	v_cvt_f16_f32_e32 v25, v22
	s_add_i32 s3, s3, 1
	v_add_nc_u32_e32 v8, 0x100, v8
	v_lshlrev_b64 v[22:23], 1, v[0:1]
	v_cvt_f16_f32_e32 v1, v20
	v_cvt_f16_f32_e32 v20, v21
	v_pack_b32_f16 v21, v24, v25
	v_add_nc_u32_e32 v0, 0x80, v0
	v_add_co_u32 v22, s0, s12, v22
	s_delay_alu instid0(VALU_DEP_1) | instskip(SKIP_2) | instid1(VALU_DEP_2)
	v_add_co_ci_u32_e64 v23, s0, s13, v23, s0
	v_cmp_ge_i32_e64 s0, s3, v7
	v_pack_b32_f16 v20, v1, v20
	s_or_b32 s2, s0, s2
	global_store_b64 v[22:23], v[20:21], off
	s_and_not1_b32 exec_lo, exec_lo, s2
	s_cbranch_execz .LBB8_12
.LBB8_10:                               ; =>This Inner Loop Header: Depth=1
	ds_load_b64 v[20:21], v8
	s_waitcnt lgkmcnt(0)
	v_lshrrev_b32_e32 v1, 16, v20
	v_lshrrev_b32_e32 v28, 16, v21
	s_delay_alu instid0(VALU_DEP_2) | instskip(NEXT) | instid1(VALU_DEP_2)
	v_cvt_f32_f16_e32 v1, v1
	v_cvt_f32_f16_e32 v28, v28
	s_delay_alu instid0(VALU_DEP_2) | instskip(NEXT) | instid1(VALU_DEP_1)
	v_mul_f32_e32 v22, v1, v1
	v_fma_mix_f32 v22, v20, v20, v22 op_sel_hi:[1,1,0]
	v_cvt_f32_f16_e32 v20, v20
	s_delay_alu instid0(VALU_DEP_2) | instskip(NEXT) | instid1(VALU_DEP_1)
	v_fma_mix_f32 v22, v21, v21, v22 op_sel_hi:[1,1,0]
	v_fma_mix_f32 v22, v21, v21, v22 op_sel:[1,1,0] op_sel_hi:[1,1,0]
	ds_bpermute_b32 v23, v9, v22
	s_waitcnt lgkmcnt(0)
	v_add_f32_e32 v22, v22, v23
	ds_bpermute_b32 v23, v12, v22
	s_waitcnt lgkmcnt(0)
	v_add_f32_e32 v22, v22, v23
	;; [unrolled: 3-line block ×5, first 2 shown]
	s_delay_alu instid0(VALU_DEP_1) | instskip(NEXT) | instid1(VALU_DEP_1)
	v_fma_f32 v22, 0x3c000000, v22, s19
	v_mul_f32_e32 v23, 0x4b800000, v22
	v_cmp_gt_f32_e64 s0, 0x800000, v22
	s_delay_alu instid0(VALU_DEP_1) | instskip(SKIP_1) | instid1(VALU_DEP_2)
	v_cndmask_b32_e64 v22, v22, v23, s0
	v_add_nc_u32_e32 v23, s3, v6
	v_rsq_f32_e32 v22, v22
	s_delay_alu instid0(VALU_DEP_1) | instskip(NEXT) | instid1(VALU_DEP_1)
	v_cmp_gt_i32_e64 s1, s16, v23
	v_cndmask_b32_e64 v23, v4, v2, s1
	v_cndmask_b32_e64 v24, v18, v16, s1
	v_cndmask_b32_e64 v25, v5, v3, s1
	v_cndmask_b32_e64 v27, v19, v17, s1
	s_delay_alu instid0(VALU_DEP_4) | instskip(NEXT) | instid1(TRANS32_DEP_1)
	v_cvt_f32_f16_e32 v23, v23
	v_mul_f32_e32 v26, 0x45800000, v22
	v_cvt_f32_f16_e32 v24, v24
	v_cvt_f32_f16_e32 v25, v25
	s_delay_alu instid0(VALU_DEP_3) | instskip(SKIP_2) | instid1(VALU_DEP_3)
	v_cndmask_b32_e64 v22, v22, v26, s0
	v_cvt_f32_f16_e32 v26, v27
	v_cvt_f32_f16_e32 v27, v21
	v_mul_f32_e32 v21, v22, v23
	v_mul_f32_e32 v23, v22, v24
	;; [unrolled: 1-line block ×4, first 2 shown]
	s_delay_alu instid0(VALU_DEP_3) | instskip(NEXT) | instid1(VALU_DEP_2)
	v_dual_mul_f32 v20, v21, v20 :: v_dual_mul_f32 v21, v23, v1
	v_dual_mul_f32 v23, v24, v27 :: v_dual_mul_f32 v22, v22, v28
	s_and_saveexec_b32 s0, vcc_lo
	s_cbranch_execz .LBB8_9
; %bb.11:                               ;   in Loop: Header=BB8_10 Depth=1
	ds_load_2addr_b32 v[24:25], v10 offset1:1
	ds_load_2addr_b32 v[26:27], v11 offset1:1
	s_waitcnt lgkmcnt(1)
	v_dual_mul_f32 v1, v21, v24 :: v_dual_mul_f32 v28, v22, v25
	v_dual_mul_f32 v24, v20, v24 :: v_dual_mul_f32 v25, v23, v25
	s_waitcnt lgkmcnt(0)
	s_delay_alu instid0(VALU_DEP_2) | instskip(NEXT) | instid1(VALU_DEP_3)
	v_fma_f32 v20, v20, v26, -v1
	v_fma_f32 v23, v23, v27, -v28
	s_delay_alu instid0(VALU_DEP_3) | instskip(NEXT) | instid1(VALU_DEP_1)
	v_dual_fmac_f32 v24, v21, v26 :: v_dual_fmac_f32 v25, v22, v27
	v_dual_mov_b32 v21, v24 :: v_dual_mov_b32 v22, v25
	s_branch .LBB8_9
.LBB8_12:
	s_nop 0
	s_sendmsg sendmsg(MSG_DEALLOC_VGPRS)
	s_endpgm
	.section	.rodata,"a",@progbits
	.p2align	6, 0x0
	.amdhsa_kernel _ZN12tensorrt_llm7kernels32fusedQKNormRopeKernelNTokenHeadsIN3c104HalfEfLi128ELb1ELi2EEEvPviiifPKvS6_S6_PKlii
		.amdhsa_group_segment_fixed_size 0
		.amdhsa_private_segment_fixed_size 0
		.amdhsa_kernarg_size 320
		.amdhsa_user_sgpr_count 15
		.amdhsa_user_sgpr_dispatch_ptr 0
		.amdhsa_user_sgpr_queue_ptr 0
		.amdhsa_user_sgpr_kernarg_segment_ptr 1
		.amdhsa_user_sgpr_dispatch_id 0
		.amdhsa_user_sgpr_private_segment_size 0
		.amdhsa_wavefront_size32 1
		.amdhsa_uses_dynamic_stack 0
		.amdhsa_enable_private_segment 0
		.amdhsa_system_sgpr_workgroup_id_x 1
		.amdhsa_system_sgpr_workgroup_id_y 0
		.amdhsa_system_sgpr_workgroup_id_z 0
		.amdhsa_system_sgpr_workgroup_info 0
		.amdhsa_system_vgpr_workitem_id 0
		.amdhsa_next_free_vgpr 29
		.amdhsa_next_free_sgpr 21
		.amdhsa_reserve_vcc 1
		.amdhsa_float_round_mode_32 0
		.amdhsa_float_round_mode_16_64 0
		.amdhsa_float_denorm_mode_32 3
		.amdhsa_float_denorm_mode_16_64 3
		.amdhsa_dx10_clamp 1
		.amdhsa_ieee_mode 1
		.amdhsa_fp16_overflow 0
		.amdhsa_workgroup_processor_mode 1
		.amdhsa_memory_ordered 1
		.amdhsa_forward_progress 0
		.amdhsa_shared_vgpr_count 0
		.amdhsa_exception_fp_ieee_invalid_op 0
		.amdhsa_exception_fp_denorm_src 0
		.amdhsa_exception_fp_ieee_div_zero 0
		.amdhsa_exception_fp_ieee_overflow 0
		.amdhsa_exception_fp_ieee_underflow 0
		.amdhsa_exception_fp_ieee_inexact 0
		.amdhsa_exception_int_div_zero 0
	.end_amdhsa_kernel
	.section	.text._ZN12tensorrt_llm7kernels32fusedQKNormRopeKernelNTokenHeadsIN3c104HalfEfLi128ELb1ELi2EEEvPviiifPKvS6_S6_PKlii,"axG",@progbits,_ZN12tensorrt_llm7kernels32fusedQKNormRopeKernelNTokenHeadsIN3c104HalfEfLi128ELb1ELi2EEEvPviiifPKvS6_S6_PKlii,comdat
.Lfunc_end8:
	.size	_ZN12tensorrt_llm7kernels32fusedQKNormRopeKernelNTokenHeadsIN3c104HalfEfLi128ELb1ELi2EEEvPviiifPKvS6_S6_PKlii, .Lfunc_end8-_ZN12tensorrt_llm7kernels32fusedQKNormRopeKernelNTokenHeadsIN3c104HalfEfLi128ELb1ELi2EEEvPviiifPKvS6_S6_PKlii
                                        ; -- End function
	.section	.AMDGPU.csdata,"",@progbits
; Kernel info:
; codeLenInByte = 1692
; NumSgprs: 23
; NumVgprs: 29
; ScratchSize: 0
; MemoryBound: 0
; FloatMode: 240
; IeeeMode: 1
; LDSByteSize: 0 bytes/workgroup (compile time only)
; SGPRBlocks: 2
; VGPRBlocks: 3
; NumSGPRsForWavesPerEU: 23
; NumVGPRsForWavesPerEU: 29
; Occupancy: 16
; WaveLimiterHint : 0
; COMPUTE_PGM_RSRC2:SCRATCH_EN: 0
; COMPUTE_PGM_RSRC2:USER_SGPR: 15
; COMPUTE_PGM_RSRC2:TRAP_HANDLER: 0
; COMPUTE_PGM_RSRC2:TGID_X_EN: 1
; COMPUTE_PGM_RSRC2:TGID_Y_EN: 0
; COMPUTE_PGM_RSRC2:TGID_Z_EN: 0
; COMPUTE_PGM_RSRC2:TIDIG_COMP_CNT: 0
	.section	.text._ZN12tensorrt_llm7kernels32fusedQKNormRopeKernelNTokenHeadsIN3c104HalfEfLi128ELb0ELi2EEEvPviiifPKvS6_S6_PKlii,"axG",@progbits,_ZN12tensorrt_llm7kernels32fusedQKNormRopeKernelNTokenHeadsIN3c104HalfEfLi128ELb0ELi2EEEvPviiifPKvS6_S6_PKlii,comdat
	.protected	_ZN12tensorrt_llm7kernels32fusedQKNormRopeKernelNTokenHeadsIN3c104HalfEfLi128ELb0ELi2EEEvPviiifPKvS6_S6_PKlii ; -- Begin function _ZN12tensorrt_llm7kernels32fusedQKNormRopeKernelNTokenHeadsIN3c104HalfEfLi128ELb0ELi2EEEvPviiifPKvS6_S6_PKlii
	.globl	_ZN12tensorrt_llm7kernels32fusedQKNormRopeKernelNTokenHeadsIN3c104HalfEfLi128ELb0ELi2EEEvPviiifPKvS6_S6_PKlii
	.p2align	8
	.type	_ZN12tensorrt_llm7kernels32fusedQKNormRopeKernelNTokenHeadsIN3c104HalfEfLi128ELb0ELi2EEEvPviiifPKvS6_S6_PKlii,@function
_ZN12tensorrt_llm7kernels32fusedQKNormRopeKernelNTokenHeadsIN3c104HalfEfLi128ELb0ELi2EEEvPviiifPKvS6_S6_PKlii: ; @_ZN12tensorrt_llm7kernels32fusedQKNormRopeKernelNTokenHeadsIN3c104HalfEfLi128ELb0ELi2EEEvPviiifPKvS6_S6_PKlii
; %bb.0:
	s_clause 0x1
	s_load_b128 s[16:19], s[0:1], 0x8
	s_load_b64 s[2:3], s[0:1], 0x38
	s_waitcnt lgkmcnt(0)
	s_add_i32 s4, s17, s16
	s_delay_alu instid0(SALU_CYCLE_1) | instskip(NEXT) | instid1(SALU_CYCLE_1)
	s_add_i32 s5, s4, 1
	s_lshr_b32 s6, s5, 31
	s_delay_alu instid0(SALU_CYCLE_1) | instskip(NEXT) | instid1(SALU_CYCLE_1)
	s_add_i32 s5, s5, s6
	s_ashr_i32 s14, s5, 1
	s_load_b32 s5, s[0:1], 0x4c
	s_abs_i32 s6, s14
	s_delay_alu instid0(SALU_CYCLE_1) | instskip(SKIP_1) | instid1(VALU_DEP_1)
	v_cvt_f32_u32_e32 v1, s6
	s_sub_i32 s7, 0, s6
	v_rcp_iflag_f32_e32 v1, v1
	s_waitcnt_depctr 0xfff
	v_mul_f32_e32 v1, 0x4f7ffffe, v1
	s_waitcnt lgkmcnt(0)
	s_bfe_u32 s5, s5, 0xb0005
	s_delay_alu instid0(VALU_DEP_1) | instskip(SKIP_1) | instid1(VALU_DEP_2)
	v_cvt_u32_f32_e32 v4, v1
	v_lshrrev_b32_e32 v1, 5, v0
	v_mul_lo_u32 v5, s7, v4
	s_delay_alu instid0(VALU_DEP_2) | instskip(NEXT) | instid1(VALU_DEP_2)
	v_mad_u64_u32 v[2:3], null, s15, s5, v[1:2]
	v_mul_hi_u32 v3, v4, v5
	s_delay_alu instid0(VALU_DEP_2) | instskip(NEXT) | instid1(VALU_DEP_1)
	v_sub_nc_u32_e32 v5, 0, v2
	v_max_i32_e32 v5, v2, v5
	s_delay_alu instid0(VALU_DEP_3) | instskip(NEXT) | instid1(VALU_DEP_1)
	v_add_nc_u32_e32 v3, v4, v3
	v_mul_hi_u32 v3, v5, v3
	s_delay_alu instid0(VALU_DEP_1) | instskip(NEXT) | instid1(VALU_DEP_1)
	v_mul_lo_u32 v4, v3, s6
	v_sub_nc_u32_e32 v4, v5, v4
	v_add_nc_u32_e32 v5, 1, v3
	s_delay_alu instid0(VALU_DEP_2) | instskip(SKIP_1) | instid1(VALU_DEP_2)
	v_subrev_nc_u32_e32 v6, s6, v4
	v_cmp_le_u32_e32 vcc_lo, s6, v4
	v_dual_cndmask_b32 v4, v4, v6 :: v_dual_cndmask_b32 v3, v3, v5
	v_xor_b32_e32 v5, s14, v2
	s_delay_alu instid0(VALU_DEP_2) | instskip(NEXT) | instid1(VALU_DEP_3)
	v_cmp_le_u32_e32 vcc_lo, s6, v4
	v_add_nc_u32_e32 v6, 1, v3
	s_delay_alu instid0(VALU_DEP_3) | instskip(NEXT) | instid1(VALU_DEP_2)
	v_ashrrev_i32_e32 v5, 31, v5
	v_cndmask_b32_e32 v3, v3, v6, vcc_lo
	s_delay_alu instid0(VALU_DEP_1) | instskip(NEXT) | instid1(VALU_DEP_1)
	v_xor_b32_e32 v3, v3, v5
	v_sub_nc_u32_e32 v4, v3, v5
	s_delay_alu instid0(VALU_DEP_1)
	v_cmp_gt_i32_e32 vcc_lo, s2, v4
	s_and_saveexec_b32 s2, vcc_lo
	s_cbranch_execz .LBB9_12
; %bb.1:
	v_mul_lo_u32 v3, v4, s14
	s_load_b64 s[12:13], s[0:1], 0x0
	v_and_b32_e32 v9, 31, v0
	v_lshlrev_b32_e32 v11, 9, v1
	v_lshlrev_b32_e32 v10, 8, v2
	s_lshl_b32 s20, s3, 2
	s_delay_alu instid0(VALU_DEP_3) | instskip(SKIP_2) | instid1(VALU_DEP_1)
	v_lshlrev_b32_e32 v8, 3, v9
	v_sub_nc_u32_e32 v3, v2, v3
	s_mul_i32 s15, s20, s5
	v_lshlrev_b32_e32 v6, 1, v3
	s_delay_alu instid0(VALU_DEP_1) | instskip(SKIP_1) | instid1(VALU_DEP_2)
	v_add_nc_u32_e32 v3, 2, v6
	v_sub_nc_u32_e32 v5, s4, v6
	v_cmp_lt_i32_e32 vcc_lo, s4, v3
	s_delay_alu instid0(VALU_DEP_2) | instskip(NEXT) | instid1(VALU_DEP_1)
	v_cndmask_b32_e32 v7, 2, v5, vcc_lo
	v_cmp_lt_i32_e32 vcc_lo, 0, v7
	s_and_saveexec_b32 s4, vcc_lo
	s_cbranch_execz .LBB9_4
; %bb.2:
	s_add_i32 s2, s18, s17
	s_lshl_b32 s5, s14, 1
	s_add_i32 s2, s2, s16
	s_mov_b32 s6, 0
	s_sub_i32 s2, s2, s5
	s_mov_b32 s5, 0
	v_mul_lo_u32 v0, s2, v4
	s_add_i32 s2, s15, 0
	s_delay_alu instid0(VALU_DEP_1) | instskip(SKIP_1) | instid1(VALU_DEP_2)
	v_lshl_add_u32 v2, v0, 7, v10
	v_add3_u32 v0, s2, v11, v8
	v_lshl_or_b32 v2, v9, 2, v2
	.p2align	6
.LBB9_3:                                ; =>This Inner Loop Header: Depth=1
	s_delay_alu instid0(VALU_DEP_1) | instskip(SKIP_1) | instid1(VALU_DEP_1)
	v_ashrrev_i32_e32 v3, 31, v2
	s_add_i32 s6, s6, 1
	v_lshlrev_b64 v[12:13], 1, v[2:3]
	v_add_nc_u32_e32 v2, 0x80, v2
	s_waitcnt lgkmcnt(0)
	s_delay_alu instid0(VALU_DEP_2) | instskip(NEXT) | instid1(VALU_DEP_1)
	v_add_co_u32 v12, s2, s12, v12
	v_add_co_ci_u32_e64 v13, s2, s13, v13, s2
	v_cmp_ge_i32_e64 s2, s6, v7
	global_load_b64 v[12:13], v[12:13], off
	s_or_b32 s5, s2, s5
	s_waitcnt vmcnt(0)
	ds_store_b64 v0, v[12:13]
	v_add_nc_u32_e32 v0, 0x100, v0
	s_and_not1_b32 exec_lo, exec_lo, s5
	s_cbranch_execnz .LBB9_3
.LBB9_4:
	s_or_b32 exec_lo, exec_lo, s4
	s_load_b256 s[4:11], s[0:1], 0x18
	s_add_i32 s0, s20, 15
	v_mul_lo_u32 v12, v1, s3
	s_ashr_i32 s1, s0, 31
	s_mov_b32 s20, exec_lo
	s_lshr_b32 s1, s1, 28
	s_delay_alu instid0(SALU_CYCLE_1) | instskip(NEXT) | instid1(SALU_CYCLE_1)
	s_add_i32 s0, s0, s1
	s_ashr_i32 s2, s0, 4
	s_delay_alu instid0(SALU_CYCLE_1)
	v_cmpx_gt_i32_e64 s2, v9
	s_cbranch_execz .LBB9_7
; %bb.5:
	v_ashrrev_i32_e32 v5, 31, v4
	s_delay_alu instid0(VALU_DEP_1) | instskip(SKIP_1) | instid1(VALU_DEP_1)
	v_lshlrev_b64 v[0:1], 3, v[4:5]
	s_waitcnt lgkmcnt(0)
	v_add_co_u32 v0, s0, s10, v0
	s_delay_alu instid0(VALU_DEP_1)
	v_add_co_ci_u32_e64 v1, s0, s11, v1, s0
	s_ashr_i32 s0, s3, 31
	global_load_b64 v[0:1], v[0:1], off
	s_waitcnt vmcnt(0)
	v_mul_lo_u32 v3, v1, s3
	v_mul_lo_u32 v5, v0, s0
	v_mad_u64_u32 v[1:2], null, v0, s3, 0
	s_delay_alu instid0(VALU_DEP_1) | instskip(SKIP_1) | instid1(VALU_DEP_2)
	v_add3_u32 v2, v2, v5, v3
	v_lshlrev_b32_e32 v3, 2, v12
	v_lshlrev_b64 v[0:1], 2, v[1:2]
	v_lshlrev_b32_e32 v2, 4, v9
	s_delay_alu instid0(VALU_DEP_1) | instskip(NEXT) | instid1(VALU_DEP_1)
	v_add_co_u32 v0, s0, v0, v2
	v_add_co_ci_u32_e64 v1, s0, 0, v1, s0
	v_add3_u32 v2, v3, v2, 0
	v_mov_b32_e32 v3, v9
	s_delay_alu instid0(VALU_DEP_4) | instskip(NEXT) | instid1(VALU_DEP_1)
	v_add_co_u32 v0, s0, s8, v0
	v_add_co_ci_u32_e64 v1, s0, s9, v1, s0
	s_mov_b32 s8, 0
	.p2align	6
.LBB9_6:                                ; =>This Inner Loop Header: Depth=1
	global_load_b128 v[13:16], v[0:1], off
	v_add_nc_u32_e32 v3, 32, v3
	v_add_co_u32 v0, s0, 0x200, v0
	s_delay_alu instid0(VALU_DEP_1) | instskip(NEXT) | instid1(VALU_DEP_3)
	v_add_co_ci_u32_e64 v1, s0, 0, v1, s0
	v_cmp_le_i32_e64 s1, s2, v3
	s_delay_alu instid0(VALU_DEP_1)
	s_or_b32 s8, s1, s8
	s_waitcnt vmcnt(0)
	ds_store_b128 v2, v[13:16]
	v_add_nc_u32_e32 v2, 0x200, v2
	s_and_not1_b32 exec_lo, exec_lo, s8
	s_cbranch_execnz .LBB9_6
.LBB9_7:
	s_or_b32 exec_lo, exec_lo, s20
	s_delay_alu instid0(SALU_CYCLE_1)
	s_and_b32 exec_lo, exec_lo, vcc_lo
	s_cbranch_execz .LBB9_12
; %bb.8:
	s_waitcnt lgkmcnt(0)
	s_clause 0x1
	global_load_b64 v[0:1], v8, s[4:5]
	global_load_b64 v[2:3], v8, s[6:7]
	s_abs_i32 s2, s3
	v_lshl_add_u32 v5, v12, 2, 0
	v_cvt_f32_u32_e32 v12, s2
	s_lshr_b32 s0, s3, 31
	v_mbcnt_lo_u32_b32 v13, -1, 0
	s_add_i32 s0, s3, s0
	v_add_nc_u32_e32 v27, s15, v11
	v_rcp_iflag_f32_e32 v12, v12
	s_lshl_b32 s0, s0, 1
	s_ashr_i32 s1, s3, 31
	s_and_b32 s0, s0, -4
	s_lshr_b32 s6, s1, 30
	s_lshr_b32 s1, s1, 29
	s_sub_i32 s7, 0, s2
	s_add_i32 s1, s3, s1
	v_xor_b32_e32 v17, 8, v13
	s_waitcnt_depctr 0xfff
	v_dual_mul_f32 v11, 0x4f7ffffe, v12 :: v_dual_add_nc_u32 v22, s0, v5
	v_xor_b32_e32 v12, 16, v13
	s_ashr_i32 s1, s1, 3
	v_xor_b32_e32 v18, 4, v13
	v_xor_b32_e32 v23, s1, v13
	v_cvt_u32_f32_e32 v11, v11
	v_cmp_gt_i32_e64 s0, s1, v9
	v_cmp_gt_i32_e64 s1, 32, v12
	v_xor_b32_e32 v20, 2, v13
	v_xor_b32_e32 v21, 1, v13
	v_mul_lo_u32 v19, s7, v11
	v_or_b32_e32 v14, 2, v8
	v_cndmask_b32_e64 v12, v13, v12, s1
	v_cmp_gt_i32_e64 s1, 32, v17
	v_or_b32_e32 v15, 4, v8
	v_or_b32_e32 v16, 6, v8
	s_add_i32 s4, s18, s17
	s_lshl_b32 s5, s14, 1
	v_mul_hi_u32 v19, v11, v19
	v_cndmask_b32_e64 v17, v13, v17, s1
	v_cmp_gt_i32_e64 s1, 32, v18
	s_add_i32 s4, s4, s16
	s_add_i32 s6, s3, s6
	s_sub_i32 s3, s4, s5
	s_ashr_i32 s4, s6, 2
	v_cndmask_b32_e64 v18, v13, v18, s1
	v_cmp_gt_i32_e64 s1, 32, v20
	v_add_nc_u32_e32 v11, v11, v19
	v_mul_lo_u32 v4, s3, v4
	v_cmp_gt_i32_e32 vcc_lo, s4, v9
	s_mov_b32 s3, 0
	v_cndmask_b32_e64 v19, v13, v20, s1
	v_cmp_gt_i32_e64 s1, 32, v21
	v_mul_hi_u32 v20, v8, v11
	v_mul_hi_u32 v24, v14, v11
	;; [unrolled: 1-line block ×4, first 2 shown]
	v_cndmask_b32_e64 v21, v13, v21, s1
	v_cmp_gt_i32_e64 s1, 32, v23
	v_lshl_add_u32 v4, v4, 7, v10
	v_lshlrev_b32_e32 v10, 2, v12
	v_lshlrev_b32_e32 v12, 2, v18
	s_mov_b32 s4, 0
	v_cndmask_b32_e64 v23, v13, v23, s1
	v_mul_lo_u32 v13, v20, s2
	v_mul_lo_u32 v20, v24, s2
	;; [unrolled: 1-line block ×4, first 2 shown]
	v_lshlrev_b32_e32 v11, 2, v17
	v_lshl_or_b32 v4, v9, 2, v4
	v_sub_nc_u32_e32 v17, v8, v13
	v_sub_nc_u32_e32 v14, v14, v20
	;; [unrolled: 1-line block ×3, first 2 shown]
	v_lshlrev_b32_e32 v13, 2, v19
	v_sub_nc_u32_e32 v16, v16, v25
	v_subrev_nc_u32_e32 v18, s2, v17
	v_cmp_le_u32_e64 s1, s2, v17
	v_subrev_nc_u32_e32 v19, s2, v14
	v_subrev_nc_u32_e32 v20, s2, v15
	;; [unrolled: 1-line block ×3, first 2 shown]
	v_add3_u32 v8, v27, v8, 0
	v_cndmask_b32_e64 v17, v17, v18, s1
	v_cmp_le_u32_e64 s1, s2, v14
	s_delay_alu instid0(VALU_DEP_1) | instskip(SKIP_1) | instid1(VALU_DEP_4)
	v_cndmask_b32_e64 v18, v14, v19, s1
	v_cmp_le_u32_e64 s1, s2, v15
	v_subrev_nc_u32_e32 v19, s2, v17
	v_lshlrev_b32_e32 v14, 2, v21
	s_delay_alu instid0(VALU_DEP_3) | instskip(SKIP_2) | instid1(VALU_DEP_3)
	v_cndmask_b32_e64 v15, v15, v20, s1
	v_cmp_le_u32_e64 s1, s2, v16
	v_subrev_nc_u32_e32 v20, s2, v18
	v_subrev_nc_u32_e32 v21, s2, v15
	s_delay_alu instid0(VALU_DEP_3) | instskip(SKIP_1) | instid1(VALU_DEP_2)
	v_cndmask_b32_e64 v16, v16, v24, s1
	v_cmp_le_u32_e64 s1, s2, v17
	v_subrev_nc_u32_e32 v24, s2, v16
	s_delay_alu instid0(VALU_DEP_2) | instskip(SKIP_1) | instid1(VALU_DEP_2)
	v_cndmask_b32_e64 v17, v17, v19, s1
	v_cmp_le_u32_e64 s1, s2, v18
	v_lshlrev_b32_e32 v17, 1, v17
	s_delay_alu instid0(VALU_DEP_2) | instskip(SKIP_1) | instid1(VALU_DEP_3)
	v_cndmask_b32_e64 v18, v18, v20, s1
	v_cmp_le_u32_e64 s1, s2, v15
	v_and_b32_e32 v17, -4, v17
	s_delay_alu instid0(VALU_DEP_3) | instskip(NEXT) | instid1(VALU_DEP_3)
	v_lshlrev_b32_e32 v18, 1, v18
	v_cndmask_b32_e64 v19, v15, v21, s1
	v_cmp_le_u32_e64 s1, s2, v16
	v_lshlrev_b32_e32 v15, 2, v23
	v_add_nc_u32_e32 v9, v5, v17
	v_and_b32_e32 v18, -4, v18
	v_lshlrev_b32_e32 v19, 1, v19
	v_cndmask_b32_e64 v16, v16, v24, s1
	s_delay_alu instid0(VALU_DEP_2) | instskip(NEXT) | instid1(VALU_DEP_2)
	v_and_b32_e32 v20, -4, v19
	v_lshlrev_b32_e32 v16, 1, v16
	s_delay_alu instid0(VALU_DEP_2) | instskip(NEXT) | instid1(VALU_DEP_2)
	v_add_nc_u32_e32 v19, v5, v20
	v_and_b32_e32 v23, -4, v16
	v_add_nc_u32_e32 v16, v22, v17
	v_add_nc_u32_e32 v17, v5, v18
	;; [unrolled: 1-line block ×6, first 2 shown]
	s_waitcnt vmcnt(1)
	v_lshrrev_b32_e32 v23, 16, v0
	v_lshrrev_b32_e32 v24, 16, v1
	s_waitcnt vmcnt(0)
	v_lshrrev_b32_e32 v25, 16, v2
	v_lshrrev_b32_e32 v26, 16, v3
	s_branch .LBB9_10
.LBB9_9:                                ;   in Loop: Header=BB9_10 Depth=1
	s_or_b32 exec_lo, exec_lo, s1
	v_ashrrev_i32_e32 v5, 31, v4
	v_cvt_f16_f32_e32 v31, v30
	v_cvt_f16_f32_e32 v32, v29
	s_add_i32 s4, s4, 1
	v_add_nc_u32_e32 v8, 0x100, v8
	v_lshlrev_b64 v[29:30], 1, v[4:5]
	v_cvt_f16_f32_e32 v5, v27
	v_cvt_f16_f32_e32 v27, v28
	v_pack_b32_f16 v28, v31, v32
	v_add_nc_u32_e32 v4, 0x80, v4
	v_add_co_u32 v29, s1, s12, v29
	s_delay_alu instid0(VALU_DEP_1) | instskip(SKIP_2) | instid1(VALU_DEP_2)
	v_add_co_ci_u32_e64 v30, s1, s13, v30, s1
	v_cmp_ge_i32_e64 s1, s4, v7
	v_pack_b32_f16 v27, v5, v27
	s_or_b32 s3, s1, s3
	global_store_b64 v[29:30], v[27:28], off
	s_and_not1_b32 exec_lo, exec_lo, s3
	s_cbranch_execz .LBB9_12
.LBB9_10:                               ; =>This Inner Loop Header: Depth=1
	ds_load_b64 v[27:28], v8
	s_waitcnt lgkmcnt(0)
	v_lshrrev_b32_e32 v5, 16, v27
	v_lshrrev_b32_e32 v35, 16, v28
	s_delay_alu instid0(VALU_DEP_2) | instskip(NEXT) | instid1(VALU_DEP_2)
	v_cvt_f32_f16_e32 v5, v5
	v_cvt_f32_f16_e32 v35, v35
	s_delay_alu instid0(VALU_DEP_2) | instskip(NEXT) | instid1(VALU_DEP_1)
	v_mul_f32_e32 v29, v5, v5
	v_fma_mix_f32 v29, v27, v27, v29 op_sel_hi:[1,1,0]
	v_cvt_f32_f16_e32 v27, v27
	s_delay_alu instid0(VALU_DEP_2) | instskip(NEXT) | instid1(VALU_DEP_1)
	v_fma_mix_f32 v29, v28, v28, v29 op_sel_hi:[1,1,0]
	v_fma_mix_f32 v29, v28, v28, v29 op_sel:[1,1,0] op_sel_hi:[1,1,0]
	ds_bpermute_b32 v30, v10, v29
	s_waitcnt lgkmcnt(0)
	v_add_f32_e32 v29, v29, v30
	ds_bpermute_b32 v30, v11, v29
	s_waitcnt lgkmcnt(0)
	v_add_f32_e32 v29, v29, v30
	;; [unrolled: 3-line block ×5, first 2 shown]
	s_delay_alu instid0(VALU_DEP_1) | instskip(NEXT) | instid1(VALU_DEP_1)
	v_fma_f32 v29, 0x3c000000, v29, s19
	v_mul_f32_e32 v30, 0x4b800000, v29
	v_cmp_gt_f32_e64 s1, 0x800000, v29
	s_delay_alu instid0(VALU_DEP_1) | instskip(SKIP_1) | instid1(VALU_DEP_2)
	v_cndmask_b32_e64 v29, v29, v30, s1
	v_add_nc_u32_e32 v30, s4, v6
	v_rsq_f32_e32 v29, v29
	s_delay_alu instid0(VALU_DEP_1) | instskip(NEXT) | instid1(VALU_DEP_1)
	v_cmp_gt_i32_e64 s2, s16, v30
	v_cndmask_b32_e64 v30, v2, v0, s2
	v_cndmask_b32_e64 v31, v25, v23, s2
	;; [unrolled: 1-line block ×4, first 2 shown]
	s_delay_alu instid0(VALU_DEP_4) | instskip(NEXT) | instid1(TRANS32_DEP_1)
	v_cvt_f32_f16_e32 v30, v30
	v_mul_f32_e32 v33, 0x45800000, v29
	v_cvt_f32_f16_e32 v31, v31
	v_cvt_f32_f16_e32 v32, v32
	s_delay_alu instid0(VALU_DEP_3) | instskip(SKIP_2) | instid1(VALU_DEP_3)
	v_cndmask_b32_e64 v29, v29, v33, s1
	v_cvt_f32_f16_e32 v33, v34
	v_cvt_f32_f16_e32 v34, v28
	v_mul_f32_e32 v28, v29, v30
	v_mul_f32_e32 v30, v29, v31
	;; [unrolled: 1-line block ×4, first 2 shown]
	s_delay_alu instid0(VALU_DEP_3) | instskip(NEXT) | instid1(VALU_DEP_2)
	v_dual_mul_f32 v27, v28, v27 :: v_dual_mul_f32 v28, v30, v5
	v_dual_mul_f32 v30, v31, v34 :: v_dual_mul_f32 v29, v29, v35
	s_and_saveexec_b32 s1, vcc_lo
	s_cbranch_execz .LBB9_9
; %bb.11:                               ;   in Loop: Header=BB9_10 Depth=1
	ds_bpermute_b32 v5, v15, v27
	ds_bpermute_b32 v31, v15, v28
	;; [unrolled: 1-line block ×4, first 2 shown]
	; wave barrier
	ds_load_b32 v34, v16
	ds_load_b32 v35, v18
	;; [unrolled: 1-line block ×8, first 2 shown]
	; wave barrier
	s_waitcnt lgkmcnt(11)
	v_cndmask_b32_e64 v5, v5, -v5, s0
	s_waitcnt lgkmcnt(10)
	v_cndmask_b32_e64 v31, v31, -v31, s0
	;; [unrolled: 2-line block ×4, first 2 shown]
	s_waitcnt lgkmcnt(5)
	s_delay_alu instid0(VALU_DEP_2) | instskip(SKIP_1) | instid1(VALU_DEP_1)
	v_dual_mul_f32 v5, v5, v34 :: v_dual_mul_f32 v32, v32, v36
	s_waitcnt lgkmcnt(1)
	v_dual_mul_f32 v31, v31, v35 :: v_dual_fmac_f32 v32, v30, v40
	s_delay_alu instid0(VALU_DEP_1) | instskip(SKIP_1) | instid1(VALU_DEP_3)
	v_fmac_f32_e32 v31, v28, v39
	v_mul_f32_e32 v33, v33, v37
	v_dual_fmac_f32 v5, v27, v38 :: v_dual_mov_b32 v30, v32
	s_waitcnt lgkmcnt(0)
	s_delay_alu instid0(VALU_DEP_2) | instskip(NEXT) | instid1(VALU_DEP_2)
	v_dual_mov_b32 v28, v31 :: v_dual_fmac_f32 v33, v29, v41
	v_mov_b32_e32 v27, v5
	s_delay_alu instid0(VALU_DEP_2)
	v_mov_b32_e32 v29, v33
	s_branch .LBB9_9
.LBB9_12:
	s_nop 0
	s_sendmsg sendmsg(MSG_DEALLOC_VGPRS)
	s_endpgm
	.section	.rodata,"a",@progbits
	.p2align	6, 0x0
	.amdhsa_kernel _ZN12tensorrt_llm7kernels32fusedQKNormRopeKernelNTokenHeadsIN3c104HalfEfLi128ELb0ELi2EEEvPviiifPKvS6_S6_PKlii
		.amdhsa_group_segment_fixed_size 0
		.amdhsa_private_segment_fixed_size 0
		.amdhsa_kernarg_size 320
		.amdhsa_user_sgpr_count 15
		.amdhsa_user_sgpr_dispatch_ptr 0
		.amdhsa_user_sgpr_queue_ptr 0
		.amdhsa_user_sgpr_kernarg_segment_ptr 1
		.amdhsa_user_sgpr_dispatch_id 0
		.amdhsa_user_sgpr_private_segment_size 0
		.amdhsa_wavefront_size32 1
		.amdhsa_uses_dynamic_stack 0
		.amdhsa_enable_private_segment 0
		.amdhsa_system_sgpr_workgroup_id_x 1
		.amdhsa_system_sgpr_workgroup_id_y 0
		.amdhsa_system_sgpr_workgroup_id_z 0
		.amdhsa_system_sgpr_workgroup_info 0
		.amdhsa_system_vgpr_workitem_id 0
		.amdhsa_next_free_vgpr 42
		.amdhsa_next_free_sgpr 21
		.amdhsa_reserve_vcc 1
		.amdhsa_float_round_mode_32 0
		.amdhsa_float_round_mode_16_64 0
		.amdhsa_float_denorm_mode_32 3
		.amdhsa_float_denorm_mode_16_64 3
		.amdhsa_dx10_clamp 1
		.amdhsa_ieee_mode 1
		.amdhsa_fp16_overflow 0
		.amdhsa_workgroup_processor_mode 1
		.amdhsa_memory_ordered 1
		.amdhsa_forward_progress 0
		.amdhsa_shared_vgpr_count 0
		.amdhsa_exception_fp_ieee_invalid_op 0
		.amdhsa_exception_fp_denorm_src 0
		.amdhsa_exception_fp_ieee_div_zero 0
		.amdhsa_exception_fp_ieee_overflow 0
		.amdhsa_exception_fp_ieee_underflow 0
		.amdhsa_exception_fp_ieee_inexact 0
		.amdhsa_exception_int_div_zero 0
	.end_amdhsa_kernel
	.section	.text._ZN12tensorrt_llm7kernels32fusedQKNormRopeKernelNTokenHeadsIN3c104HalfEfLi128ELb0ELi2EEEvPviiifPKvS6_S6_PKlii,"axG",@progbits,_ZN12tensorrt_llm7kernels32fusedQKNormRopeKernelNTokenHeadsIN3c104HalfEfLi128ELb0ELi2EEEvPviiifPKvS6_S6_PKlii,comdat
.Lfunc_end9:
	.size	_ZN12tensorrt_llm7kernels32fusedQKNormRopeKernelNTokenHeadsIN3c104HalfEfLi128ELb0ELi2EEEvPviiifPKvS6_S6_PKlii, .Lfunc_end9-_ZN12tensorrt_llm7kernels32fusedQKNormRopeKernelNTokenHeadsIN3c104HalfEfLi128ELb0ELi2EEEvPviiifPKvS6_S6_PKlii
                                        ; -- End function
	.section	.AMDGPU.csdata,"",@progbits
; Kernel info:
; codeLenInByte = 2268
; NumSgprs: 23
; NumVgprs: 42
; ScratchSize: 0
; MemoryBound: 0
; FloatMode: 240
; IeeeMode: 1
; LDSByteSize: 0 bytes/workgroup (compile time only)
; SGPRBlocks: 2
; VGPRBlocks: 5
; NumSGPRsForWavesPerEU: 23
; NumVGPRsForWavesPerEU: 42
; Occupancy: 16
; WaveLimiterHint : 0
; COMPUTE_PGM_RSRC2:SCRATCH_EN: 0
; COMPUTE_PGM_RSRC2:USER_SGPR: 15
; COMPUTE_PGM_RSRC2:TRAP_HANDLER: 0
; COMPUTE_PGM_RSRC2:TGID_X_EN: 1
; COMPUTE_PGM_RSRC2:TGID_Y_EN: 0
; COMPUTE_PGM_RSRC2:TGID_Z_EN: 0
; COMPUTE_PGM_RSRC2:TIDIG_COMP_CNT: 0
	.section	.text._ZN12tensorrt_llm7kernels32fusedQKNormRopeKernelNTokenHeadsIN3c104HalfEfLi256ELb1ELi2EEEvPviiifPKvS6_S6_PKlii,"axG",@progbits,_ZN12tensorrt_llm7kernels32fusedQKNormRopeKernelNTokenHeadsIN3c104HalfEfLi256ELb1ELi2EEEvPviiifPKvS6_S6_PKlii,comdat
	.protected	_ZN12tensorrt_llm7kernels32fusedQKNormRopeKernelNTokenHeadsIN3c104HalfEfLi256ELb1ELi2EEEvPviiifPKvS6_S6_PKlii ; -- Begin function _ZN12tensorrt_llm7kernels32fusedQKNormRopeKernelNTokenHeadsIN3c104HalfEfLi256ELb1ELi2EEEvPviiifPKvS6_S6_PKlii
	.globl	_ZN12tensorrt_llm7kernels32fusedQKNormRopeKernelNTokenHeadsIN3c104HalfEfLi256ELb1ELi2EEEvPviiifPKvS6_S6_PKlii
	.p2align	8
	.type	_ZN12tensorrt_llm7kernels32fusedQKNormRopeKernelNTokenHeadsIN3c104HalfEfLi256ELb1ELi2EEEvPviiifPKvS6_S6_PKlii,@function
_ZN12tensorrt_llm7kernels32fusedQKNormRopeKernelNTokenHeadsIN3c104HalfEfLi256ELb1ELi2EEEvPviiifPKvS6_S6_PKlii: ; @_ZN12tensorrt_llm7kernels32fusedQKNormRopeKernelNTokenHeadsIN3c104HalfEfLi256ELb1ELi2EEEvPviiifPKvS6_S6_PKlii
; %bb.0:
	s_clause 0x1
	s_load_b128 s[16:19], s[0:1], 0x8
	s_load_b64 s[2:3], s[0:1], 0x38
	s_waitcnt lgkmcnt(0)
	s_add_i32 s4, s17, s16
	s_delay_alu instid0(SALU_CYCLE_1) | instskip(NEXT) | instid1(SALU_CYCLE_1)
	s_add_i32 s5, s4, 1
	s_lshr_b32 s6, s5, 31
	s_delay_alu instid0(SALU_CYCLE_1) | instskip(NEXT) | instid1(SALU_CYCLE_1)
	s_add_i32 s5, s5, s6
	s_ashr_i32 s14, s5, 1
	s_load_b32 s5, s[0:1], 0x4c
	s_abs_i32 s6, s14
	s_delay_alu instid0(SALU_CYCLE_1) | instskip(SKIP_1) | instid1(VALU_DEP_1)
	v_cvt_f32_u32_e32 v1, s6
	s_sub_i32 s7, 0, s6
	v_rcp_iflag_f32_e32 v1, v1
	s_waitcnt_depctr 0xfff
	v_mul_f32_e32 v1, 0x4f7ffffe, v1
	s_waitcnt lgkmcnt(0)
	s_bfe_u32 s5, s5, 0xb0005
	s_delay_alu instid0(VALU_DEP_1) | instskip(SKIP_1) | instid1(VALU_DEP_2)
	v_cvt_u32_f32_e32 v4, v1
	v_lshrrev_b32_e32 v1, 5, v0
	v_mul_lo_u32 v5, s7, v4
	s_delay_alu instid0(VALU_DEP_2) | instskip(NEXT) | instid1(VALU_DEP_2)
	v_mad_u64_u32 v[2:3], null, s15, s5, v[1:2]
	v_mul_hi_u32 v3, v4, v5
	s_delay_alu instid0(VALU_DEP_2) | instskip(NEXT) | instid1(VALU_DEP_1)
	v_sub_nc_u32_e32 v5, 0, v2
	v_max_i32_e32 v5, v2, v5
	s_delay_alu instid0(VALU_DEP_3) | instskip(NEXT) | instid1(VALU_DEP_1)
	v_add_nc_u32_e32 v3, v4, v3
	v_mul_hi_u32 v3, v5, v3
	s_delay_alu instid0(VALU_DEP_1) | instskip(NEXT) | instid1(VALU_DEP_1)
	v_mul_lo_u32 v4, v3, s6
	v_sub_nc_u32_e32 v4, v5, v4
	v_add_nc_u32_e32 v5, 1, v3
	s_delay_alu instid0(VALU_DEP_2) | instskip(SKIP_1) | instid1(VALU_DEP_2)
	v_subrev_nc_u32_e32 v6, s6, v4
	v_cmp_le_u32_e32 vcc_lo, s6, v4
	v_dual_cndmask_b32 v4, v4, v6 :: v_dual_cndmask_b32 v3, v3, v5
	v_xor_b32_e32 v5, s14, v2
	s_delay_alu instid0(VALU_DEP_2) | instskip(NEXT) | instid1(VALU_DEP_3)
	v_cmp_le_u32_e32 vcc_lo, s6, v4
	v_add_nc_u32_e32 v6, 1, v3
	s_delay_alu instid0(VALU_DEP_3) | instskip(NEXT) | instid1(VALU_DEP_2)
	v_ashrrev_i32_e32 v5, 31, v5
	v_cndmask_b32_e32 v3, v3, v6, vcc_lo
	s_delay_alu instid0(VALU_DEP_1) | instskip(NEXT) | instid1(VALU_DEP_1)
	v_xor_b32_e32 v3, v3, v5
	v_sub_nc_u32_e32 v8, v3, v5
	s_delay_alu instid0(VALU_DEP_1)
	v_cmp_gt_i32_e32 vcc_lo, s2, v8
	s_and_saveexec_b32 s2, vcc_lo
	s_cbranch_execz .LBB10_12
; %bb.1:
	v_mul_lo_u32 v3, v8, s14
	s_load_b64 s[12:13], s[0:1], 0x0
	v_and_b32_e32 v20, 31, v0
	v_lshlrev_b32_e32 v13, 10, v1
	v_lshlrev_b32_e32 v14, 9, v2
	s_lshl_b32 s20, s3, 2
	s_delay_alu instid0(VALU_DEP_3) | instskip(SKIP_2) | instid1(VALU_DEP_1)
	v_lshlrev_b32_e32 v18, 4, v20
	v_sub_nc_u32_e32 v3, v2, v3
	s_mul_i32 s15, s20, s5
	v_lshlrev_b32_e32 v10, 1, v3
	s_delay_alu instid0(VALU_DEP_1) | instskip(SKIP_1) | instid1(VALU_DEP_2)
	v_add_nc_u32_e32 v3, 2, v10
	v_sub_nc_u32_e32 v4, s4, v10
	v_cmp_lt_i32_e32 vcc_lo, s4, v3
	s_delay_alu instid0(VALU_DEP_2) | instskip(NEXT) | instid1(VALU_DEP_1)
	v_cndmask_b32_e32 v11, 2, v4, vcc_lo
	v_cmp_lt_i32_e32 vcc_lo, 0, v11
	s_and_saveexec_b32 s4, vcc_lo
	s_cbranch_execz .LBB10_4
; %bb.2:
	s_add_i32 s2, s18, s17
	s_lshl_b32 s5, s14, 1
	s_add_i32 s2, s2, s16
	s_mov_b32 s6, 0
	s_sub_i32 s2, s2, s5
	s_mov_b32 s5, 0
	v_mul_lo_u32 v2, s2, v8
	s_add_i32 s2, s15, 0
	s_delay_alu instid0(SALU_CYCLE_1) | instskip(NEXT) | instid1(VALU_DEP_2)
	v_add3_u32 v4, s2, v13, v18
	v_lshl_add_u32 v2, v2, 8, v14
	s_delay_alu instid0(VALU_DEP_1)
	v_lshl_or_b32 v2, v20, 3, v2
	.p2align	6
.LBB10_3:                               ; =>This Inner Loop Header: Depth=1
	s_delay_alu instid0(VALU_DEP_1) | instskip(SKIP_1) | instid1(VALU_DEP_1)
	v_ashrrev_i32_e32 v3, 31, v2
	s_add_i32 s6, s6, 1
	v_lshlrev_b64 v[5:6], 1, v[2:3]
	v_add_nc_u32_e32 v2, 0x100, v2
	s_waitcnt lgkmcnt(0)
	s_delay_alu instid0(VALU_DEP_2) | instskip(NEXT) | instid1(VALU_DEP_1)
	v_add_co_u32 v5, s2, s12, v5
	v_add_co_ci_u32_e64 v6, s2, s13, v6, s2
	v_cmp_ge_i32_e64 s2, s6, v11
	global_load_b128 v[21:24], v[5:6], off
	s_or_b32 s5, s2, s5
	s_waitcnt vmcnt(0)
	ds_store_b128 v4, v[21:24]
	v_add_nc_u32_e32 v4, 0x200, v4
	s_and_not1_b32 exec_lo, exec_lo, s5
	s_cbranch_execnz .LBB10_3
.LBB10_4:
	s_or_b32 exec_lo, exec_lo, s4
	s_load_b256 s[4:11], s[0:1], 0x18
	v_mul_lo_u32 v1, v1, s3
	s_add_i32 s0, s20, 15
	s_mov_b32 s20, exec_lo
	s_ashr_i32 s1, s0, 31
	s_delay_alu instid0(SALU_CYCLE_1) | instskip(NEXT) | instid1(SALU_CYCLE_1)
	s_lshr_b32 s1, s1, 28
	s_add_i32 s0, s0, s1
	s_delay_alu instid0(VALU_DEP_1) | instskip(SKIP_1) | instid1(SALU_CYCLE_1)
	v_lshlrev_b32_e32 v12, 2, v1
	s_ashr_i32 s2, s0, 4
	v_cmpx_gt_i32_e64 s2, v20
	s_cbranch_execz .LBB10_7
; %bb.5:
	v_ashrrev_i32_e32 v9, 31, v8
	s_delay_alu instid0(VALU_DEP_1) | instskip(SKIP_1) | instid1(VALU_DEP_1)
	v_lshlrev_b64 v[1:2], 3, v[8:9]
	s_waitcnt lgkmcnt(0)
	v_add_co_u32 v1, s0, s10, v1
	s_delay_alu instid0(VALU_DEP_1)
	v_add_co_ci_u32_e64 v2, s0, s11, v2, s0
	s_ashr_i32 s0, s3, 31
	global_load_b64 v[1:2], v[1:2], off
	s_waitcnt vmcnt(0)
	v_mul_lo_u32 v4, v2, s3
	v_mul_lo_u32 v5, v1, s0
	v_mad_u64_u32 v[2:3], null, v1, s3, 0
	s_delay_alu instid0(VALU_DEP_1) | instskip(SKIP_1) | instid1(VALU_DEP_2)
	v_add3_u32 v3, v3, v5, v4
	v_and_b32_e32 v4, 31, v0
	v_lshlrev_b64 v[0:1], 2, v[2:3]
	s_delay_alu instid0(VALU_DEP_2) | instskip(NEXT) | instid1(VALU_DEP_1)
	v_dual_mov_b32 v3, v20 :: v_dual_lshlrev_b32 v2, 4, v4
	v_add_co_u32 v0, s0, v0, v2
	s_delay_alu instid0(VALU_DEP_1) | instskip(SKIP_1) | instid1(VALU_DEP_3)
	v_add_co_ci_u32_e64 v1, s0, 0, v1, s0
	v_add3_u32 v2, v12, v18, 0
	v_add_co_u32 v0, s0, s8, v0
	s_delay_alu instid0(VALU_DEP_1)
	v_add_co_ci_u32_e64 v1, s0, s9, v1, s0
	s_mov_b32 s8, 0
	.p2align	6
.LBB10_6:                               ; =>This Inner Loop Header: Depth=1
	global_load_b128 v[4:7], v[0:1], off
	v_add_nc_u32_e32 v3, 32, v3
	v_add_co_u32 v0, s0, 0x200, v0
	s_delay_alu instid0(VALU_DEP_1) | instskip(NEXT) | instid1(VALU_DEP_3)
	v_add_co_ci_u32_e64 v1, s0, 0, v1, s0
	v_cmp_le_i32_e64 s1, s2, v3
	s_delay_alu instid0(VALU_DEP_1)
	s_or_b32 s8, s1, s8
	s_waitcnt vmcnt(0)
	ds_store_b128 v2, v[4:7]
	v_add_nc_u32_e32 v2, 0x200, v2
	s_and_not1_b32 exec_lo, exec_lo, s8
	s_cbranch_execnz .LBB10_6
.LBB10_7:
	s_or_b32 exec_lo, exec_lo, s20
	s_delay_alu instid0(SALU_CYCLE_1)
	s_and_b32 exec_lo, exec_lo, vcc_lo
	s_cbranch_execz .LBB10_12
; %bb.8:
	s_waitcnt lgkmcnt(0)
	s_clause 0x1
	global_load_b128 v[0:3], v18, s[4:5]
	global_load_b128 v[4:7], v18, s[6:7]
	v_mbcnt_lo_u32_b32 v9, -1, 0
	s_lshr_b32 s0, s3, 31
	v_add3_u32 v12, 0, v12, v18
	s_add_i32 s0, s3, s0
	v_add_nc_u32_e32 v28, s15, v13
	v_xor_b32_e32 v15, 16, v9
	s_lshl_b32 s0, s0, 1
	v_xor_b32_e32 v16, 8, v9
	s_and_b32 s0, s0, -4
	v_xor_b32_e32 v17, 4, v9
	v_add_nc_u32_e32 v13, s0, v12
	v_cmp_gt_i32_e64 s0, 32, v15
	v_xor_b32_e32 v19, 2, v9
	s_add_i32 s2, s18, s17
	s_lshl_b32 s4, s14, 1
	s_add_i32 s2, s2, s16
	v_cndmask_b32_e64 v15, v9, v15, s0
	v_cmp_gt_i32_e64 s0, 32, v16
	s_sub_i32 s2, s2, s4
	v_xor_b32_e32 v21, 1, v9
	v_mul_lo_u32 v8, s2, v8
	s_ashr_i32 s1, s3, 31
	v_cndmask_b32_e64 v16, v9, v16, s0
	v_cmp_gt_i32_e64 s0, 32, v17
	s_lshr_b32 s1, s1, 29
	v_add3_u32 v18, v28, v18, 0
	s_add_i32 s1, s3, s1
	s_mov_b32 s2, 0
	v_cndmask_b32_e64 v17, v9, v17, s0
	v_cmp_gt_i32_e64 s0, 32, v19
	v_lshl_add_u32 v8, v8, 8, v14
	s_ashr_i32 s1, s1, 3
	v_lshlrev_b32_e32 v14, 2, v15
	v_cmp_gt_i32_e32 vcc_lo, s1, v20
	v_cndmask_b32_e64 v19, v9, v19, s0
	v_cmp_gt_i32_e64 s0, 32, v21
	v_lshlrev_b32_e32 v15, 2, v16
	v_lshlrev_b32_e32 v16, 2, v17
	v_lshl_or_b32 v8, v20, 3, v8
	v_lshlrev_b32_e32 v17, 2, v19
	v_cndmask_b32_e64 v9, v9, v21, s0
	s_mov_b32 s3, 0
	s_delay_alu instid0(VALU_DEP_1)
	v_lshlrev_b32_e32 v19, 2, v9
	s_waitcnt vmcnt(1)
	v_lshrrev_b32_e32 v20, 16, v0
	v_lshrrev_b32_e32 v21, 16, v1
	;; [unrolled: 1-line block ×4, first 2 shown]
	s_waitcnt vmcnt(0)
	v_lshrrev_b32_e32 v24, 16, v4
	v_lshrrev_b32_e32 v25, 16, v5
	;; [unrolled: 1-line block ×4, first 2 shown]
	s_branch .LBB10_10
.LBB10_9:                               ;   in Loop: Header=BB10_10 Depth=1
	s_or_b32 exec_lo, exec_lo, s0
	v_ashrrev_i32_e32 v9, 31, v8
	v_cvt_f16_f32_e32 v36, v32
	v_cvt_f16_f32_e32 v37, v33
	;; [unrolled: 1-line block ×4, first 2 shown]
	v_lshlrev_b64 v[32:33], 1, v[8:9]
	v_cvt_f16_f32_e32 v9, v29
	v_cvt_f16_f32_e32 v29, v30
	;; [unrolled: 1-line block ×4, first 2 shown]
	s_add_i32 s3, s3, 1
	v_add_co_u32 v32, s0, s12, v32
	s_delay_alu instid0(VALU_DEP_1)
	v_add_co_ci_u32_e64 v33, s0, s13, v33, s0
	v_cmp_ge_i32_e64 s0, s3, v11
	v_pack_b32_f16 v31, v30, v28
	v_pack_b32_f16 v30, v9, v29
	;; [unrolled: 1-line block ×4, first 2 shown]
	v_add_nc_u32_e32 v8, 0x100, v8
	v_add_nc_u32_e32 v18, 0x200, v18
	s_or_b32 s2, s0, s2
	global_store_b128 v[32:33], v[28:31], off
	s_and_not1_b32 exec_lo, exec_lo, s2
	s_cbranch_execz .LBB10_12
.LBB10_10:                              ; =>This Inner Loop Header: Depth=1
	ds_load_b128 v[28:31], v18
	v_add_nc_u32_e32 v34, s3, v10
	s_delay_alu instid0(VALU_DEP_1) | instskip(NEXT) | instid1(VALU_DEP_1)
	v_cmp_gt_i32_e64 s0, s16, v34
	v_cndmask_b32_e64 v35, v24, v20, s0
	v_cndmask_b32_e64 v37, v25, v21, s0
	v_cndmask_b32_e64 v36, v5, v1, s0
	v_cndmask_b32_e64 v38, v26, v22, s0
	v_cndmask_b32_e64 v39, v7, v3, s0
	v_cvt_f32_f16_e32 v35, v35
	v_cndmask_b32_e64 v40, v27, v23, s0
	v_cvt_f32_f16_e32 v37, v37
	v_cvt_f32_f16_e32 v36, v36
	s_waitcnt lgkmcnt(0)
	v_lshrrev_b32_e32 v9, 16, v28
	v_cvt_f32_f16_e32 v43, v30
	v_lshrrev_b32_e32 v44, 16, v31
	v_cvt_f32_f16_e32 v38, v38
	v_cvt_f32_f16_e32 v39, v39
	;; [unrolled: 1-line block ×5, first 2 shown]
	s_delay_alu instid0(VALU_DEP_3) | instskip(NEXT) | instid1(VALU_DEP_1)
	v_mul_f32_e32 v32, v9, v9
	v_fma_mix_f32 v32, v28, v28, v32 op_sel_hi:[1,1,0]
	v_cvt_f32_f16_e32 v28, v28
	s_delay_alu instid0(VALU_DEP_2) | instskip(NEXT) | instid1(VALU_DEP_1)
	v_fma_mix_f32 v32, v29, v29, v32 op_sel_hi:[1,1,0]
	v_fma_mix_f32 v32, v29, v29, v32 op_sel:[1,1,0] op_sel_hi:[1,1,0]
	v_lshrrev_b32_e32 v29, 16, v29
	s_delay_alu instid0(VALU_DEP_2) | instskip(NEXT) | instid1(VALU_DEP_2)
	v_fma_mix_f32 v32, v30, v30, v32 op_sel_hi:[1,1,0]
	v_cvt_f32_f16_e32 v29, v29
	s_delay_alu instid0(VALU_DEP_2) | instskip(SKIP_1) | instid1(VALU_DEP_2)
	v_fma_mix_f32 v32, v30, v30, v32 op_sel:[1,1,0] op_sel_hi:[1,1,0]
	v_lshrrev_b32_e32 v30, 16, v30
	v_fma_mix_f32 v32, v31, v31, v32 op_sel_hi:[1,1,0]
	s_delay_alu instid0(VALU_DEP_2) | instskip(NEXT) | instid1(VALU_DEP_2)
	v_cvt_f32_f16_e32 v30, v30
	v_fma_mix_f32 v32, v31, v31, v32 op_sel:[1,1,0] op_sel_hi:[1,1,0]
	v_cvt_f32_f16_e32 v31, v31
	ds_bpermute_b32 v33, v14, v32
	s_waitcnt lgkmcnt(0)
	v_add_f32_e32 v32, v32, v33
	ds_bpermute_b32 v33, v15, v32
	s_waitcnt lgkmcnt(0)
	v_add_f32_e32 v32, v32, v33
	;; [unrolled: 3-line block ×5, first 2 shown]
	v_cndmask_b32_e64 v33, v4, v0, s0
	s_delay_alu instid0(VALU_DEP_2) | instskip(NEXT) | instid1(VALU_DEP_2)
	v_fma_f32 v32, 0x3b800000, v32, s19
	v_cvt_f32_f16_e32 v33, v33
	s_delay_alu instid0(VALU_DEP_2) | instskip(SKIP_1) | instid1(VALU_DEP_1)
	v_mul_f32_e32 v34, 0x4b800000, v32
	v_cmp_gt_f32_e64 s1, 0x800000, v32
	v_cndmask_b32_e64 v32, v32, v34, s1
	v_cndmask_b32_e64 v34, v6, v2, s0
	s_delay_alu instid0(VALU_DEP_2) | instskip(NEXT) | instid1(VALU_DEP_1)
	v_rsq_f32_e32 v32, v32
	v_cvt_f32_f16_e32 v34, v34
	s_waitcnt_depctr 0xfff
	v_mul_f32_e32 v42, 0x45800000, v32
	s_delay_alu instid0(VALU_DEP_1) | instskip(SKIP_1) | instid1(VALU_DEP_2)
	v_cndmask_b32_e64 v32, v32, v42, s1
	v_cvt_f32_f16_e32 v42, v44
	v_mul_f32_e32 v37, v32, v37
	v_mul_f32_e32 v33, v32, v33
	;; [unrolled: 1-line block ×8, first 2 shown]
	v_dual_mul_f32 v32, v33, v28 :: v_dual_mul_f32 v33, v35, v9
	v_mul_f32_e32 v34, v36, v41
	v_mul_f32_e32 v35, v37, v29
	v_dual_mul_f32 v29, v44, v43 :: v_dual_mul_f32 v30, v38, v30
	v_dual_mul_f32 v31, v39, v31 :: v_dual_mul_f32 v28, v40, v42
	s_and_saveexec_b32 s0, vcc_lo
	s_cbranch_execz .LBB10_9
; %bb.11:                               ;   in Loop: Header=BB10_10 Depth=1
	ds_load_2addr_b32 v[36:37], v13 offset1:1
	ds_load_2addr_b32 v[38:39], v13 offset0:2 offset1:3
	ds_load_2addr_b32 v[40:41], v12 offset1:1
	ds_load_2addr_b32 v[42:43], v12 offset0:2 offset1:3
	s_waitcnt lgkmcnt(3)
	v_dual_mul_f32 v9, v33, v36 :: v_dual_mul_f32 v44, v35, v37
	v_dual_mul_f32 v36, v32, v36 :: v_dual_mul_f32 v37, v34, v37
	s_waitcnt lgkmcnt(2)
	v_dual_mul_f32 v45, v30, v38 :: v_dual_mul_f32 v46, v28, v39
	v_dual_mul_f32 v38, v29, v38 :: v_dual_mul_f32 v39, v31, v39
	s_waitcnt lgkmcnt(1)
	v_dual_fmac_f32 v36, v33, v40 :: v_dual_fmac_f32 v37, v35, v41
	v_fma_f32 v32, v32, v40, -v9
	s_waitcnt lgkmcnt(0)
	v_dual_fmac_f32 v38, v30, v42 :: v_dual_fmac_f32 v39, v28, v43
	v_fma_f32 v34, v34, v41, -v44
	v_fma_f32 v29, v29, v42, -v45
	;; [unrolled: 1-line block ×3, first 2 shown]
	s_delay_alu instid0(VALU_DEP_4)
	v_dual_mov_b32 v33, v36 :: v_dual_mov_b32 v30, v38
	v_dual_mov_b32 v35, v37 :: v_dual_mov_b32 v28, v39
	s_branch .LBB10_9
.LBB10_12:
	s_nop 0
	s_sendmsg sendmsg(MSG_DEALLOC_VGPRS)
	s_endpgm
	.section	.rodata,"a",@progbits
	.p2align	6, 0x0
	.amdhsa_kernel _ZN12tensorrt_llm7kernels32fusedQKNormRopeKernelNTokenHeadsIN3c104HalfEfLi256ELb1ELi2EEEvPviiifPKvS6_S6_PKlii
		.amdhsa_group_segment_fixed_size 0
		.amdhsa_private_segment_fixed_size 0
		.amdhsa_kernarg_size 320
		.amdhsa_user_sgpr_count 15
		.amdhsa_user_sgpr_dispatch_ptr 0
		.amdhsa_user_sgpr_queue_ptr 0
		.amdhsa_user_sgpr_kernarg_segment_ptr 1
		.amdhsa_user_sgpr_dispatch_id 0
		.amdhsa_user_sgpr_private_segment_size 0
		.amdhsa_wavefront_size32 1
		.amdhsa_uses_dynamic_stack 0
		.amdhsa_enable_private_segment 0
		.amdhsa_system_sgpr_workgroup_id_x 1
		.amdhsa_system_sgpr_workgroup_id_y 0
		.amdhsa_system_sgpr_workgroup_id_z 0
		.amdhsa_system_sgpr_workgroup_info 0
		.amdhsa_system_vgpr_workitem_id 0
		.amdhsa_next_free_vgpr 47
		.amdhsa_next_free_sgpr 21
		.amdhsa_reserve_vcc 1
		.amdhsa_float_round_mode_32 0
		.amdhsa_float_round_mode_16_64 0
		.amdhsa_float_denorm_mode_32 3
		.amdhsa_float_denorm_mode_16_64 3
		.amdhsa_dx10_clamp 1
		.amdhsa_ieee_mode 1
		.amdhsa_fp16_overflow 0
		.amdhsa_workgroup_processor_mode 1
		.amdhsa_memory_ordered 1
		.amdhsa_forward_progress 0
		.amdhsa_shared_vgpr_count 0
		.amdhsa_exception_fp_ieee_invalid_op 0
		.amdhsa_exception_fp_denorm_src 0
		.amdhsa_exception_fp_ieee_div_zero 0
		.amdhsa_exception_fp_ieee_overflow 0
		.amdhsa_exception_fp_ieee_underflow 0
		.amdhsa_exception_fp_ieee_inexact 0
		.amdhsa_exception_int_div_zero 0
	.end_amdhsa_kernel
	.section	.text._ZN12tensorrt_llm7kernels32fusedQKNormRopeKernelNTokenHeadsIN3c104HalfEfLi256ELb1ELi2EEEvPviiifPKvS6_S6_PKlii,"axG",@progbits,_ZN12tensorrt_llm7kernels32fusedQKNormRopeKernelNTokenHeadsIN3c104HalfEfLi256ELb1ELi2EEEvPviiifPKvS6_S6_PKlii,comdat
.Lfunc_end10:
	.size	_ZN12tensorrt_llm7kernels32fusedQKNormRopeKernelNTokenHeadsIN3c104HalfEfLi256ELb1ELi2EEEvPviiifPKvS6_S6_PKlii, .Lfunc_end10-_ZN12tensorrt_llm7kernels32fusedQKNormRopeKernelNTokenHeadsIN3c104HalfEfLi256ELb1ELi2EEEvPviiifPKvS6_S6_PKlii
                                        ; -- End function
	.section	.AMDGPU.csdata,"",@progbits
; Kernel info:
; codeLenInByte = 1960
; NumSgprs: 23
; NumVgprs: 47
; ScratchSize: 0
; MemoryBound: 0
; FloatMode: 240
; IeeeMode: 1
; LDSByteSize: 0 bytes/workgroup (compile time only)
; SGPRBlocks: 2
; VGPRBlocks: 5
; NumSGPRsForWavesPerEU: 23
; NumVGPRsForWavesPerEU: 47
; Occupancy: 16
; WaveLimiterHint : 0
; COMPUTE_PGM_RSRC2:SCRATCH_EN: 0
; COMPUTE_PGM_RSRC2:USER_SGPR: 15
; COMPUTE_PGM_RSRC2:TRAP_HANDLER: 0
; COMPUTE_PGM_RSRC2:TGID_X_EN: 1
; COMPUTE_PGM_RSRC2:TGID_Y_EN: 0
; COMPUTE_PGM_RSRC2:TGID_Z_EN: 0
; COMPUTE_PGM_RSRC2:TIDIG_COMP_CNT: 0
	.section	.text._ZN12tensorrt_llm7kernels32fusedQKNormRopeKernelNTokenHeadsIN3c104HalfEfLi256ELb0ELi2EEEvPviiifPKvS6_S6_PKlii,"axG",@progbits,_ZN12tensorrt_llm7kernels32fusedQKNormRopeKernelNTokenHeadsIN3c104HalfEfLi256ELb0ELi2EEEvPviiifPKvS6_S6_PKlii,comdat
	.protected	_ZN12tensorrt_llm7kernels32fusedQKNormRopeKernelNTokenHeadsIN3c104HalfEfLi256ELb0ELi2EEEvPviiifPKvS6_S6_PKlii ; -- Begin function _ZN12tensorrt_llm7kernels32fusedQKNormRopeKernelNTokenHeadsIN3c104HalfEfLi256ELb0ELi2EEEvPviiifPKvS6_S6_PKlii
	.globl	_ZN12tensorrt_llm7kernels32fusedQKNormRopeKernelNTokenHeadsIN3c104HalfEfLi256ELb0ELi2EEEvPviiifPKvS6_S6_PKlii
	.p2align	8
	.type	_ZN12tensorrt_llm7kernels32fusedQKNormRopeKernelNTokenHeadsIN3c104HalfEfLi256ELb0ELi2EEEvPviiifPKvS6_S6_PKlii,@function
_ZN12tensorrt_llm7kernels32fusedQKNormRopeKernelNTokenHeadsIN3c104HalfEfLi256ELb0ELi2EEEvPviiifPKvS6_S6_PKlii: ; @_ZN12tensorrt_llm7kernels32fusedQKNormRopeKernelNTokenHeadsIN3c104HalfEfLi256ELb0ELi2EEEvPviiifPKvS6_S6_PKlii
; %bb.0:
	s_clause 0x1
	s_load_b128 s[16:19], s[0:1], 0x8
	s_load_b64 s[2:3], s[0:1], 0x38
	s_waitcnt lgkmcnt(0)
	s_add_i32 s4, s17, s16
	s_delay_alu instid0(SALU_CYCLE_1) | instskip(NEXT) | instid1(SALU_CYCLE_1)
	s_add_i32 s5, s4, 1
	s_lshr_b32 s6, s5, 31
	s_delay_alu instid0(SALU_CYCLE_1) | instskip(NEXT) | instid1(SALU_CYCLE_1)
	s_add_i32 s5, s5, s6
	s_ashr_i32 s14, s5, 1
	s_load_b32 s5, s[0:1], 0x4c
	s_abs_i32 s6, s14
	s_delay_alu instid0(SALU_CYCLE_1) | instskip(SKIP_1) | instid1(VALU_DEP_1)
	v_cvt_f32_u32_e32 v1, s6
	s_sub_i32 s7, 0, s6
	v_rcp_iflag_f32_e32 v1, v1
	s_waitcnt_depctr 0xfff
	v_mul_f32_e32 v1, 0x4f7ffffe, v1
	s_waitcnt lgkmcnt(0)
	s_bfe_u32 s5, s5, 0xb0005
	s_delay_alu instid0(VALU_DEP_1) | instskip(SKIP_1) | instid1(VALU_DEP_2)
	v_cvt_u32_f32_e32 v4, v1
	v_lshrrev_b32_e32 v1, 5, v0
	v_mul_lo_u32 v5, s7, v4
	s_delay_alu instid0(VALU_DEP_2) | instskip(NEXT) | instid1(VALU_DEP_2)
	v_mad_u64_u32 v[2:3], null, s15, s5, v[1:2]
	v_mul_hi_u32 v3, v4, v5
	s_delay_alu instid0(VALU_DEP_2) | instskip(NEXT) | instid1(VALU_DEP_1)
	v_sub_nc_u32_e32 v5, 0, v2
	v_max_i32_e32 v5, v2, v5
	s_delay_alu instid0(VALU_DEP_3) | instskip(NEXT) | instid1(VALU_DEP_1)
	v_add_nc_u32_e32 v3, v4, v3
	v_mul_hi_u32 v3, v5, v3
	s_delay_alu instid0(VALU_DEP_1) | instskip(NEXT) | instid1(VALU_DEP_1)
	v_mul_lo_u32 v4, v3, s6
	v_sub_nc_u32_e32 v4, v5, v4
	v_add_nc_u32_e32 v5, 1, v3
	s_delay_alu instid0(VALU_DEP_2) | instskip(SKIP_1) | instid1(VALU_DEP_2)
	v_subrev_nc_u32_e32 v6, s6, v4
	v_cmp_le_u32_e32 vcc_lo, s6, v4
	v_dual_cndmask_b32 v4, v4, v6 :: v_dual_cndmask_b32 v3, v3, v5
	v_xor_b32_e32 v5, s14, v2
	s_delay_alu instid0(VALU_DEP_2) | instskip(NEXT) | instid1(VALU_DEP_3)
	v_cmp_le_u32_e32 vcc_lo, s6, v4
	v_add_nc_u32_e32 v6, 1, v3
	s_delay_alu instid0(VALU_DEP_3) | instskip(NEXT) | instid1(VALU_DEP_2)
	v_ashrrev_i32_e32 v5, 31, v5
	v_cndmask_b32_e32 v3, v3, v6, vcc_lo
	s_delay_alu instid0(VALU_DEP_1) | instskip(NEXT) | instid1(VALU_DEP_1)
	v_xor_b32_e32 v3, v3, v5
	v_sub_nc_u32_e32 v8, v3, v5
	s_delay_alu instid0(VALU_DEP_1)
	v_cmp_gt_i32_e32 vcc_lo, s2, v8
	s_and_saveexec_b32 s2, vcc_lo
	s_cbranch_execz .LBB11_12
; %bb.1:
	v_mul_lo_u32 v3, v8, s14
	s_load_b64 s[12:13], s[0:1], 0x0
	v_and_b32_e32 v19, 31, v0
	v_lshlrev_b32_e32 v14, 10, v1
	v_lshlrev_b32_e32 v13, 9, v2
	s_lshl_b32 s20, s3, 2
	s_delay_alu instid0(VALU_DEP_3) | instskip(SKIP_2) | instid1(VALU_DEP_1)
	v_lshlrev_b32_e32 v12, 4, v19
	v_sub_nc_u32_e32 v3, v2, v3
	s_mul_i32 s15, s20, s5
	v_lshlrev_b32_e32 v10, 1, v3
	s_delay_alu instid0(VALU_DEP_1) | instskip(SKIP_1) | instid1(VALU_DEP_2)
	v_add_nc_u32_e32 v3, 2, v10
	v_sub_nc_u32_e32 v4, s4, v10
	v_cmp_lt_i32_e32 vcc_lo, s4, v3
	s_delay_alu instid0(VALU_DEP_2) | instskip(NEXT) | instid1(VALU_DEP_1)
	v_cndmask_b32_e32 v11, 2, v4, vcc_lo
	v_cmp_lt_i32_e32 vcc_lo, 0, v11
	s_and_saveexec_b32 s4, vcc_lo
	s_cbranch_execz .LBB11_4
; %bb.2:
	s_add_i32 s2, s18, s17
	s_lshl_b32 s5, s14, 1
	s_add_i32 s2, s2, s16
	s_mov_b32 s6, 0
	s_sub_i32 s2, s2, s5
	s_mov_b32 s5, 0
	v_mul_lo_u32 v2, s2, v8
	s_add_i32 s2, s15, 0
	s_delay_alu instid0(SALU_CYCLE_1) | instskip(NEXT) | instid1(VALU_DEP_2)
	v_add3_u32 v4, s2, v14, v12
	v_lshl_add_u32 v2, v2, 8, v13
	s_delay_alu instid0(VALU_DEP_1)
	v_lshl_or_b32 v2, v19, 3, v2
	.p2align	6
.LBB11_3:                               ; =>This Inner Loop Header: Depth=1
	s_delay_alu instid0(VALU_DEP_1) | instskip(SKIP_1) | instid1(VALU_DEP_1)
	v_ashrrev_i32_e32 v3, 31, v2
	s_add_i32 s6, s6, 1
	v_lshlrev_b64 v[5:6], 1, v[2:3]
	v_add_nc_u32_e32 v2, 0x100, v2
	s_waitcnt lgkmcnt(0)
	s_delay_alu instid0(VALU_DEP_2) | instskip(NEXT) | instid1(VALU_DEP_1)
	v_add_co_u32 v5, s2, s12, v5
	v_add_co_ci_u32_e64 v6, s2, s13, v6, s2
	v_cmp_ge_i32_e64 s2, s6, v11
	global_load_b128 v[15:18], v[5:6], off
	s_or_b32 s5, s2, s5
	s_waitcnt vmcnt(0)
	ds_store_b128 v4, v[15:18]
	v_add_nc_u32_e32 v4, 0x200, v4
	s_and_not1_b32 exec_lo, exec_lo, s5
	s_cbranch_execnz .LBB11_3
.LBB11_4:
	s_or_b32 exec_lo, exec_lo, s4
	s_load_b256 s[4:11], s[0:1], 0x18
	s_add_i32 s0, s20, 15
	v_mul_lo_u32 v15, v1, s3
	s_ashr_i32 s1, s0, 31
	s_mov_b32 s20, exec_lo
	s_lshr_b32 s1, s1, 28
	s_delay_alu instid0(SALU_CYCLE_1) | instskip(NEXT) | instid1(SALU_CYCLE_1)
	s_add_i32 s0, s0, s1
	s_ashr_i32 s2, s0, 4
	s_delay_alu instid0(SALU_CYCLE_1)
	v_cmpx_gt_i32_e64 s2, v19
	s_cbranch_execz .LBB11_7
; %bb.5:
	v_ashrrev_i32_e32 v9, 31, v8
	s_delay_alu instid0(VALU_DEP_1) | instskip(SKIP_1) | instid1(VALU_DEP_1)
	v_lshlrev_b64 v[1:2], 3, v[8:9]
	s_waitcnt lgkmcnt(0)
	v_add_co_u32 v1, s0, s10, v1
	s_delay_alu instid0(VALU_DEP_1)
	v_add_co_ci_u32_e64 v2, s0, s11, v2, s0
	s_ashr_i32 s0, s3, 31
	global_load_b64 v[1:2], v[1:2], off
	s_waitcnt vmcnt(0)
	v_mul_lo_u32 v4, v2, s3
	v_mul_lo_u32 v5, v1, s0
	v_mad_u64_u32 v[2:3], null, v1, s3, 0
	s_delay_alu instid0(VALU_DEP_1) | instskip(SKIP_1) | instid1(VALU_DEP_2)
	v_add3_u32 v3, v3, v5, v4
	v_and_b32_e32 v4, 31, v0
	v_lshlrev_b64 v[0:1], 2, v[2:3]
	s_delay_alu instid0(VALU_DEP_2) | instskip(SKIP_1) | instid1(VALU_DEP_2)
	v_lshlrev_b32_e32 v2, 4, v4
	v_lshlrev_b32_e32 v3, 2, v15
	v_add_co_u32 v0, s0, v0, v2
	s_delay_alu instid0(VALU_DEP_1) | instskip(NEXT) | instid1(VALU_DEP_3)
	v_add_co_ci_u32_e64 v1, s0, 0, v1, s0
	v_add3_u32 v2, v3, v12, 0
	v_mov_b32_e32 v3, v19
	s_delay_alu instid0(VALU_DEP_4) | instskip(NEXT) | instid1(VALU_DEP_1)
	v_add_co_u32 v0, s0, s8, v0
	v_add_co_ci_u32_e64 v1, s0, s9, v1, s0
	s_mov_b32 s8, 0
	.p2align	6
.LBB11_6:                               ; =>This Inner Loop Header: Depth=1
	global_load_b128 v[4:7], v[0:1], off
	v_add_nc_u32_e32 v3, 32, v3
	v_add_co_u32 v0, s0, 0x200, v0
	s_delay_alu instid0(VALU_DEP_1) | instskip(NEXT) | instid1(VALU_DEP_3)
	v_add_co_ci_u32_e64 v1, s0, 0, v1, s0
	v_cmp_le_i32_e64 s1, s2, v3
	s_delay_alu instid0(VALU_DEP_1)
	s_or_b32 s8, s1, s8
	s_waitcnt vmcnt(0)
	ds_store_b128 v2, v[4:7]
	v_add_nc_u32_e32 v2, 0x200, v2
	s_and_not1_b32 exec_lo, exec_lo, s8
	s_cbranch_execnz .LBB11_6
.LBB11_7:
	s_or_b32 exec_lo, exec_lo, s20
	s_delay_alu instid0(SALU_CYCLE_1)
	s_and_b32 exec_lo, exec_lo, vcc_lo
	s_cbranch_execz .LBB11_12
; %bb.8:
	s_waitcnt lgkmcnt(0)
	s_clause 0x1
	global_load_b128 v[0:3], v12, s[4:5]
	global_load_b128 v[4:7], v12, s[6:7]
	s_abs_i32 s2, s3
	v_add_nc_u32_e32 v43, s15, v14
	v_cvt_f32_u32_e32 v14, s2
	v_lshl_add_u32 v9, v15, 2, 0
	v_mbcnt_lo_u32_b32 v15, -1, 0
	s_lshr_b32 s0, s3, 31
	s_ashr_i32 s1, s3, 31
	v_rcp_iflag_f32_e32 v14, v14
	s_add_i32 s0, s3, s0
	s_lshr_b32 s6, s1, 29
	s_lshr_b32 s1, s1, 28
	v_xor_b32_e32 v16, 16, v15
	s_lshl_b32 s0, s0, 1
	s_add_i32 s1, s3, s1
	s_sub_i32 s7, 0, s2
	s_and_b32 s0, s0, -4
	s_ashr_i32 s1, s1, 4
	s_waitcnt_depctr 0xfff
	v_mul_f32_e32 v14, 0x4f7ffffe, v14
	v_xor_b32_e32 v17, 8, v15
	v_add_nc_u32_e32 v34, s0, v9
	v_cmp_gt_i32_e64 s0, s1, v19
	s_add_i32 s4, s18, s17
	v_cvt_u32_f32_e32 v29, v14
	v_xor_b32_e32 v14, s1, v15
	v_cmp_gt_i32_e64 s1, 32, v16
	s_lshl_b32 s5, s14, 1
	s_add_i32 s4, s4, s16
	v_mul_lo_u32 v30, s7, v29
	s_add_i32 s6, s3, s6
	s_sub_i32 s3, s4, s5
	v_xor_b32_e32 v18, 4, v15
	v_cndmask_b32_e64 v16, v15, v16, s1
	v_cmp_gt_i32_e64 s1, 32, v17
	v_mul_lo_u32 v8, s3, v8
	v_xor_b32_e32 v27, 2, v15
	v_mul_hi_u32 v30, v29, v30
	v_xor_b32_e32 v28, 1, v15
	v_cndmask_b32_e64 v17, v15, v17, s1
	v_cmp_gt_i32_e64 s1, 32, v18
	s_ashr_i32 s4, s6, 3
	v_or_b32_e32 v20, 2, v12
	v_lshl_add_u32 v8, v8, 8, v13
	v_lshlrev_b32_e32 v13, 2, v16
	v_cndmask_b32_e64 v18, v15, v18, s1
	v_cmp_gt_i32_e64 s1, 32, v27
	v_add_nc_u32_e32 v29, v29, v30
	v_cmp_gt_i32_e32 vcc_lo, s4, v19
	v_lshl_or_b32 v8, v19, 3, v8
	v_or_b32_e32 v21, 4, v12
	v_cndmask_b32_e64 v27, v15, v27, s1
	v_cmp_gt_i32_e64 s1, 32, v28
	v_mul_hi_u32 v19, v12, v29
	v_or_b32_e32 v22, 6, v12
	v_or_b32_e32 v23, 8, v12
	v_lshlrev_b32_e32 v16, 2, v27
	v_cndmask_b32_e64 v28, v15, v28, s1
	v_cmp_gt_i32_e64 s1, 32, v14
	v_mul_hi_u32 v27, v20, v29
	v_or_b32_e32 v24, 10, v12
	v_mul_lo_u32 v19, v19, s2
	v_or_b32_e32 v25, 12, v12
	v_or_b32_e32 v26, 14, v12
	v_cndmask_b32_e64 v31, v15, v14, s1
	v_lshlrev_b32_e32 v14, 2, v17
	v_lshlrev_b32_e32 v17, 2, v28
	v_mul_hi_u32 v28, v21, v29
	v_mul_lo_u32 v27, v27, s2
	v_lshlrev_b32_e32 v15, 2, v18
	v_lshlrev_b32_e32 v18, 2, v31
	v_mul_hi_u32 v30, v22, v29
	v_mul_hi_u32 v31, v23, v29
	;; [unrolled: 1-line block ×5, first 2 shown]
	v_sub_nc_u32_e32 v19, v12, v19
	v_mul_lo_u32 v28, v28, s2
	v_sub_nc_u32_e32 v20, v20, v27
	v_mul_lo_u32 v30, v30, s2
	v_mul_lo_u32 v31, v31, s2
	v_subrev_nc_u32_e32 v27, s2, v19
	v_cmp_le_u32_e64 s1, s2, v19
	v_mul_lo_u32 v29, v29, s2
	v_mul_lo_u32 v32, v32, s2
	v_sub_nc_u32_e32 v21, v21, v28
	v_subrev_nc_u32_e32 v28, s2, v20
	v_cndmask_b32_e64 v19, v19, v27, s1
	v_cmp_le_u32_e64 s1, s2, v20
	v_sub_nc_u32_e32 v22, v22, v30
	v_sub_nc_u32_e32 v23, v23, v31
	;; [unrolled: 1-line block ×3, first 2 shown]
	v_subrev_nc_u32_e32 v29, s2, v21
	v_cndmask_b32_e64 v20, v20, v28, s1
	v_cmp_le_u32_e64 s1, s2, v21
	v_subrev_nc_u32_e32 v30, s2, v22
	v_mul_lo_u32 v33, v33, s2
	v_sub_nc_u32_e32 v24, v24, v32
	v_subrev_nc_u32_e32 v31, s2, v23
	v_cndmask_b32_e64 v21, v21, v29, s1
	v_cmp_le_u32_e64 s1, s2, v22
	v_subrev_nc_u32_e32 v35, s2, v26
	v_subrev_nc_u32_e32 v32, s2, v24
	v_subrev_nc_u32_e32 v27, s2, v19
	v_sub_nc_u32_e32 v25, v25, v33
	v_cndmask_b32_e64 v22, v22, v30, s1
	v_cmp_le_u32_e64 s1, s2, v23
	v_subrev_nc_u32_e32 v28, s2, v20
	v_subrev_nc_u32_e32 v29, s2, v21
	;; [unrolled: 1-line block ×4, first 2 shown]
	v_cndmask_b32_e64 v23, v23, v31, s1
	v_cmp_le_u32_e64 s1, s2, v24
	v_add3_u32 v12, v43, v12, 0
	s_mov_b32 s3, 0
	s_mov_b32 s4, 0
	v_subrev_nc_u32_e32 v31, s2, v23
	v_cndmask_b32_e64 v24, v24, v32, s1
	v_cmp_le_u32_e64 s1, s2, v25
	s_delay_alu instid0(VALU_DEP_2) | instskip(NEXT) | instid1(VALU_DEP_2)
	v_subrev_nc_u32_e32 v32, s2, v24
	v_cndmask_b32_e64 v25, v25, v33, s1
	v_cmp_le_u32_e64 s1, s2, v26
	s_delay_alu instid0(VALU_DEP_2) | instskip(NEXT) | instid1(VALU_DEP_2)
	;; [unrolled: 4-line block ×4, first 2 shown]
	v_lshlrev_b32_e32 v19, 1, v19
	v_cndmask_b32_e64 v20, v20, v28, s1
	v_cmp_le_u32_e64 s1, s2, v21
	s_delay_alu instid0(VALU_DEP_3) | instskip(NEXT) | instid1(VALU_DEP_3)
	v_and_b32_e32 v27, -4, v19
	v_lshlrev_b32_e32 v20, 1, v20
	s_delay_alu instid0(VALU_DEP_3) | instskip(SKIP_1) | instid1(VALU_DEP_4)
	v_cndmask_b32_e64 v21, v21, v29, s1
	v_cmp_le_u32_e64 s1, s2, v22
	v_add_nc_u32_e32 v19, v9, v27
	s_delay_alu instid0(VALU_DEP_4) | instskip(NEXT) | instid1(VALU_DEP_4)
	v_and_b32_e32 v28, -4, v20
	v_lshlrev_b32_e32 v21, 1, v21
	s_delay_alu instid0(VALU_DEP_4) | instskip(SKIP_2) | instid1(VALU_DEP_4)
	v_cndmask_b32_e64 v22, v22, v30, s1
	v_cmp_le_u32_e64 s1, s2, v23
	v_add_nc_u32_e32 v20, v34, v27
	v_and_b32_e32 v29, -4, v21
	s_delay_alu instid0(VALU_DEP_4) | instskip(NEXT) | instid1(VALU_DEP_4)
	v_lshlrev_b32_e32 v22, 1, v22
	v_cndmask_b32_e64 v23, v23, v31, s1
	v_cmp_le_u32_e64 s1, s2, v24
	v_add_nc_u32_e32 v21, v9, v28
	s_delay_alu instid0(VALU_DEP_4) | instskip(NEXT) | instid1(VALU_DEP_4)
	v_and_b32_e32 v30, -4, v22
	v_lshlrev_b32_e32 v23, 1, v23
	s_delay_alu instid0(VALU_DEP_4) | instskip(SKIP_2) | instid1(VALU_DEP_4)
	v_cndmask_b32_e64 v24, v24, v32, s1
	v_cmp_le_u32_e64 s1, s2, v25
	v_add_nc_u32_e32 v22, v34, v28
	v_and_b32_e32 v31, -4, v23
	s_delay_alu instid0(VALU_DEP_4) | instskip(NEXT) | instid1(VALU_DEP_4)
	v_lshlrev_b32_e32 v24, 1, v24
	v_cndmask_b32_e64 v25, v25, v33, s1
	v_cmp_le_u32_e64 s1, s2, v26
	v_add_nc_u32_e32 v23, v9, v29
	v_add_nc_u32_e32 v27, v9, v31
	v_and_b32_e32 v32, -4, v24
	v_lshlrev_b32_e32 v25, 1, v25
	v_cndmask_b32_e64 v26, v26, v35, s1
	v_add_nc_u32_e32 v24, v34, v29
	v_add_nc_u32_e32 v28, v34, v31
	;; [unrolled: 1-line block ×3, first 2 shown]
	v_and_b32_e32 v33, -4, v25
	v_lshlrev_b32_e32 v26, 1, v26
	v_add_nc_u32_e32 v25, v9, v30
	s_delay_alu instid0(VALU_DEP_3) | instskip(NEXT) | instid1(VALU_DEP_3)
	v_add_nc_u32_e32 v31, v9, v33
	v_and_b32_e32 v35, -4, v26
	v_add_nc_u32_e32 v26, v34, v30
	v_add_nc_u32_e32 v30, v34, v32
	;; [unrolled: 1-line block ×3, first 2 shown]
	s_delay_alu instid0(VALU_DEP_4)
	v_add_nc_u32_e32 v33, v9, v35
	v_add_nc_u32_e32 v34, v34, v35
	s_waitcnt vmcnt(1)
	v_lshrrev_b32_e32 v35, 16, v0
	v_lshrrev_b32_e32 v36, 16, v1
	;; [unrolled: 1-line block ×4, first 2 shown]
	s_waitcnt vmcnt(0)
	v_lshrrev_b32_e32 v39, 16, v4
	v_lshrrev_b32_e32 v40, 16, v5
	;; [unrolled: 1-line block ×4, first 2 shown]
	s_branch .LBB11_10
.LBB11_9:                               ;   in Loop: Header=BB11_10 Depth=1
	s_or_b32 exec_lo, exec_lo, s1
	v_ashrrev_i32_e32 v9, 31, v8
	v_cvt_f16_f32_e32 v51, v48
	v_cvt_f16_f32_e32 v52, v47
	;; [unrolled: 1-line block ×4, first 2 shown]
	v_lshlrev_b64 v[47:48], 1, v[8:9]
	v_cvt_f16_f32_e32 v9, v44
	v_cvt_f16_f32_e32 v44, v45
	;; [unrolled: 1-line block ×4, first 2 shown]
	s_add_i32 s4, s4, 1
	v_add_co_u32 v47, s1, s12, v47
	s_delay_alu instid0(VALU_DEP_1)
	v_add_co_ci_u32_e64 v48, s1, s13, v48, s1
	v_cmp_ge_i32_e64 s1, s4, v11
	v_pack_b32_f16 v46, v45, v43
	v_pack_b32_f16 v45, v9, v44
	;; [unrolled: 1-line block ×4, first 2 shown]
	v_add_nc_u32_e32 v8, 0x100, v8
	v_add_nc_u32_e32 v12, 0x200, v12
	s_or_b32 s3, s1, s3
	global_store_b128 v[47:48], v[43:46], off
	s_and_not1_b32 exec_lo, exec_lo, s3
	s_cbranch_execz .LBB11_12
.LBB11_10:                              ; =>This Inner Loop Header: Depth=1
	ds_load_b128 v[43:46], v12
	v_add_nc_u32_e32 v49, s4, v10
	s_delay_alu instid0(VALU_DEP_1) | instskip(NEXT) | instid1(VALU_DEP_1)
	v_cmp_gt_i32_e64 s1, s16, v49
	v_cndmask_b32_e64 v50, v39, v35, s1
	v_cndmask_b32_e64 v52, v40, v36, s1
	;; [unrolled: 1-line block ×5, first 2 shown]
	v_cvt_f32_f16_e32 v50, v50
	v_cndmask_b32_e64 v55, v42, v38, s1
	v_cvt_f32_f16_e32 v52, v52
	v_cvt_f32_f16_e32 v51, v51
	s_waitcnt lgkmcnt(0)
	v_lshrrev_b32_e32 v9, 16, v43
	v_lshrrev_b32_e32 v59, 16, v46
	v_cvt_f32_f16_e32 v53, v53
	v_cvt_f32_f16_e32 v54, v54
	;; [unrolled: 1-line block ×6, first 2 shown]
	s_delay_alu instid0(VALU_DEP_3) | instskip(NEXT) | instid1(VALU_DEP_1)
	v_mul_f32_e32 v47, v9, v9
	v_fma_mix_f32 v47, v43, v43, v47 op_sel_hi:[1,1,0]
	v_cvt_f32_f16_e32 v43, v43
	s_delay_alu instid0(VALU_DEP_2) | instskip(NEXT) | instid1(VALU_DEP_1)
	v_fma_mix_f32 v47, v44, v44, v47 op_sel_hi:[1,1,0]
	v_fma_mix_f32 v47, v44, v44, v47 op_sel:[1,1,0] op_sel_hi:[1,1,0]
	v_lshrrev_b32_e32 v44, 16, v44
	s_delay_alu instid0(VALU_DEP_2) | instskip(NEXT) | instid1(VALU_DEP_2)
	v_fma_mix_f32 v47, v45, v45, v47 op_sel_hi:[1,1,0]
	v_cvt_f32_f16_e32 v44, v44
	s_delay_alu instid0(VALU_DEP_2) | instskip(SKIP_1) | instid1(VALU_DEP_2)
	v_fma_mix_f32 v47, v45, v45, v47 op_sel:[1,1,0] op_sel_hi:[1,1,0]
	v_lshrrev_b32_e32 v45, 16, v45
	v_fma_mix_f32 v47, v46, v46, v47 op_sel_hi:[1,1,0]
	s_delay_alu instid0(VALU_DEP_2) | instskip(NEXT) | instid1(VALU_DEP_2)
	v_cvt_f32_f16_e32 v45, v45
	v_fma_mix_f32 v47, v46, v46, v47 op_sel:[1,1,0] op_sel_hi:[1,1,0]
	v_cvt_f32_f16_e32 v46, v46
	ds_bpermute_b32 v48, v13, v47
	s_waitcnt lgkmcnt(0)
	v_add_f32_e32 v47, v47, v48
	ds_bpermute_b32 v48, v14, v47
	s_waitcnt lgkmcnt(0)
	v_add_f32_e32 v47, v47, v48
	;; [unrolled: 3-line block ×5, first 2 shown]
	v_cndmask_b32_e64 v48, v4, v0, s1
	s_delay_alu instid0(VALU_DEP_2) | instskip(NEXT) | instid1(VALU_DEP_2)
	v_fma_f32 v47, 0x3b800000, v47, s19
	v_cvt_f32_f16_e32 v48, v48
	s_delay_alu instid0(VALU_DEP_2) | instskip(SKIP_1) | instid1(VALU_DEP_1)
	v_mul_f32_e32 v49, 0x4b800000, v47
	v_cmp_gt_f32_e64 s2, 0x800000, v47
	v_cndmask_b32_e64 v47, v47, v49, s2
	v_cndmask_b32_e64 v49, v6, v2, s1
	s_delay_alu instid0(VALU_DEP_2) | instskip(NEXT) | instid1(VALU_DEP_1)
	v_rsq_f32_e32 v47, v47
	v_cvt_f32_f16_e32 v49, v49
	s_waitcnt_depctr 0xfff
	v_mul_f32_e32 v57, 0x45800000, v47
	s_delay_alu instid0(VALU_DEP_1) | instskip(SKIP_1) | instid1(VALU_DEP_2)
	v_cndmask_b32_e64 v47, v47, v57, s2
	v_cvt_f32_f16_e32 v57, v59
	v_mul_f32_e32 v52, v47, v52
	v_mul_f32_e32 v48, v47, v48
	;; [unrolled: 1-line block ×6, first 2 shown]
	s_delay_alu instid0(VALU_DEP_4) | instskip(SKIP_2) | instid1(VALU_DEP_4)
	v_dual_mul_f32 v54, v47, v54 :: v_dual_mul_f32 v49, v50, v9
	v_mul_f32_e32 v55, v47, v55
	v_mul_f32_e32 v48, v48, v43
	v_dual_mul_f32 v50, v51, v56 :: v_dual_mul_f32 v45, v53, v45
	v_dual_mul_f32 v47, v52, v44 :: v_dual_mul_f32 v44, v59, v58
	s_delay_alu instid0(VALU_DEP_4)
	v_dual_mul_f32 v46, v54, v46 :: v_dual_mul_f32 v43, v55, v57
	s_and_saveexec_b32 s1, vcc_lo
	s_cbranch_execz .LBB11_9
; %bb.11:                               ;   in Loop: Header=BB11_10 Depth=1
	ds_bpermute_b32 v9, v18, v48
	ds_bpermute_b32 v51, v18, v49
	;; [unrolled: 1-line block ×3, first 2 shown]
	; wave barrier
	ds_load_b32 v54, v19
	ds_load_b32 v55, v20
	;; [unrolled: 1-line block ×8, first 2 shown]
	ds_bpermute_b32 v53, v18, v47
	ds_bpermute_b32 v62, v18, v44
	;; [unrolled: 1-line block ×5, first 2 shown]
	ds_load_b32 v66, v27
	ds_load_b32 v67, v28
	;; [unrolled: 1-line block ×8, first 2 shown]
	; wave barrier
	s_waitcnt lgkmcnt(23)
	v_cndmask_b32_e64 v9, v9, -v9, s0
	s_waitcnt lgkmcnt(22)
	v_cndmask_b32_e64 v51, v51, -v51, s0
	;; [unrolled: 2-line block ×3, first 2 shown]
	s_waitcnt lgkmcnt(15)
	s_delay_alu instid0(VALU_DEP_1) | instskip(SKIP_1) | instid1(VALU_DEP_2)
	v_dual_mul_f32 v51, v51, v57 :: v_dual_mul_f32 v52, v52, v59
	v_mul_f32_e32 v9, v9, v55
	v_dual_fmac_f32 v51, v49, v56 :: v_dual_fmac_f32 v52, v50, v58
	s_waitcnt lgkmcnt(11)
	v_cndmask_b32_e64 v49, v62, -v62, s0
	s_delay_alu instid0(VALU_DEP_3)
	v_fmac_f32_e32 v9, v48, v54
	v_cndmask_b32_e64 v48, v53, -v53, s0
	s_waitcnt lgkmcnt(10)
	v_cndmask_b32_e64 v50, v63, -v63, s0
	s_waitcnt lgkmcnt(9)
	;; [unrolled: 2-line block ×3, first 2 shown]
	v_mul_f32_e32 v56, v49, v67
	v_cndmask_b32_e64 v54, v65, -v65, s0
	v_dual_mul_f32 v55, v48, v61 :: v_dual_mov_b32 v48, v9
	s_waitcnt lgkmcnt(4)
	s_delay_alu instid0(VALU_DEP_3) | instskip(SKIP_3) | instid1(VALU_DEP_3)
	v_dual_mul_f32 v57, v50, v69 :: v_dual_fmac_f32 v56, v44, v66
	s_waitcnt lgkmcnt(2)
	v_dual_mul_f32 v54, v54, v71 :: v_dual_mul_f32 v53, v53, v70
	v_dual_fmac_f32 v55, v47, v60 :: v_dual_mov_b32 v50, v52
	v_dual_fmac_f32 v57, v45, v68 :: v_dual_mov_b32 v44, v56
	s_waitcnt lgkmcnt(0)
	s_delay_alu instid0(VALU_DEP_3) | instskip(SKIP_3) | instid1(VALU_DEP_4)
	v_dual_fmac_f32 v54, v43, v73 :: v_dual_fmac_f32 v53, v46, v72
	v_mov_b32_e32 v49, v51
	v_mov_b32_e32 v47, v55
	;; [unrolled: 1-line block ×3, first 2 shown]
	v_dual_mov_b32 v43, v54 :: v_dual_mov_b32 v46, v53
	s_branch .LBB11_9
.LBB11_12:
	s_nop 0
	s_sendmsg sendmsg(MSG_DEALLOC_VGPRS)
	s_endpgm
	.section	.rodata,"a",@progbits
	.p2align	6, 0x0
	.amdhsa_kernel _ZN12tensorrt_llm7kernels32fusedQKNormRopeKernelNTokenHeadsIN3c104HalfEfLi256ELb0ELi2EEEvPviiifPKvS6_S6_PKlii
		.amdhsa_group_segment_fixed_size 0
		.amdhsa_private_segment_fixed_size 0
		.amdhsa_kernarg_size 320
		.amdhsa_user_sgpr_count 15
		.amdhsa_user_sgpr_dispatch_ptr 0
		.amdhsa_user_sgpr_queue_ptr 0
		.amdhsa_user_sgpr_kernarg_segment_ptr 1
		.amdhsa_user_sgpr_dispatch_id 0
		.amdhsa_user_sgpr_private_segment_size 0
		.amdhsa_wavefront_size32 1
		.amdhsa_uses_dynamic_stack 0
		.amdhsa_enable_private_segment 0
		.amdhsa_system_sgpr_workgroup_id_x 1
		.amdhsa_system_sgpr_workgroup_id_y 0
		.amdhsa_system_sgpr_workgroup_id_z 0
		.amdhsa_system_sgpr_workgroup_info 0
		.amdhsa_system_vgpr_workitem_id 0
		.amdhsa_next_free_vgpr 74
		.amdhsa_next_free_sgpr 21
		.amdhsa_reserve_vcc 1
		.amdhsa_float_round_mode_32 0
		.amdhsa_float_round_mode_16_64 0
		.amdhsa_float_denorm_mode_32 3
		.amdhsa_float_denorm_mode_16_64 3
		.amdhsa_dx10_clamp 1
		.amdhsa_ieee_mode 1
		.amdhsa_fp16_overflow 0
		.amdhsa_workgroup_processor_mode 1
		.amdhsa_memory_ordered 1
		.amdhsa_forward_progress 0
		.amdhsa_shared_vgpr_count 0
		.amdhsa_exception_fp_ieee_invalid_op 0
		.amdhsa_exception_fp_denorm_src 0
		.amdhsa_exception_fp_ieee_div_zero 0
		.amdhsa_exception_fp_ieee_overflow 0
		.amdhsa_exception_fp_ieee_underflow 0
		.amdhsa_exception_fp_ieee_inexact 0
		.amdhsa_exception_int_div_zero 0
	.end_amdhsa_kernel
	.section	.text._ZN12tensorrt_llm7kernels32fusedQKNormRopeKernelNTokenHeadsIN3c104HalfEfLi256ELb0ELi2EEEvPviiifPKvS6_S6_PKlii,"axG",@progbits,_ZN12tensorrt_llm7kernels32fusedQKNormRopeKernelNTokenHeadsIN3c104HalfEfLi256ELb0ELi2EEEvPviiifPKvS6_S6_PKlii,comdat
.Lfunc_end11:
	.size	_ZN12tensorrt_llm7kernels32fusedQKNormRopeKernelNTokenHeadsIN3c104HalfEfLi256ELb0ELi2EEEvPviiifPKvS6_S6_PKlii, .Lfunc_end11-_ZN12tensorrt_llm7kernels32fusedQKNormRopeKernelNTokenHeadsIN3c104HalfEfLi256ELb0ELi2EEEvPviiifPKvS6_S6_PKlii
                                        ; -- End function
	.section	.AMDGPU.csdata,"",@progbits
; Kernel info:
; codeLenInByte = 3016
; NumSgprs: 23
; NumVgprs: 74
; ScratchSize: 0
; MemoryBound: 0
; FloatMode: 240
; IeeeMode: 1
; LDSByteSize: 0 bytes/workgroup (compile time only)
; SGPRBlocks: 2
; VGPRBlocks: 9
; NumSGPRsForWavesPerEU: 23
; NumVGPRsForWavesPerEU: 74
; Occupancy: 16
; WaveLimiterHint : 0
; COMPUTE_PGM_RSRC2:SCRATCH_EN: 0
; COMPUTE_PGM_RSRC2:USER_SGPR: 15
; COMPUTE_PGM_RSRC2:TRAP_HANDLER: 0
; COMPUTE_PGM_RSRC2:TGID_X_EN: 1
; COMPUTE_PGM_RSRC2:TGID_Y_EN: 0
; COMPUTE_PGM_RSRC2:TGID_Z_EN: 0
; COMPUTE_PGM_RSRC2:TIDIG_COMP_CNT: 0
	.section	.text._ZN12tensorrt_llm7kernels32fusedQKNormRopeKernelNTokenHeadsIN3c104HalfEfLi64ELb1ELi4EEEvPviiifPKvS6_S6_PKlii,"axG",@progbits,_ZN12tensorrt_llm7kernels32fusedQKNormRopeKernelNTokenHeadsIN3c104HalfEfLi64ELb1ELi4EEEvPviiifPKvS6_S6_PKlii,comdat
	.protected	_ZN12tensorrt_llm7kernels32fusedQKNormRopeKernelNTokenHeadsIN3c104HalfEfLi64ELb1ELi4EEEvPviiifPKvS6_S6_PKlii ; -- Begin function _ZN12tensorrt_llm7kernels32fusedQKNormRopeKernelNTokenHeadsIN3c104HalfEfLi64ELb1ELi4EEEvPviiifPKvS6_S6_PKlii
	.globl	_ZN12tensorrt_llm7kernels32fusedQKNormRopeKernelNTokenHeadsIN3c104HalfEfLi64ELb1ELi4EEEvPviiifPKvS6_S6_PKlii
	.p2align	8
	.type	_ZN12tensorrt_llm7kernels32fusedQKNormRopeKernelNTokenHeadsIN3c104HalfEfLi64ELb1ELi4EEEvPviiifPKvS6_S6_PKlii,@function
_ZN12tensorrt_llm7kernels32fusedQKNormRopeKernelNTokenHeadsIN3c104HalfEfLi64ELb1ELi4EEEvPviiifPKvS6_S6_PKlii: ; @_ZN12tensorrt_llm7kernels32fusedQKNormRopeKernelNTokenHeadsIN3c104HalfEfLi64ELb1ELi4EEEvPviiifPKvS6_S6_PKlii
; %bb.0:
	s_clause 0x1
	s_load_b128 s[16:19], s[0:1], 0x8
	s_load_b64 s[2:3], s[0:1], 0x38
	v_lshrrev_b32_e32 v2, 5, v0
	s_waitcnt lgkmcnt(0)
	s_add_i32 s4, s17, s16
	s_delay_alu instid0(SALU_CYCLE_1) | instskip(NEXT) | instid1(SALU_CYCLE_1)
	s_add_i32 s5, s4, 3
	s_ashr_i32 s6, s5, 31
	s_delay_alu instid0(SALU_CYCLE_1) | instskip(NEXT) | instid1(SALU_CYCLE_1)
	s_lshr_b32 s6, s6, 30
	s_add_i32 s5, s5, s6
	s_delay_alu instid0(SALU_CYCLE_1) | instskip(SKIP_2) | instid1(SALU_CYCLE_1)
	s_ashr_i32 s14, s5, 2
	s_load_b32 s5, s[0:1], 0x4c
	s_abs_i32 s6, s14
	v_cvt_f32_u32_e32 v1, s6
	s_sub_i32 s7, 0, s6
	s_delay_alu instid0(VALU_DEP_1) | instskip(SKIP_4) | instid1(SALU_CYCLE_1)
	v_rcp_iflag_f32_e32 v1, v1
	s_waitcnt_depctr 0xfff
	v_mul_f32_e32 v1, 0x4f7ffffe, v1
	s_waitcnt lgkmcnt(0)
	s_bfe_u32 s5, s5, 0xb0005
	v_mad_u64_u32 v[3:4], null, s15, s5, v[2:3]
	s_delay_alu instid0(VALU_DEP_2) | instskip(NEXT) | instid1(VALU_DEP_1)
	v_cvt_u32_f32_e32 v1, v1
	v_mul_lo_u32 v5, s7, v1
	s_delay_alu instid0(VALU_DEP_1) | instskip(NEXT) | instid1(VALU_DEP_4)
	v_mul_hi_u32 v4, v1, v5
	v_sub_nc_u32_e32 v5, 0, v3
	s_delay_alu instid0(VALU_DEP_1) | instskip(NEXT) | instid1(VALU_DEP_3)
	v_max_i32_e32 v5, v3, v5
	v_add_nc_u32_e32 v1, v1, v4
	s_delay_alu instid0(VALU_DEP_1) | instskip(NEXT) | instid1(VALU_DEP_1)
	v_mul_hi_u32 v1, v5, v1
	v_mul_lo_u32 v4, v1, s6
	s_delay_alu instid0(VALU_DEP_1) | instskip(SKIP_1) | instid1(VALU_DEP_2)
	v_sub_nc_u32_e32 v4, v5, v4
	v_add_nc_u32_e32 v5, 1, v1
	v_subrev_nc_u32_e32 v6, s6, v4
	v_cmp_le_u32_e32 vcc_lo, s6, v4
	s_delay_alu instid0(VALU_DEP_2) | instskip(SKIP_1) | instid1(VALU_DEP_2)
	v_dual_cndmask_b32 v4, v4, v6 :: v_dual_cndmask_b32 v1, v1, v5
	v_xor_b32_e32 v5, s14, v3
	v_cmp_le_u32_e32 vcc_lo, s6, v4
	s_delay_alu instid0(VALU_DEP_3) | instskip(NEXT) | instid1(VALU_DEP_3)
	v_add_nc_u32_e32 v6, 1, v1
	v_ashrrev_i32_e32 v5, 31, v5
	s_delay_alu instid0(VALU_DEP_2) | instskip(NEXT) | instid1(VALU_DEP_1)
	v_cndmask_b32_e32 v1, v1, v6, vcc_lo
	v_xor_b32_e32 v1, v1, v5
	s_delay_alu instid0(VALU_DEP_1) | instskip(NEXT) | instid1(VALU_DEP_1)
	v_sub_nc_u32_e32 v1, v1, v5
	v_cmp_gt_i32_e32 vcc_lo, s2, v1
	s_and_saveexec_b32 s2, vcc_lo
	s_cbranch_execz .LBB12_12
; %bb.1:
	v_mul_lo_u32 v4, v1, s14
	s_load_b64 s[12:13], s[0:1], 0x0
	v_and_b32_e32 v0, 31, v0
	v_lshlrev_b32_e32 v9, 9, v2
	v_lshlrev_b32_e32 v8, 8, v3
	s_lshl_b32 s20, s3, 2
	s_delay_alu instid0(VALU_DEP_3) | instskip(SKIP_2) | instid1(VALU_DEP_1)
	v_lshlrev_b32_e32 v7, 2, v0
	v_sub_nc_u32_e32 v4, v3, v4
	s_mul_i32 s15, s20, s5
	v_lshlrev_b32_e32 v5, 2, v4
	s_delay_alu instid0(VALU_DEP_1) | instskip(SKIP_1) | instid1(VALU_DEP_2)
	v_add_nc_u32_e32 v4, 4, v5
	v_sub_nc_u32_e32 v6, s4, v5
	v_cmp_lt_i32_e32 vcc_lo, s4, v4
	s_delay_alu instid0(VALU_DEP_2) | instskip(NEXT) | instid1(VALU_DEP_1)
	v_cndmask_b32_e32 v6, 4, v6, vcc_lo
	v_cmp_lt_i32_e32 vcc_lo, 0, v6
	s_and_saveexec_b32 s4, vcc_lo
	s_cbranch_execz .LBB12_4
; %bb.2:
	s_add_i32 s2, s18, s17
	s_lshl_b32 s5, s14, 2
	s_add_i32 s2, s2, s16
	s_mov_b32 s6, 0
	s_sub_i32 s2, s2, s5
	s_mov_b32 s5, 0
	v_mul_lo_u32 v3, s2, v1
	s_add_i32 s2, s15, 0
	s_delay_alu instid0(SALU_CYCLE_1) | instskip(NEXT) | instid1(VALU_DEP_2)
	v_add3_u32 v10, s2, v9, v7
	v_lshl_add_u32 v3, v3, 6, v8
	s_delay_alu instid0(VALU_DEP_1)
	v_lshl_or_b32 v3, v0, 1, v3
	.p2align	6
.LBB12_3:                               ; =>This Inner Loop Header: Depth=1
	s_delay_alu instid0(VALU_DEP_1) | instskip(SKIP_1) | instid1(VALU_DEP_1)
	v_ashrrev_i32_e32 v4, 31, v3
	s_add_i32 s6, s6, 1
	v_lshlrev_b64 v[11:12], 1, v[3:4]
	v_add_nc_u32_e32 v3, 64, v3
	s_waitcnt lgkmcnt(0)
	s_delay_alu instid0(VALU_DEP_2) | instskip(NEXT) | instid1(VALU_DEP_1)
	v_add_co_u32 v11, s2, s12, v11
	v_add_co_ci_u32_e64 v12, s2, s13, v12, s2
	v_cmp_ge_i32_e64 s2, s6, v6
	global_load_b32 v4, v[11:12], off
	s_or_b32 s5, s2, s5
	s_waitcnt vmcnt(0)
	ds_store_b32 v10, v4
	v_add_nc_u32_e32 v10, 0x80, v10
	s_and_not1_b32 exec_lo, exec_lo, s5
	s_cbranch_execnz .LBB12_3
.LBB12_4:
	s_or_b32 exec_lo, exec_lo, s4
	s_load_b256 s[4:11], s[0:1], 0x18
	v_mul_lo_u32 v2, v2, s3
	s_add_i32 s0, s20, 15
	s_mov_b32 s20, exec_lo
	s_ashr_i32 s1, s0, 31
	s_delay_alu instid0(SALU_CYCLE_1) | instskip(NEXT) | instid1(SALU_CYCLE_1)
	s_lshr_b32 s1, s1, 28
	s_add_i32 s0, s0, s1
	s_delay_alu instid0(VALU_DEP_1) | instskip(SKIP_1) | instid1(SALU_CYCLE_1)
	v_lshlrev_b32_e32 v4, 2, v2
	s_ashr_i32 s2, s0, 4
	v_cmpx_gt_i32_e64 s2, v0
	s_cbranch_execz .LBB12_7
; %bb.5:
	v_ashrrev_i32_e32 v2, 31, v1
	s_delay_alu instid0(VALU_DEP_1) | instskip(SKIP_1) | instid1(VALU_DEP_1)
	v_lshlrev_b64 v[2:3], 3, v[1:2]
	s_waitcnt lgkmcnt(0)
	v_add_co_u32 v2, s0, s10, v2
	s_delay_alu instid0(VALU_DEP_1)
	v_add_co_ci_u32_e64 v3, s0, s11, v3, s0
	s_ashr_i32 s0, s3, 31
	global_load_b64 v[2:3], v[2:3], off
	s_waitcnt vmcnt(0)
	v_mul_lo_u32 v3, v3, s3
	v_mul_lo_u32 v12, v2, s0
	v_mad_u64_u32 v[10:11], null, v2, s3, 0
	s_delay_alu instid0(VALU_DEP_1) | instskip(NEXT) | instid1(VALU_DEP_1)
	v_add3_u32 v11, v11, v12, v3
	v_lshlrev_b64 v[2:3], 2, v[10:11]
	v_dual_mov_b32 v11, v0 :: v_dual_lshlrev_b32 v10, 4, v0
	s_delay_alu instid0(VALU_DEP_1) | instskip(NEXT) | instid1(VALU_DEP_1)
	v_add_co_u32 v2, s0, v2, v10
	v_add_co_ci_u32_e64 v3, s0, 0, v3, s0
	v_add3_u32 v10, v4, v10, 0
	s_delay_alu instid0(VALU_DEP_3) | instskip(NEXT) | instid1(VALU_DEP_1)
	v_add_co_u32 v2, s0, s8, v2
	v_add_co_ci_u32_e64 v3, s0, s9, v3, s0
	s_mov_b32 s8, 0
	.p2align	6
.LBB12_6:                               ; =>This Inner Loop Header: Depth=1
	global_load_b128 v[12:15], v[2:3], off
	v_add_nc_u32_e32 v11, 32, v11
	v_add_co_u32 v2, s0, 0x200, v2
	s_delay_alu instid0(VALU_DEP_1) | instskip(NEXT) | instid1(VALU_DEP_3)
	v_add_co_ci_u32_e64 v3, s0, 0, v3, s0
	v_cmp_le_i32_e64 s1, s2, v11
	s_delay_alu instid0(VALU_DEP_1)
	s_or_b32 s8, s1, s8
	s_waitcnt vmcnt(0)
	ds_store_b128 v10, v[12:15]
	v_add_nc_u32_e32 v10, 0x200, v10
	s_and_not1_b32 exec_lo, exec_lo, s8
	s_cbranch_execnz .LBB12_6
.LBB12_7:
	s_or_b32 exec_lo, exec_lo, s20
	s_delay_alu instid0(SALU_CYCLE_1)
	s_and_b32 exec_lo, exec_lo, vcc_lo
	s_cbranch_execz .LBB12_12
; %bb.8:
	s_waitcnt lgkmcnt(0)
	s_clause 0x1
	global_load_b32 v2, v7, s[4:5]
	global_load_b32 v3, v7, s[6:7]
	v_mbcnt_lo_u32_b32 v10, -1, 0
	s_lshr_b32 s0, s3, 31
	v_add3_u32 v4, 0, v4, v7
	s_add_i32 s0, s3, s0
	v_add_nc_u32_e32 v16, s15, v9
	v_xor_b32_e32 v11, 16, v10
	s_ashr_i32 s0, s0, 1
	v_xor_b32_e32 v12, 8, v10
	v_cmp_gt_i32_e32 vcc_lo, s0, v0
	v_lshl_add_u32 v9, s0, 2, v4
	v_cmp_gt_i32_e64 s0, 32, v11
	v_xor_b32_e32 v13, 4, v10
	v_xor_b32_e32 v14, 2, v10
	s_add_i32 s1, s18, s17
	s_lshl_b32 s2, s14, 2
	v_cndmask_b32_e64 v11, v10, v11, s0
	v_cmp_gt_i32_e64 s0, 32, v12
	s_add_i32 s1, s1, s16
	v_xor_b32_e32 v15, 1, v10
	s_sub_i32 s1, s1, s2
	v_add3_u32 v7, v16, v7, 0
	v_cndmask_b32_e64 v12, v10, v12, s0
	v_cmp_gt_i32_e64 s0, 32, v13
	v_mul_lo_u32 v1, s1, v1
	s_mov_b32 s2, 0
	s_mov_b32 s3, 0
	s_delay_alu instid0(VALU_DEP_2) | instskip(SKIP_1) | instid1(VALU_DEP_3)
	v_cndmask_b32_e64 v13, v10, v13, s0
	v_cmp_gt_i32_e64 s0, 32, v14
	v_lshl_add_u32 v1, v1, 6, v8
	v_lshlrev_b32_e32 v8, 2, v11
	s_delay_alu instid0(VALU_DEP_3) | instskip(SKIP_3) | instid1(VALU_DEP_3)
	v_cndmask_b32_e64 v14, v10, v14, s0
	v_cmp_gt_i32_e64 s0, 32, v15
	v_lshlrev_b32_e32 v11, 2, v13
	v_lshl_or_b32 v0, v0, 1, v1
	v_cndmask_b32_e64 v15, v10, v15, s0
	v_lshlrev_b32_e32 v10, 2, v12
	v_lshlrev_b32_e32 v12, 2, v14
	s_delay_alu instid0(VALU_DEP_3)
	v_lshlrev_b32_e32 v13, 2, v15
	s_waitcnt vmcnt(1)
	v_lshrrev_b32_e32 v14, 16, v2
	s_waitcnt vmcnt(0)
	v_lshrrev_b32_e32 v15, 16, v3
	s_branch .LBB12_10
.LBB12_9:                               ;   in Loop: Header=BB12_10 Depth=1
	s_or_b32 exec_lo, exec_lo, s0
	v_ashrrev_i32_e32 v1, 31, v0
	s_delay_alu instid0(VALU_DEP_2)
	v_cvt_f16_f32_e32 v18, v17
	v_cvt_f16_f32_e32 v19, v16
	s_add_i32 s3, s3, 1
	v_add_nc_u32_e32 v7, 0x80, v7
	v_lshlrev_b64 v[16:17], 1, v[0:1]
	v_cmp_ge_i32_e64 s0, s3, v6
	v_pack_b32_f16 v1, v18, v19
	v_add_nc_u32_e32 v0, 64, v0
	s_delay_alu instid0(VALU_DEP_3) | instskip(NEXT) | instid1(VALU_DEP_4)
	s_or_b32 s2, s0, s2
	v_add_co_u32 v16, s1, s12, v16
	s_delay_alu instid0(VALU_DEP_1)
	v_add_co_ci_u32_e64 v17, s1, s13, v17, s1
	global_store_b32 v[16:17], v1, off
	s_and_not1_b32 exec_lo, exec_lo, s2
	s_cbranch_execz .LBB12_12
.LBB12_10:                              ; =>This Inner Loop Header: Depth=1
	ds_load_b32 v1, v7
	s_waitcnt lgkmcnt(0)
	v_cvt_f32_f16_e32 v16, v1
	s_delay_alu instid0(VALU_DEP_1) | instskip(NEXT) | instid1(VALU_DEP_1)
	v_mul_f32_e32 v17, v16, v16
	v_fma_mix_f32 v17, v1, v1, v17 op_sel:[1,1,0] op_sel_hi:[1,1,0]
	v_lshrrev_b32_e32 v1, 16, v1
	ds_bpermute_b32 v18, v8, v17
	v_cvt_f32_f16_e32 v1, v1
	s_waitcnt lgkmcnt(0)
	v_add_f32_e32 v17, v17, v18
	ds_bpermute_b32 v18, v10, v17
	s_waitcnt lgkmcnt(0)
	v_add_f32_e32 v17, v17, v18
	ds_bpermute_b32 v18, v11, v17
	;; [unrolled: 3-line block ×4, first 2 shown]
	s_waitcnt lgkmcnt(0)
	v_add_f32_e32 v17, v17, v18
	s_delay_alu instid0(VALU_DEP_1) | instskip(NEXT) | instid1(VALU_DEP_1)
	v_fma_f32 v17, 0x3c800000, v17, s19
	v_mul_f32_e32 v18, 0x4b800000, v17
	v_cmp_gt_f32_e64 s0, 0x800000, v17
	s_delay_alu instid0(VALU_DEP_1) | instskip(SKIP_1) | instid1(VALU_DEP_2)
	v_cndmask_b32_e64 v17, v17, v18, s0
	v_add_nc_u32_e32 v18, s3, v5
	v_rsq_f32_e32 v17, v17
	s_delay_alu instid0(VALU_DEP_1) | instskip(NEXT) | instid1(VALU_DEP_1)
	v_cmp_gt_i32_e64 s1, s16, v18
	v_cndmask_b32_e64 v18, v3, v2, s1
	v_cndmask_b32_e64 v20, v15, v14, s1
	s_delay_alu instid0(VALU_DEP_2) | instskip(SKIP_2) | instid1(VALU_DEP_1)
	v_cvt_f32_f16_e32 v18, v18
	s_waitcnt_depctr 0xfff
	v_mul_f32_e32 v19, 0x45800000, v17
	v_cndmask_b32_e64 v17, v17, v19, s0
	v_cvt_f32_f16_e32 v19, v20
	s_delay_alu instid0(VALU_DEP_2) | instskip(NEXT) | instid1(VALU_DEP_2)
	v_mul_f32_e32 v18, v17, v18
	v_mul_f32_e32 v19, v17, v19
	s_delay_alu instid0(VALU_DEP_1)
	v_dual_mul_f32 v17, v18, v16 :: v_dual_mul_f32 v16, v19, v1
	s_and_saveexec_b32 s0, vcc_lo
	s_cbranch_execz .LBB12_9
; %bb.11:                               ;   in Loop: Header=BB12_10 Depth=1
	ds_load_b32 v1, v9
	ds_load_b32 v18, v4
	s_waitcnt lgkmcnt(1)
	v_mul_f32_e32 v19, v16, v1
	v_mul_f32_e32 v1, v17, v1
	s_waitcnt lgkmcnt(0)
	s_delay_alu instid0(VALU_DEP_1) | instskip(NEXT) | instid1(VALU_DEP_1)
	v_fmac_f32_e32 v1, v16, v18
	v_mov_b32_e32 v16, v1
	v_fma_f32 v17, v17, v18, -v19
	s_branch .LBB12_9
.LBB12_12:
	s_nop 0
	s_sendmsg sendmsg(MSG_DEALLOC_VGPRS)
	s_endpgm
	.section	.rodata,"a",@progbits
	.p2align	6, 0x0
	.amdhsa_kernel _ZN12tensorrt_llm7kernels32fusedQKNormRopeKernelNTokenHeadsIN3c104HalfEfLi64ELb1ELi4EEEvPviiifPKvS6_S6_PKlii
		.amdhsa_group_segment_fixed_size 0
		.amdhsa_private_segment_fixed_size 0
		.amdhsa_kernarg_size 320
		.amdhsa_user_sgpr_count 15
		.amdhsa_user_sgpr_dispatch_ptr 0
		.amdhsa_user_sgpr_queue_ptr 0
		.amdhsa_user_sgpr_kernarg_segment_ptr 1
		.amdhsa_user_sgpr_dispatch_id 0
		.amdhsa_user_sgpr_private_segment_size 0
		.amdhsa_wavefront_size32 1
		.amdhsa_uses_dynamic_stack 0
		.amdhsa_enable_private_segment 0
		.amdhsa_system_sgpr_workgroup_id_x 1
		.amdhsa_system_sgpr_workgroup_id_y 0
		.amdhsa_system_sgpr_workgroup_id_z 0
		.amdhsa_system_sgpr_workgroup_info 0
		.amdhsa_system_vgpr_workitem_id 0
		.amdhsa_next_free_vgpr 21
		.amdhsa_next_free_sgpr 21
		.amdhsa_reserve_vcc 1
		.amdhsa_float_round_mode_32 0
		.amdhsa_float_round_mode_16_64 0
		.amdhsa_float_denorm_mode_32 3
		.amdhsa_float_denorm_mode_16_64 3
		.amdhsa_dx10_clamp 1
		.amdhsa_ieee_mode 1
		.amdhsa_fp16_overflow 0
		.amdhsa_workgroup_processor_mode 1
		.amdhsa_memory_ordered 1
		.amdhsa_forward_progress 0
		.amdhsa_shared_vgpr_count 0
		.amdhsa_exception_fp_ieee_invalid_op 0
		.amdhsa_exception_fp_denorm_src 0
		.amdhsa_exception_fp_ieee_div_zero 0
		.amdhsa_exception_fp_ieee_overflow 0
		.amdhsa_exception_fp_ieee_underflow 0
		.amdhsa_exception_fp_ieee_inexact 0
		.amdhsa_exception_int_div_zero 0
	.end_amdhsa_kernel
	.section	.text._ZN12tensorrt_llm7kernels32fusedQKNormRopeKernelNTokenHeadsIN3c104HalfEfLi64ELb1ELi4EEEvPviiifPKvS6_S6_PKlii,"axG",@progbits,_ZN12tensorrt_llm7kernels32fusedQKNormRopeKernelNTokenHeadsIN3c104HalfEfLi64ELb1ELi4EEEvPviiifPKvS6_S6_PKlii,comdat
.Lfunc_end12:
	.size	_ZN12tensorrt_llm7kernels32fusedQKNormRopeKernelNTokenHeadsIN3c104HalfEfLi64ELb1ELi4EEEvPviiifPKvS6_S6_PKlii, .Lfunc_end12-_ZN12tensorrt_llm7kernels32fusedQKNormRopeKernelNTokenHeadsIN3c104HalfEfLi64ELb1ELi4EEEvPviiifPKvS6_S6_PKlii
                                        ; -- End function
	.section	.AMDGPU.csdata,"",@progbits
; Kernel info:
; codeLenInByte = 1564
; NumSgprs: 23
; NumVgprs: 21
; ScratchSize: 0
; MemoryBound: 0
; FloatMode: 240
; IeeeMode: 1
; LDSByteSize: 0 bytes/workgroup (compile time only)
; SGPRBlocks: 2
; VGPRBlocks: 2
; NumSGPRsForWavesPerEU: 23
; NumVGPRsForWavesPerEU: 21
; Occupancy: 16
; WaveLimiterHint : 0
; COMPUTE_PGM_RSRC2:SCRATCH_EN: 0
; COMPUTE_PGM_RSRC2:USER_SGPR: 15
; COMPUTE_PGM_RSRC2:TRAP_HANDLER: 0
; COMPUTE_PGM_RSRC2:TGID_X_EN: 1
; COMPUTE_PGM_RSRC2:TGID_Y_EN: 0
; COMPUTE_PGM_RSRC2:TGID_Z_EN: 0
; COMPUTE_PGM_RSRC2:TIDIG_COMP_CNT: 0
	.section	.text._ZN12tensorrt_llm7kernels32fusedQKNormRopeKernelNTokenHeadsIN3c104HalfEfLi64ELb0ELi4EEEvPviiifPKvS6_S6_PKlii,"axG",@progbits,_ZN12tensorrt_llm7kernels32fusedQKNormRopeKernelNTokenHeadsIN3c104HalfEfLi64ELb0ELi4EEEvPviiifPKvS6_S6_PKlii,comdat
	.protected	_ZN12tensorrt_llm7kernels32fusedQKNormRopeKernelNTokenHeadsIN3c104HalfEfLi64ELb0ELi4EEEvPviiifPKvS6_S6_PKlii ; -- Begin function _ZN12tensorrt_llm7kernels32fusedQKNormRopeKernelNTokenHeadsIN3c104HalfEfLi64ELb0ELi4EEEvPviiifPKvS6_S6_PKlii
	.globl	_ZN12tensorrt_llm7kernels32fusedQKNormRopeKernelNTokenHeadsIN3c104HalfEfLi64ELb0ELi4EEEvPviiifPKvS6_S6_PKlii
	.p2align	8
	.type	_ZN12tensorrt_llm7kernels32fusedQKNormRopeKernelNTokenHeadsIN3c104HalfEfLi64ELb0ELi4EEEvPviiifPKvS6_S6_PKlii,@function
_ZN12tensorrt_llm7kernels32fusedQKNormRopeKernelNTokenHeadsIN3c104HalfEfLi64ELb0ELi4EEEvPviiifPKvS6_S6_PKlii: ; @_ZN12tensorrt_llm7kernels32fusedQKNormRopeKernelNTokenHeadsIN3c104HalfEfLi64ELb0ELi4EEEvPviiifPKvS6_S6_PKlii
; %bb.0:
	s_clause 0x1
	s_load_b128 s[16:19], s[0:1], 0x8
	s_load_b64 s[2:3], s[0:1], 0x38
	v_lshrrev_b32_e32 v2, 5, v0
	s_waitcnt lgkmcnt(0)
	s_add_i32 s4, s17, s16
	s_delay_alu instid0(SALU_CYCLE_1) | instskip(NEXT) | instid1(SALU_CYCLE_1)
	s_add_i32 s5, s4, 3
	s_ashr_i32 s6, s5, 31
	s_delay_alu instid0(SALU_CYCLE_1) | instskip(NEXT) | instid1(SALU_CYCLE_1)
	s_lshr_b32 s6, s6, 30
	s_add_i32 s5, s5, s6
	s_delay_alu instid0(SALU_CYCLE_1) | instskip(SKIP_2) | instid1(SALU_CYCLE_1)
	s_ashr_i32 s14, s5, 2
	s_load_b32 s5, s[0:1], 0x4c
	s_abs_i32 s6, s14
	v_cvt_f32_u32_e32 v1, s6
	s_sub_i32 s7, 0, s6
	s_delay_alu instid0(VALU_DEP_1) | instskip(SKIP_4) | instid1(SALU_CYCLE_1)
	v_rcp_iflag_f32_e32 v1, v1
	s_waitcnt_depctr 0xfff
	v_mul_f32_e32 v1, 0x4f7ffffe, v1
	s_waitcnt lgkmcnt(0)
	s_bfe_u32 s5, s5, 0xb0005
	v_mad_u64_u32 v[3:4], null, s15, s5, v[2:3]
	s_delay_alu instid0(VALU_DEP_2) | instskip(NEXT) | instid1(VALU_DEP_1)
	v_cvt_u32_f32_e32 v1, v1
	v_mul_lo_u32 v5, s7, v1
	s_delay_alu instid0(VALU_DEP_1) | instskip(NEXT) | instid1(VALU_DEP_4)
	v_mul_hi_u32 v4, v1, v5
	v_sub_nc_u32_e32 v5, 0, v3
	s_delay_alu instid0(VALU_DEP_1) | instskip(NEXT) | instid1(VALU_DEP_3)
	v_max_i32_e32 v5, v3, v5
	v_add_nc_u32_e32 v1, v1, v4
	s_delay_alu instid0(VALU_DEP_1) | instskip(NEXT) | instid1(VALU_DEP_1)
	v_mul_hi_u32 v1, v5, v1
	v_mul_lo_u32 v4, v1, s6
	s_delay_alu instid0(VALU_DEP_1) | instskip(SKIP_1) | instid1(VALU_DEP_2)
	v_sub_nc_u32_e32 v4, v5, v4
	v_add_nc_u32_e32 v5, 1, v1
	v_subrev_nc_u32_e32 v6, s6, v4
	v_cmp_le_u32_e32 vcc_lo, s6, v4
	s_delay_alu instid0(VALU_DEP_2) | instskip(SKIP_1) | instid1(VALU_DEP_2)
	v_dual_cndmask_b32 v4, v4, v6 :: v_dual_cndmask_b32 v1, v1, v5
	v_xor_b32_e32 v5, s14, v3
	v_cmp_le_u32_e32 vcc_lo, s6, v4
	s_delay_alu instid0(VALU_DEP_3) | instskip(NEXT) | instid1(VALU_DEP_3)
	v_add_nc_u32_e32 v6, 1, v1
	v_ashrrev_i32_e32 v5, 31, v5
	s_delay_alu instid0(VALU_DEP_2) | instskip(NEXT) | instid1(VALU_DEP_1)
	v_cndmask_b32_e32 v1, v1, v6, vcc_lo
	v_xor_b32_e32 v1, v1, v5
	s_delay_alu instid0(VALU_DEP_1) | instskip(NEXT) | instid1(VALU_DEP_1)
	v_sub_nc_u32_e32 v1, v1, v5
	v_cmp_gt_i32_e32 vcc_lo, s2, v1
	s_and_saveexec_b32 s2, vcc_lo
	s_cbranch_execz .LBB13_12
; %bb.1:
	v_mul_lo_u32 v4, v1, s14
	s_load_b64 s[12:13], s[0:1], 0x0
	v_and_b32_e32 v0, 31, v0
	v_lshlrev_b32_e32 v9, 9, v2
	v_lshlrev_b32_e32 v8, 8, v3
	s_lshl_b32 s20, s3, 2
	s_delay_alu instid0(VALU_DEP_3) | instskip(SKIP_2) | instid1(VALU_DEP_1)
	v_lshlrev_b32_e32 v7, 2, v0
	v_sub_nc_u32_e32 v4, v3, v4
	s_mul_i32 s15, s20, s5
	v_lshlrev_b32_e32 v5, 2, v4
	s_delay_alu instid0(VALU_DEP_1) | instskip(SKIP_1) | instid1(VALU_DEP_2)
	v_add_nc_u32_e32 v4, 4, v5
	v_sub_nc_u32_e32 v6, s4, v5
	v_cmp_lt_i32_e32 vcc_lo, s4, v4
	s_delay_alu instid0(VALU_DEP_2) | instskip(NEXT) | instid1(VALU_DEP_1)
	v_cndmask_b32_e32 v6, 4, v6, vcc_lo
	v_cmp_lt_i32_e32 vcc_lo, 0, v6
	s_and_saveexec_b32 s4, vcc_lo
	s_cbranch_execz .LBB13_4
; %bb.2:
	s_add_i32 s2, s18, s17
	s_lshl_b32 s5, s14, 2
	s_add_i32 s2, s2, s16
	s_mov_b32 s6, 0
	s_sub_i32 s2, s2, s5
	s_mov_b32 s5, 0
	v_mul_lo_u32 v3, s2, v1
	s_add_i32 s2, s15, 0
	s_delay_alu instid0(SALU_CYCLE_1) | instskip(NEXT) | instid1(VALU_DEP_2)
	v_add3_u32 v10, s2, v9, v7
	v_lshl_add_u32 v3, v3, 6, v8
	s_delay_alu instid0(VALU_DEP_1)
	v_lshl_or_b32 v3, v0, 1, v3
	.p2align	6
.LBB13_3:                               ; =>This Inner Loop Header: Depth=1
	s_delay_alu instid0(VALU_DEP_1) | instskip(SKIP_1) | instid1(VALU_DEP_1)
	v_ashrrev_i32_e32 v4, 31, v3
	s_add_i32 s6, s6, 1
	v_lshlrev_b64 v[11:12], 1, v[3:4]
	v_add_nc_u32_e32 v3, 64, v3
	s_waitcnt lgkmcnt(0)
	s_delay_alu instid0(VALU_DEP_2) | instskip(NEXT) | instid1(VALU_DEP_1)
	v_add_co_u32 v11, s2, s12, v11
	v_add_co_ci_u32_e64 v12, s2, s13, v12, s2
	v_cmp_ge_i32_e64 s2, s6, v6
	global_load_b32 v4, v[11:12], off
	s_or_b32 s5, s2, s5
	s_waitcnt vmcnt(0)
	ds_store_b32 v10, v4
	v_add_nc_u32_e32 v10, 0x80, v10
	s_and_not1_b32 exec_lo, exec_lo, s5
	s_cbranch_execnz .LBB13_3
.LBB13_4:
	s_or_b32 exec_lo, exec_lo, s4
	s_load_b256 s[4:11], s[0:1], 0x18
	s_add_i32 s0, s20, 15
	v_mul_lo_u32 v4, v2, s3
	s_ashr_i32 s1, s0, 31
	s_mov_b32 s20, exec_lo
	s_lshr_b32 s1, s1, 28
	s_delay_alu instid0(SALU_CYCLE_1) | instskip(NEXT) | instid1(SALU_CYCLE_1)
	s_add_i32 s0, s0, s1
	s_ashr_i32 s2, s0, 4
	s_delay_alu instid0(SALU_CYCLE_1)
	v_cmpx_gt_i32_e64 s2, v0
	s_cbranch_execz .LBB13_7
; %bb.5:
	v_ashrrev_i32_e32 v2, 31, v1
	s_delay_alu instid0(VALU_DEP_1) | instskip(SKIP_1) | instid1(VALU_DEP_1)
	v_lshlrev_b64 v[2:3], 3, v[1:2]
	s_waitcnt lgkmcnt(0)
	v_add_co_u32 v2, s0, s10, v2
	s_delay_alu instid0(VALU_DEP_1)
	v_add_co_ci_u32_e64 v3, s0, s11, v3, s0
	s_ashr_i32 s0, s3, 31
	global_load_b64 v[2:3], v[2:3], off
	s_waitcnt vmcnt(0)
	v_mul_lo_u32 v3, v3, s3
	v_mul_lo_u32 v12, v2, s0
	v_mad_u64_u32 v[10:11], null, v2, s3, 0
	s_delay_alu instid0(VALU_DEP_1) | instskip(NEXT) | instid1(VALU_DEP_1)
	v_add3_u32 v11, v11, v12, v3
	v_lshlrev_b64 v[2:3], 2, v[10:11]
	v_lshlrev_b32_e32 v10, 4, v0
	v_lshlrev_b32_e32 v11, 2, v4
	s_delay_alu instid0(VALU_DEP_2) | instskip(NEXT) | instid1(VALU_DEP_1)
	v_add_co_u32 v2, s0, v2, v10
	v_add_co_ci_u32_e64 v3, s0, 0, v3, s0
	s_delay_alu instid0(VALU_DEP_3) | instskip(SKIP_1) | instid1(VALU_DEP_4)
	v_add3_u32 v10, v11, v10, 0
	v_mov_b32_e32 v11, v0
	v_add_co_u32 v2, s0, s8, v2
	s_delay_alu instid0(VALU_DEP_1)
	v_add_co_ci_u32_e64 v3, s0, s9, v3, s0
	s_mov_b32 s8, 0
	.p2align	6
.LBB13_6:                               ; =>This Inner Loop Header: Depth=1
	global_load_b128 v[12:15], v[2:3], off
	v_add_nc_u32_e32 v11, 32, v11
	v_add_co_u32 v2, s0, 0x200, v2
	s_delay_alu instid0(VALU_DEP_1) | instskip(NEXT) | instid1(VALU_DEP_3)
	v_add_co_ci_u32_e64 v3, s0, 0, v3, s0
	v_cmp_le_i32_e64 s1, s2, v11
	s_delay_alu instid0(VALU_DEP_1)
	s_or_b32 s8, s1, s8
	s_waitcnt vmcnt(0)
	ds_store_b128 v10, v[12:15]
	v_add_nc_u32_e32 v10, 0x200, v10
	s_and_not1_b32 exec_lo, exec_lo, s8
	s_cbranch_execnz .LBB13_6
.LBB13_7:
	s_or_b32 exec_lo, exec_lo, s20
	s_delay_alu instid0(SALU_CYCLE_1)
	s_and_b32 exec_lo, exec_lo, vcc_lo
	s_cbranch_execz .LBB13_12
; %bb.8:
	s_waitcnt lgkmcnt(0)
	s_clause 0x1
	global_load_b32 v2, v7, s[4:5]
	global_load_b32 v3, v7, s[6:7]
	s_abs_i32 s2, s3
	v_or_b32_e32 v12, 2, v7
	v_cvt_f32_u32_e32 v10, s2
	s_sub_i32 s0, 0, s2
	v_lshl_add_u32 v15, v4, 2, 0
	v_mbcnt_lo_u32_b32 v4, -1, 0
	s_add_i32 s1, s18, s17
	v_rcp_iflag_f32_e32 v10, v10
	s_lshl_b32 s4, s14, 2
	s_add_i32 s1, s1, s16
	v_xor_b32_e32 v13, 8, v4
	s_sub_i32 s1, s1, s4
	v_xor_b32_e32 v14, 4, v4
	v_mul_lo_u32 v1, s1, v1
	v_xor_b32_e32 v16, 2, v4
	v_xor_b32_e32 v17, 1, v4
	s_waitcnt_depctr 0xfff
	v_dual_mul_f32 v10, 0x4f7ffffe, v10 :: v_dual_add_nc_u32 v19, s15, v9
	s_mov_b32 s4, 0
	v_lshl_add_u32 v1, v1, 6, v8
	s_delay_alu instid0(VALU_DEP_2) | instskip(NEXT) | instid1(VALU_DEP_1)
	v_cvt_u32_f32_e32 v10, v10
	v_mul_lo_u32 v11, s0, v10
	s_lshr_b32 s0, s3, 31
	s_delay_alu instid0(SALU_CYCLE_1) | instskip(SKIP_2) | instid1(SALU_CYCLE_1)
	s_add_i32 s0, s3, s0
	s_mov_b32 s3, 0
	s_ashr_i32 s0, s0, 1
	v_lshl_add_u32 v18, s0, 2, v15
	s_delay_alu instid0(VALU_DEP_2) | instskip(SKIP_2) | instid1(SALU_CYCLE_1)
	v_mul_hi_u32 v11, v10, v11
	v_cmp_gt_i32_e32 vcc_lo, s0, v0
	s_lshr_b32 s0, s0, 1
	v_xor_b32_e32 v20, s0, v4
	v_cmp_gt_u32_e64 s0, s0, v0
	v_lshl_or_b32 v0, v0, 1, v1
	v_add_nc_u32_e32 v10, v10, v11
	v_xor_b32_e32 v11, 16, v4
	s_delay_alu instid0(VALU_DEP_2) | instskip(SKIP_1) | instid1(VALU_DEP_3)
	v_mul_hi_u32 v9, v7, v10
	v_mul_hi_u32 v10, v12, v10
	v_cmp_gt_i32_e64 s1, 32, v11
	s_delay_alu instid0(VALU_DEP_1) | instskip(NEXT) | instid1(VALU_DEP_4)
	v_cndmask_b32_e64 v11, v4, v11, s1
	v_mul_lo_u32 v9, v9, s2
	s_delay_alu instid0(VALU_DEP_4) | instskip(SKIP_1) | instid1(VALU_DEP_3)
	v_mul_lo_u32 v10, v10, s2
	v_cmp_gt_i32_e64 s1, 32, v13
	v_sub_nc_u32_e32 v9, v7, v9
	s_delay_alu instid0(VALU_DEP_3) | instskip(NEXT) | instid1(VALU_DEP_3)
	v_sub_nc_u32_e32 v10, v12, v10
	v_cndmask_b32_e64 v12, v4, v13, s1
	v_cmp_gt_i32_e64 s1, 32, v14
	v_add3_u32 v7, v19, v7, 0
	v_subrev_nc_u32_e32 v13, s2, v9
	v_subrev_nc_u32_e32 v21, s2, v10
	v_lshlrev_b32_e32 v8, 2, v12
	v_cndmask_b32_e64 v14, v4, v14, s1
	v_cmp_le_u32_e64 s1, s2, v9
	s_delay_alu instid0(VALU_DEP_1) | instskip(SKIP_1) | instid1(VALU_DEP_1)
	v_cndmask_b32_e64 v9, v9, v13, s1
	v_cmp_le_u32_e64 s1, s2, v10
	v_cndmask_b32_e64 v10, v10, v21, s1
	v_cmp_gt_i32_e64 s1, 32, v16
	s_delay_alu instid0(VALU_DEP_2) | instskip(NEXT) | instid1(VALU_DEP_2)
	v_subrev_nc_u32_e32 v21, s2, v10
	v_cndmask_b32_e64 v13, v4, v16, s1
	v_cmp_gt_i32_e64 s1, 32, v17
	s_delay_alu instid0(VALU_DEP_1) | instskip(SKIP_2) | instid1(VALU_DEP_2)
	v_cndmask_b32_e64 v16, v4, v17, s1
	v_cmp_gt_i32_e64 s1, 32, v20
	v_subrev_nc_u32_e32 v17, s2, v9
	v_cndmask_b32_e64 v20, v4, v20, s1
	v_cmp_le_u32_e64 s1, s2, v9
	v_lshlrev_b32_e32 v4, 2, v11
	s_delay_alu instid0(VALU_DEP_2) | instskip(SKIP_1) | instid1(VALU_DEP_2)
	v_cndmask_b32_e64 v9, v9, v17, s1
	v_cmp_le_u32_e64 s1, s2, v10
	v_lshlrev_b32_e32 v11, 1, v9
	s_delay_alu instid0(VALU_DEP_2) | instskip(SKIP_1) | instid1(VALU_DEP_3)
	v_cndmask_b32_e64 v10, v10, v21, s1
	v_lshlrev_b32_e32 v9, 2, v14
	v_and_b32_e32 v14, -4, v11
	s_delay_alu instid0(VALU_DEP_3) | instskip(SKIP_2) | instid1(VALU_DEP_4)
	v_lshlrev_b32_e32 v12, 1, v10
	v_lshlrev_b32_e32 v11, 2, v16
	;; [unrolled: 1-line block ×3, first 2 shown]
	v_add_nc_u32_e32 v13, v15, v14
	s_delay_alu instid0(VALU_DEP_4) | instskip(SKIP_2) | instid1(VALU_DEP_3)
	v_and_b32_e32 v16, -4, v12
	v_lshlrev_b32_e32 v12, 2, v20
	v_add_nc_u32_e32 v14, v18, v14
	v_add_nc_u32_e32 v15, v15, v16
	v_add_nc_u32_e32 v16, v18, v16
	s_waitcnt vmcnt(1)
	v_lshrrev_b32_e32 v17, 16, v2
	s_waitcnt vmcnt(0)
	v_lshrrev_b32_e32 v18, 16, v3
	s_branch .LBB13_10
.LBB13_9:                               ;   in Loop: Header=BB13_10 Depth=1
	s_or_b32 exec_lo, exec_lo, s1
	v_ashrrev_i32_e32 v1, 31, v0
	v_cvt_f16_f32_e32 v21, v20
	v_cvt_f16_f32_e32 v22, v19
	s_add_i32 s4, s4, 1
	v_add_nc_u32_e32 v7, 0x80, v7
	v_lshlrev_b64 v[19:20], 1, v[0:1]
	v_cmp_ge_i32_e64 s1, s4, v6
	v_pack_b32_f16 v1, v21, v22
	v_add_nc_u32_e32 v0, 64, v0
	s_delay_alu instid0(VALU_DEP_3) | instskip(NEXT) | instid1(VALU_DEP_4)
	s_or_b32 s3, s1, s3
	v_add_co_u32 v19, s2, s12, v19
	s_delay_alu instid0(VALU_DEP_1)
	v_add_co_ci_u32_e64 v20, s2, s13, v20, s2
	global_store_b32 v[19:20], v1, off
	s_and_not1_b32 exec_lo, exec_lo, s3
	s_cbranch_execz .LBB13_12
.LBB13_10:                              ; =>This Inner Loop Header: Depth=1
	ds_load_b32 v1, v7
	s_waitcnt lgkmcnt(0)
	v_cvt_f32_f16_e32 v19, v1
	s_delay_alu instid0(VALU_DEP_1) | instskip(NEXT) | instid1(VALU_DEP_1)
	v_mul_f32_e32 v20, v19, v19
	v_fma_mix_f32 v20, v1, v1, v20 op_sel:[1,1,0] op_sel_hi:[1,1,0]
	v_lshrrev_b32_e32 v1, 16, v1
	ds_bpermute_b32 v21, v4, v20
	v_cvt_f32_f16_e32 v1, v1
	s_waitcnt lgkmcnt(0)
	v_add_f32_e32 v20, v20, v21
	ds_bpermute_b32 v21, v8, v20
	s_waitcnt lgkmcnt(0)
	v_add_f32_e32 v20, v20, v21
	ds_bpermute_b32 v21, v9, v20
	;; [unrolled: 3-line block ×4, first 2 shown]
	s_waitcnt lgkmcnt(0)
	v_add_f32_e32 v20, v20, v21
	s_delay_alu instid0(VALU_DEP_1) | instskip(NEXT) | instid1(VALU_DEP_1)
	v_fma_f32 v20, 0x3c800000, v20, s19
	v_mul_f32_e32 v21, 0x4b800000, v20
	v_cmp_gt_f32_e64 s1, 0x800000, v20
	s_delay_alu instid0(VALU_DEP_1) | instskip(SKIP_1) | instid1(VALU_DEP_2)
	v_cndmask_b32_e64 v20, v20, v21, s1
	v_add_nc_u32_e32 v21, s4, v5
	v_rsq_f32_e32 v20, v20
	s_delay_alu instid0(VALU_DEP_1) | instskip(NEXT) | instid1(VALU_DEP_1)
	v_cmp_gt_i32_e64 s2, s16, v21
	v_cndmask_b32_e64 v21, v3, v2, s2
	v_cndmask_b32_e64 v23, v18, v17, s2
	s_delay_alu instid0(VALU_DEP_2) | instskip(SKIP_2) | instid1(VALU_DEP_1)
	v_cvt_f32_f16_e32 v21, v21
	s_waitcnt_depctr 0xfff
	v_mul_f32_e32 v22, 0x45800000, v20
	v_cndmask_b32_e64 v20, v20, v22, s1
	v_cvt_f32_f16_e32 v22, v23
	s_delay_alu instid0(VALU_DEP_2) | instskip(NEXT) | instid1(VALU_DEP_2)
	v_mul_f32_e32 v21, v20, v21
	v_mul_f32_e32 v22, v20, v22
	s_delay_alu instid0(VALU_DEP_1)
	v_dual_mul_f32 v20, v21, v19 :: v_dual_mul_f32 v19, v22, v1
	s_and_saveexec_b32 s1, vcc_lo
	s_cbranch_execz .LBB13_9
; %bb.11:                               ;   in Loop: Header=BB13_10 Depth=1
	ds_bpermute_b32 v1, v12, v20
	ds_bpermute_b32 v21, v12, v19
	; wave barrier
	ds_load_b32 v22, v14
	ds_load_b32 v23, v16
	;; [unrolled: 1-line block ×4, first 2 shown]
	; wave barrier
	s_waitcnt lgkmcnt(5)
	v_cndmask_b32_e64 v1, v1, -v1, s0
	s_waitcnt lgkmcnt(4)
	v_cndmask_b32_e64 v21, v21, -v21, s0
	s_waitcnt lgkmcnt(3)
	s_delay_alu instid0(VALU_DEP_2) | instskip(SKIP_1) | instid1(VALU_DEP_2)
	v_mul_f32_e32 v1, v1, v22
	s_waitcnt lgkmcnt(2)
	v_mul_f32_e32 v21, v21, v23
	s_waitcnt lgkmcnt(1)
	s_delay_alu instid0(VALU_DEP_2) | instskip(SKIP_1) | instid1(VALU_DEP_1)
	v_fmac_f32_e32 v1, v20, v24
	s_waitcnt lgkmcnt(0)
	v_dual_fmac_f32 v21, v19, v25 :: v_dual_mov_b32 v20, v1
	s_delay_alu instid0(VALU_DEP_1)
	v_mov_b32_e32 v19, v21
	s_branch .LBB13_9
.LBB13_12:
	s_nop 0
	s_sendmsg sendmsg(MSG_DEALLOC_VGPRS)
	s_endpgm
	.section	.rodata,"a",@progbits
	.p2align	6, 0x0
	.amdhsa_kernel _ZN12tensorrt_llm7kernels32fusedQKNormRopeKernelNTokenHeadsIN3c104HalfEfLi64ELb0ELi4EEEvPviiifPKvS6_S6_PKlii
		.amdhsa_group_segment_fixed_size 0
		.amdhsa_private_segment_fixed_size 0
		.amdhsa_kernarg_size 320
		.amdhsa_user_sgpr_count 15
		.amdhsa_user_sgpr_dispatch_ptr 0
		.amdhsa_user_sgpr_queue_ptr 0
		.amdhsa_user_sgpr_kernarg_segment_ptr 1
		.amdhsa_user_sgpr_dispatch_id 0
		.amdhsa_user_sgpr_private_segment_size 0
		.amdhsa_wavefront_size32 1
		.amdhsa_uses_dynamic_stack 0
		.amdhsa_enable_private_segment 0
		.amdhsa_system_sgpr_workgroup_id_x 1
		.amdhsa_system_sgpr_workgroup_id_y 0
		.amdhsa_system_sgpr_workgroup_id_z 0
		.amdhsa_system_sgpr_workgroup_info 0
		.amdhsa_system_vgpr_workitem_id 0
		.amdhsa_next_free_vgpr 26
		.amdhsa_next_free_sgpr 21
		.amdhsa_reserve_vcc 1
		.amdhsa_float_round_mode_32 0
		.amdhsa_float_round_mode_16_64 0
		.amdhsa_float_denorm_mode_32 3
		.amdhsa_float_denorm_mode_16_64 3
		.amdhsa_dx10_clamp 1
		.amdhsa_ieee_mode 1
		.amdhsa_fp16_overflow 0
		.amdhsa_workgroup_processor_mode 1
		.amdhsa_memory_ordered 1
		.amdhsa_forward_progress 0
		.amdhsa_shared_vgpr_count 0
		.amdhsa_exception_fp_ieee_invalid_op 0
		.amdhsa_exception_fp_denorm_src 0
		.amdhsa_exception_fp_ieee_div_zero 0
		.amdhsa_exception_fp_ieee_overflow 0
		.amdhsa_exception_fp_ieee_underflow 0
		.amdhsa_exception_fp_ieee_inexact 0
		.amdhsa_exception_int_div_zero 0
	.end_amdhsa_kernel
	.section	.text._ZN12tensorrt_llm7kernels32fusedQKNormRopeKernelNTokenHeadsIN3c104HalfEfLi64ELb0ELi4EEEvPviiifPKvS6_S6_PKlii,"axG",@progbits,_ZN12tensorrt_llm7kernels32fusedQKNormRopeKernelNTokenHeadsIN3c104HalfEfLi64ELb0ELi4EEEvPviiifPKvS6_S6_PKlii,comdat
.Lfunc_end13:
	.size	_ZN12tensorrt_llm7kernels32fusedQKNormRopeKernelNTokenHeadsIN3c104HalfEfLi64ELb0ELi4EEEvPviiifPKvS6_S6_PKlii, .Lfunc_end13-_ZN12tensorrt_llm7kernels32fusedQKNormRopeKernelNTokenHeadsIN3c104HalfEfLi64ELb0ELi4EEEvPviiifPKvS6_S6_PKlii
                                        ; -- End function
	.section	.AMDGPU.csdata,"",@progbits
; Kernel info:
; codeLenInByte = 1924
; NumSgprs: 23
; NumVgprs: 26
; ScratchSize: 0
; MemoryBound: 0
; FloatMode: 240
; IeeeMode: 1
; LDSByteSize: 0 bytes/workgroup (compile time only)
; SGPRBlocks: 2
; VGPRBlocks: 3
; NumSGPRsForWavesPerEU: 23
; NumVGPRsForWavesPerEU: 26
; Occupancy: 16
; WaveLimiterHint : 0
; COMPUTE_PGM_RSRC2:SCRATCH_EN: 0
; COMPUTE_PGM_RSRC2:USER_SGPR: 15
; COMPUTE_PGM_RSRC2:TRAP_HANDLER: 0
; COMPUTE_PGM_RSRC2:TGID_X_EN: 1
; COMPUTE_PGM_RSRC2:TGID_Y_EN: 0
; COMPUTE_PGM_RSRC2:TGID_Z_EN: 0
; COMPUTE_PGM_RSRC2:TIDIG_COMP_CNT: 0
	.section	.text._ZN12tensorrt_llm7kernels32fusedQKNormRopeKernelNTokenHeadsIN3c104HalfEfLi128ELb1ELi4EEEvPviiifPKvS6_S6_PKlii,"axG",@progbits,_ZN12tensorrt_llm7kernels32fusedQKNormRopeKernelNTokenHeadsIN3c104HalfEfLi128ELb1ELi4EEEvPviiifPKvS6_S6_PKlii,comdat
	.protected	_ZN12tensorrt_llm7kernels32fusedQKNormRopeKernelNTokenHeadsIN3c104HalfEfLi128ELb1ELi4EEEvPviiifPKvS6_S6_PKlii ; -- Begin function _ZN12tensorrt_llm7kernels32fusedQKNormRopeKernelNTokenHeadsIN3c104HalfEfLi128ELb1ELi4EEEvPviiifPKvS6_S6_PKlii
	.globl	_ZN12tensorrt_llm7kernels32fusedQKNormRopeKernelNTokenHeadsIN3c104HalfEfLi128ELb1ELi4EEEvPviiifPKvS6_S6_PKlii
	.p2align	8
	.type	_ZN12tensorrt_llm7kernels32fusedQKNormRopeKernelNTokenHeadsIN3c104HalfEfLi128ELb1ELi4EEEvPviiifPKvS6_S6_PKlii,@function
_ZN12tensorrt_llm7kernels32fusedQKNormRopeKernelNTokenHeadsIN3c104HalfEfLi128ELb1ELi4EEEvPviiifPKvS6_S6_PKlii: ; @_ZN12tensorrt_llm7kernels32fusedQKNormRopeKernelNTokenHeadsIN3c104HalfEfLi128ELb1ELi4EEEvPviiifPKvS6_S6_PKlii
; %bb.0:
	s_clause 0x1
	s_load_b128 s[16:19], s[0:1], 0x8
	s_load_b64 s[2:3], s[0:1], 0x38
	v_lshrrev_b32_e32 v2, 5, v0
	s_waitcnt lgkmcnt(0)
	s_add_i32 s4, s17, s16
	s_delay_alu instid0(SALU_CYCLE_1) | instskip(NEXT) | instid1(SALU_CYCLE_1)
	s_add_i32 s5, s4, 3
	s_ashr_i32 s6, s5, 31
	s_delay_alu instid0(SALU_CYCLE_1) | instskip(NEXT) | instid1(SALU_CYCLE_1)
	s_lshr_b32 s6, s6, 30
	s_add_i32 s5, s5, s6
	s_delay_alu instid0(SALU_CYCLE_1) | instskip(SKIP_2) | instid1(SALU_CYCLE_1)
	s_ashr_i32 s14, s5, 2
	s_load_b32 s5, s[0:1], 0x4c
	s_abs_i32 s6, s14
	v_cvt_f32_u32_e32 v1, s6
	s_sub_i32 s7, 0, s6
	s_delay_alu instid0(VALU_DEP_1) | instskip(SKIP_4) | instid1(SALU_CYCLE_1)
	v_rcp_iflag_f32_e32 v1, v1
	s_waitcnt_depctr 0xfff
	v_mul_f32_e32 v1, 0x4f7ffffe, v1
	s_waitcnt lgkmcnt(0)
	s_bfe_u32 s5, s5, 0xb0005
	v_mad_u64_u32 v[3:4], null, s15, s5, v[2:3]
	s_delay_alu instid0(VALU_DEP_2) | instskip(NEXT) | instid1(VALU_DEP_1)
	v_cvt_u32_f32_e32 v1, v1
	v_mul_lo_u32 v5, s7, v1
	s_delay_alu instid0(VALU_DEP_1) | instskip(NEXT) | instid1(VALU_DEP_4)
	v_mul_hi_u32 v4, v1, v5
	v_sub_nc_u32_e32 v5, 0, v3
	s_delay_alu instid0(VALU_DEP_1) | instskip(NEXT) | instid1(VALU_DEP_3)
	v_max_i32_e32 v5, v3, v5
	v_add_nc_u32_e32 v1, v1, v4
	s_delay_alu instid0(VALU_DEP_1) | instskip(NEXT) | instid1(VALU_DEP_1)
	v_mul_hi_u32 v1, v5, v1
	v_mul_lo_u32 v4, v1, s6
	s_delay_alu instid0(VALU_DEP_1) | instskip(SKIP_1) | instid1(VALU_DEP_2)
	v_sub_nc_u32_e32 v4, v5, v4
	v_add_nc_u32_e32 v5, 1, v1
	v_subrev_nc_u32_e32 v6, s6, v4
	v_cmp_le_u32_e32 vcc_lo, s6, v4
	s_delay_alu instid0(VALU_DEP_2) | instskip(SKIP_1) | instid1(VALU_DEP_2)
	v_dual_cndmask_b32 v4, v4, v6 :: v_dual_cndmask_b32 v1, v1, v5
	v_xor_b32_e32 v5, s14, v3
	v_cmp_le_u32_e32 vcc_lo, s6, v4
	s_delay_alu instid0(VALU_DEP_3) | instskip(NEXT) | instid1(VALU_DEP_3)
	v_add_nc_u32_e32 v6, 1, v1
	v_ashrrev_i32_e32 v5, 31, v5
	s_delay_alu instid0(VALU_DEP_2) | instskip(NEXT) | instid1(VALU_DEP_1)
	v_cndmask_b32_e32 v1, v1, v6, vcc_lo
	v_xor_b32_e32 v1, v1, v5
	s_delay_alu instid0(VALU_DEP_1) | instskip(NEXT) | instid1(VALU_DEP_1)
	v_sub_nc_u32_e32 v1, v1, v5
	v_cmp_gt_i32_e32 vcc_lo, s2, v1
	s_and_saveexec_b32 s2, vcc_lo
	s_cbranch_execz .LBB14_12
; %bb.1:
	v_mul_lo_u32 v4, v1, s14
	s_load_b64 s[12:13], s[0:1], 0x0
	v_and_b32_e32 v0, 31, v0
	v_lshlrev_b32_e32 v10, 10, v2
	v_lshlrev_b32_e32 v9, 9, v3
	s_lshl_b32 s20, s3, 2
	s_delay_alu instid0(VALU_DEP_3) | instskip(SKIP_2) | instid1(VALU_DEP_1)
	v_lshlrev_b32_e32 v8, 3, v0
	v_sub_nc_u32_e32 v4, v3, v4
	s_mul_i32 s15, s20, s5
	v_lshlrev_b32_e32 v6, 2, v4
	s_delay_alu instid0(VALU_DEP_1) | instskip(SKIP_1) | instid1(VALU_DEP_2)
	v_add_nc_u32_e32 v4, 4, v6
	v_sub_nc_u32_e32 v5, s4, v6
	v_cmp_lt_i32_e32 vcc_lo, s4, v4
	s_delay_alu instid0(VALU_DEP_2) | instskip(NEXT) | instid1(VALU_DEP_1)
	v_cndmask_b32_e32 v7, 4, v5, vcc_lo
	v_cmp_lt_i32_e32 vcc_lo, 0, v7
	s_and_saveexec_b32 s4, vcc_lo
	s_cbranch_execz .LBB14_4
; %bb.2:
	s_add_i32 s2, s18, s17
	s_lshl_b32 s5, s14, 2
	s_add_i32 s2, s2, s16
	s_mov_b32 s6, 0
	s_sub_i32 s2, s2, s5
	s_mov_b32 s5, 0
	v_mul_lo_u32 v3, s2, v1
	s_add_i32 s2, s15, 0
	s_delay_alu instid0(SALU_CYCLE_1) | instskip(NEXT) | instid1(VALU_DEP_2)
	v_add3_u32 v5, s2, v10, v8
	v_lshl_add_u32 v3, v3, 7, v9
	s_delay_alu instid0(VALU_DEP_1)
	v_lshl_or_b32 v3, v0, 2, v3
	.p2align	6
.LBB14_3:                               ; =>This Inner Loop Header: Depth=1
	s_delay_alu instid0(VALU_DEP_1) | instskip(SKIP_1) | instid1(VALU_DEP_1)
	v_ashrrev_i32_e32 v4, 31, v3
	s_add_i32 s6, s6, 1
	v_lshlrev_b64 v[11:12], 1, v[3:4]
	v_add_nc_u32_e32 v3, 0x80, v3
	s_waitcnt lgkmcnt(0)
	s_delay_alu instid0(VALU_DEP_2) | instskip(NEXT) | instid1(VALU_DEP_1)
	v_add_co_u32 v11, s2, s12, v11
	v_add_co_ci_u32_e64 v12, s2, s13, v12, s2
	v_cmp_ge_i32_e64 s2, s6, v7
	global_load_b64 v[11:12], v[11:12], off
	s_or_b32 s5, s2, s5
	s_waitcnt vmcnt(0)
	ds_store_b64 v5, v[11:12]
	v_add_nc_u32_e32 v5, 0x100, v5
	s_and_not1_b32 exec_lo, exec_lo, s5
	s_cbranch_execnz .LBB14_3
.LBB14_4:
	s_or_b32 exec_lo, exec_lo, s4
	s_load_b256 s[4:11], s[0:1], 0x18
	v_mul_lo_u32 v2, v2, s3
	s_add_i32 s0, s20, 15
	s_mov_b32 s20, exec_lo
	s_ashr_i32 s1, s0, 31
	s_delay_alu instid0(SALU_CYCLE_1) | instskip(NEXT) | instid1(SALU_CYCLE_1)
	s_lshr_b32 s1, s1, 28
	s_add_i32 s0, s0, s1
	s_delay_alu instid0(VALU_DEP_1) | instskip(SKIP_1) | instid1(SALU_CYCLE_1)
	v_lshlrev_b32_e32 v11, 2, v2
	s_ashr_i32 s2, s0, 4
	v_cmpx_gt_i32_e64 s2, v0
	s_cbranch_execz .LBB14_7
; %bb.5:
	v_ashrrev_i32_e32 v2, 31, v1
	s_delay_alu instid0(VALU_DEP_1) | instskip(SKIP_1) | instid1(VALU_DEP_1)
	v_lshlrev_b64 v[2:3], 3, v[1:2]
	s_waitcnt lgkmcnt(0)
	v_add_co_u32 v2, s0, s10, v2
	s_delay_alu instid0(VALU_DEP_1)
	v_add_co_ci_u32_e64 v3, s0, s11, v3, s0
	s_ashr_i32 s0, s3, 31
	global_load_b64 v[2:3], v[2:3], off
	s_waitcnt vmcnt(0)
	v_mul_lo_u32 v5, v3, s3
	v_mul_lo_u32 v12, v2, s0
	v_mad_u64_u32 v[3:4], null, v2, s3, 0
	s_delay_alu instid0(VALU_DEP_1) | instskip(SKIP_1) | instid1(VALU_DEP_2)
	v_add3_u32 v4, v4, v12, v5
	v_mov_b32_e32 v5, v0
	v_lshlrev_b64 v[2:3], 2, v[3:4]
	v_lshlrev_b32_e32 v4, 4, v0
	s_delay_alu instid0(VALU_DEP_1) | instskip(NEXT) | instid1(VALU_DEP_1)
	v_add_co_u32 v2, s0, v2, v4
	v_add_co_ci_u32_e64 v3, s0, 0, v3, s0
	v_add3_u32 v4, v11, v4, 0
	s_delay_alu instid0(VALU_DEP_3) | instskip(NEXT) | instid1(VALU_DEP_1)
	v_add_co_u32 v2, s0, s8, v2
	v_add_co_ci_u32_e64 v3, s0, s9, v3, s0
	s_mov_b32 s8, 0
	.p2align	6
.LBB14_6:                               ; =>This Inner Loop Header: Depth=1
	global_load_b128 v[12:15], v[2:3], off
	v_add_nc_u32_e32 v5, 32, v5
	v_add_co_u32 v2, s0, 0x200, v2
	s_delay_alu instid0(VALU_DEP_1) | instskip(NEXT) | instid1(VALU_DEP_3)
	v_add_co_ci_u32_e64 v3, s0, 0, v3, s0
	v_cmp_le_i32_e64 s1, s2, v5
	s_delay_alu instid0(VALU_DEP_1)
	s_or_b32 s8, s1, s8
	s_waitcnt vmcnt(0)
	ds_store_b128 v4, v[12:15]
	v_add_nc_u32_e32 v4, 0x200, v4
	s_and_not1_b32 exec_lo, exec_lo, s8
	s_cbranch_execnz .LBB14_6
.LBB14_7:
	s_or_b32 exec_lo, exec_lo, s20
	s_delay_alu instid0(SALU_CYCLE_1)
	s_and_b32 exec_lo, exec_lo, vcc_lo
	s_cbranch_execz .LBB14_12
; %bb.8:
	s_waitcnt lgkmcnt(0)
	s_clause 0x1
	global_load_b64 v[2:3], v8, s[4:5]
	global_load_b64 v[4:5], v8, s[6:7]
	v_mbcnt_lo_u32_b32 v12, -1, 0
	s_lshr_b32 s0, s3, 31
	v_add3_u32 v11, 0, v11, v8
	s_add_i32 s0, s3, s0
	v_add_nc_u32_e32 v20, s15, v10
	v_xor_b32_e32 v13, 16, v12
	s_lshl_b32 s0, s0, 1
	v_xor_b32_e32 v14, 8, v12
	s_and_b32 s0, s0, -4
	v_xor_b32_e32 v15, 4, v12
	v_add_nc_u32_e32 v10, s0, v11
	v_cmp_gt_i32_e64 s0, 32, v13
	v_xor_b32_e32 v16, 2, v12
	s_add_i32 s2, s18, s17
	s_lshl_b32 s4, s14, 2
	s_add_i32 s2, s2, s16
	v_cndmask_b32_e64 v13, v12, v13, s0
	v_cmp_gt_i32_e64 s0, 32, v14
	s_sub_i32 s2, s2, s4
	v_xor_b32_e32 v17, 1, v12
	v_mul_lo_u32 v1, s2, v1
	s_ashr_i32 s1, s3, 31
	v_cndmask_b32_e64 v14, v12, v14, s0
	v_cmp_gt_i32_e64 s0, 32, v15
	s_lshr_b32 s1, s1, 30
	v_add3_u32 v8, v20, v8, 0
	s_add_i32 s1, s3, s1
	s_mov_b32 s2, 0
	v_cndmask_b32_e64 v15, v12, v15, s0
	v_cmp_gt_i32_e64 s0, 32, v16
	v_lshl_add_u32 v1, v1, 7, v9
	s_ashr_i32 s1, s1, 2
	v_lshlrev_b32_e32 v9, 2, v13
	v_cmp_gt_i32_e32 vcc_lo, s1, v0
	v_cndmask_b32_e64 v16, v12, v16, s0
	v_cmp_gt_i32_e64 s0, 32, v17
	v_lshlrev_b32_e32 v13, 2, v15
	v_lshl_or_b32 v0, v0, 2, v1
	s_mov_b32 s3, 0
	s_delay_alu instid0(VALU_DEP_3) | instskip(SKIP_2) | instid1(VALU_DEP_3)
	v_cndmask_b32_e64 v17, v12, v17, s0
	v_lshlrev_b32_e32 v12, 2, v14
	v_lshlrev_b32_e32 v14, 2, v16
	;; [unrolled: 1-line block ×3, first 2 shown]
	s_waitcnt vmcnt(1)
	v_lshrrev_b32_e32 v16, 16, v2
	v_lshrrev_b32_e32 v17, 16, v3
	s_waitcnt vmcnt(0)
	v_lshrrev_b32_e32 v18, 16, v4
	v_lshrrev_b32_e32 v19, 16, v5
	s_branch .LBB14_10
.LBB14_9:                               ;   in Loop: Header=BB14_10 Depth=1
	s_or_b32 exec_lo, exec_lo, s0
	v_ashrrev_i32_e32 v1, 31, v0
	v_cvt_f16_f32_e32 v24, v23
	v_cvt_f16_f32_e32 v25, v22
	s_add_i32 s3, s3, 1
	v_add_nc_u32_e32 v8, 0x100, v8
	v_lshlrev_b64 v[22:23], 1, v[0:1]
	v_cvt_f16_f32_e32 v1, v20
	v_cvt_f16_f32_e32 v20, v21
	v_pack_b32_f16 v21, v24, v25
	v_add_nc_u32_e32 v0, 0x80, v0
	v_add_co_u32 v22, s0, s12, v22
	s_delay_alu instid0(VALU_DEP_1) | instskip(SKIP_2) | instid1(VALU_DEP_2)
	v_add_co_ci_u32_e64 v23, s0, s13, v23, s0
	v_cmp_ge_i32_e64 s0, s3, v7
	v_pack_b32_f16 v20, v1, v20
	s_or_b32 s2, s0, s2
	global_store_b64 v[22:23], v[20:21], off
	s_and_not1_b32 exec_lo, exec_lo, s2
	s_cbranch_execz .LBB14_12
.LBB14_10:                              ; =>This Inner Loop Header: Depth=1
	ds_load_b64 v[20:21], v8
	s_waitcnt lgkmcnt(0)
	v_lshrrev_b32_e32 v1, 16, v20
	v_lshrrev_b32_e32 v28, 16, v21
	s_delay_alu instid0(VALU_DEP_2) | instskip(NEXT) | instid1(VALU_DEP_2)
	v_cvt_f32_f16_e32 v1, v1
	v_cvt_f32_f16_e32 v28, v28
	s_delay_alu instid0(VALU_DEP_2) | instskip(NEXT) | instid1(VALU_DEP_1)
	v_mul_f32_e32 v22, v1, v1
	v_fma_mix_f32 v22, v20, v20, v22 op_sel_hi:[1,1,0]
	v_cvt_f32_f16_e32 v20, v20
	s_delay_alu instid0(VALU_DEP_2) | instskip(NEXT) | instid1(VALU_DEP_1)
	v_fma_mix_f32 v22, v21, v21, v22 op_sel_hi:[1,1,0]
	v_fma_mix_f32 v22, v21, v21, v22 op_sel:[1,1,0] op_sel_hi:[1,1,0]
	ds_bpermute_b32 v23, v9, v22
	s_waitcnt lgkmcnt(0)
	v_add_f32_e32 v22, v22, v23
	ds_bpermute_b32 v23, v12, v22
	s_waitcnt lgkmcnt(0)
	v_add_f32_e32 v22, v22, v23
	;; [unrolled: 3-line block ×5, first 2 shown]
	s_delay_alu instid0(VALU_DEP_1) | instskip(NEXT) | instid1(VALU_DEP_1)
	v_fma_f32 v22, 0x3c000000, v22, s19
	v_mul_f32_e32 v23, 0x4b800000, v22
	v_cmp_gt_f32_e64 s0, 0x800000, v22
	s_delay_alu instid0(VALU_DEP_1) | instskip(SKIP_1) | instid1(VALU_DEP_2)
	v_cndmask_b32_e64 v22, v22, v23, s0
	v_add_nc_u32_e32 v23, s3, v6
	v_rsq_f32_e32 v22, v22
	s_delay_alu instid0(VALU_DEP_1) | instskip(NEXT) | instid1(VALU_DEP_1)
	v_cmp_gt_i32_e64 s1, s16, v23
	v_cndmask_b32_e64 v23, v4, v2, s1
	v_cndmask_b32_e64 v24, v18, v16, s1
	;; [unrolled: 1-line block ×4, first 2 shown]
	s_delay_alu instid0(VALU_DEP_4) | instskip(NEXT) | instid1(TRANS32_DEP_1)
	v_cvt_f32_f16_e32 v23, v23
	v_mul_f32_e32 v26, 0x45800000, v22
	v_cvt_f32_f16_e32 v24, v24
	v_cvt_f32_f16_e32 v25, v25
	s_delay_alu instid0(VALU_DEP_3) | instskip(SKIP_2) | instid1(VALU_DEP_3)
	v_cndmask_b32_e64 v22, v22, v26, s0
	v_cvt_f32_f16_e32 v26, v27
	v_cvt_f32_f16_e32 v27, v21
	v_mul_f32_e32 v21, v22, v23
	v_mul_f32_e32 v23, v22, v24
	;; [unrolled: 1-line block ×4, first 2 shown]
	s_delay_alu instid0(VALU_DEP_3) | instskip(NEXT) | instid1(VALU_DEP_2)
	v_dual_mul_f32 v20, v21, v20 :: v_dual_mul_f32 v21, v23, v1
	v_dual_mul_f32 v23, v24, v27 :: v_dual_mul_f32 v22, v22, v28
	s_and_saveexec_b32 s0, vcc_lo
	s_cbranch_execz .LBB14_9
; %bb.11:                               ;   in Loop: Header=BB14_10 Depth=1
	ds_load_2addr_b32 v[24:25], v10 offset1:1
	ds_load_2addr_b32 v[26:27], v11 offset1:1
	s_waitcnt lgkmcnt(1)
	v_dual_mul_f32 v1, v21, v24 :: v_dual_mul_f32 v28, v22, v25
	v_dual_mul_f32 v24, v20, v24 :: v_dual_mul_f32 v25, v23, v25
	s_waitcnt lgkmcnt(0)
	s_delay_alu instid0(VALU_DEP_2) | instskip(NEXT) | instid1(VALU_DEP_3)
	v_fma_f32 v20, v20, v26, -v1
	v_fma_f32 v23, v23, v27, -v28
	s_delay_alu instid0(VALU_DEP_3) | instskip(NEXT) | instid1(VALU_DEP_1)
	v_dual_fmac_f32 v24, v21, v26 :: v_dual_fmac_f32 v25, v22, v27
	v_dual_mov_b32 v21, v24 :: v_dual_mov_b32 v22, v25
	s_branch .LBB14_9
.LBB14_12:
	s_nop 0
	s_sendmsg sendmsg(MSG_DEALLOC_VGPRS)
	s_endpgm
	.section	.rodata,"a",@progbits
	.p2align	6, 0x0
	.amdhsa_kernel _ZN12tensorrt_llm7kernels32fusedQKNormRopeKernelNTokenHeadsIN3c104HalfEfLi128ELb1ELi4EEEvPviiifPKvS6_S6_PKlii
		.amdhsa_group_segment_fixed_size 0
		.amdhsa_private_segment_fixed_size 0
		.amdhsa_kernarg_size 320
		.amdhsa_user_sgpr_count 15
		.amdhsa_user_sgpr_dispatch_ptr 0
		.amdhsa_user_sgpr_queue_ptr 0
		.amdhsa_user_sgpr_kernarg_segment_ptr 1
		.amdhsa_user_sgpr_dispatch_id 0
		.amdhsa_user_sgpr_private_segment_size 0
		.amdhsa_wavefront_size32 1
		.amdhsa_uses_dynamic_stack 0
		.amdhsa_enable_private_segment 0
		.amdhsa_system_sgpr_workgroup_id_x 1
		.amdhsa_system_sgpr_workgroup_id_y 0
		.amdhsa_system_sgpr_workgroup_id_z 0
		.amdhsa_system_sgpr_workgroup_info 0
		.amdhsa_system_vgpr_workitem_id 0
		.amdhsa_next_free_vgpr 29
		.amdhsa_next_free_sgpr 21
		.amdhsa_reserve_vcc 1
		.amdhsa_float_round_mode_32 0
		.amdhsa_float_round_mode_16_64 0
		.amdhsa_float_denorm_mode_32 3
		.amdhsa_float_denorm_mode_16_64 3
		.amdhsa_dx10_clamp 1
		.amdhsa_ieee_mode 1
		.amdhsa_fp16_overflow 0
		.amdhsa_workgroup_processor_mode 1
		.amdhsa_memory_ordered 1
		.amdhsa_forward_progress 0
		.amdhsa_shared_vgpr_count 0
		.amdhsa_exception_fp_ieee_invalid_op 0
		.amdhsa_exception_fp_denorm_src 0
		.amdhsa_exception_fp_ieee_div_zero 0
		.amdhsa_exception_fp_ieee_overflow 0
		.amdhsa_exception_fp_ieee_underflow 0
		.amdhsa_exception_fp_ieee_inexact 0
		.amdhsa_exception_int_div_zero 0
	.end_amdhsa_kernel
	.section	.text._ZN12tensorrt_llm7kernels32fusedQKNormRopeKernelNTokenHeadsIN3c104HalfEfLi128ELb1ELi4EEEvPviiifPKvS6_S6_PKlii,"axG",@progbits,_ZN12tensorrt_llm7kernels32fusedQKNormRopeKernelNTokenHeadsIN3c104HalfEfLi128ELb1ELi4EEEvPviiifPKvS6_S6_PKlii,comdat
.Lfunc_end14:
	.size	_ZN12tensorrt_llm7kernels32fusedQKNormRopeKernelNTokenHeadsIN3c104HalfEfLi128ELb1ELi4EEEvPviiifPKvS6_S6_PKlii, .Lfunc_end14-_ZN12tensorrt_llm7kernels32fusedQKNormRopeKernelNTokenHeadsIN3c104HalfEfLi128ELb1ELi4EEEvPviiifPKvS6_S6_PKlii
                                        ; -- End function
	.section	.AMDGPU.csdata,"",@progbits
; Kernel info:
; codeLenInByte = 1696
; NumSgprs: 23
; NumVgprs: 29
; ScratchSize: 0
; MemoryBound: 0
; FloatMode: 240
; IeeeMode: 1
; LDSByteSize: 0 bytes/workgroup (compile time only)
; SGPRBlocks: 2
; VGPRBlocks: 3
; NumSGPRsForWavesPerEU: 23
; NumVGPRsForWavesPerEU: 29
; Occupancy: 16
; WaveLimiterHint : 0
; COMPUTE_PGM_RSRC2:SCRATCH_EN: 0
; COMPUTE_PGM_RSRC2:USER_SGPR: 15
; COMPUTE_PGM_RSRC2:TRAP_HANDLER: 0
; COMPUTE_PGM_RSRC2:TGID_X_EN: 1
; COMPUTE_PGM_RSRC2:TGID_Y_EN: 0
; COMPUTE_PGM_RSRC2:TGID_Z_EN: 0
; COMPUTE_PGM_RSRC2:TIDIG_COMP_CNT: 0
	.section	.text._ZN12tensorrt_llm7kernels32fusedQKNormRopeKernelNTokenHeadsIN3c104HalfEfLi128ELb0ELi4EEEvPviiifPKvS6_S6_PKlii,"axG",@progbits,_ZN12tensorrt_llm7kernels32fusedQKNormRopeKernelNTokenHeadsIN3c104HalfEfLi128ELb0ELi4EEEvPviiifPKvS6_S6_PKlii,comdat
	.protected	_ZN12tensorrt_llm7kernels32fusedQKNormRopeKernelNTokenHeadsIN3c104HalfEfLi128ELb0ELi4EEEvPviiifPKvS6_S6_PKlii ; -- Begin function _ZN12tensorrt_llm7kernels32fusedQKNormRopeKernelNTokenHeadsIN3c104HalfEfLi128ELb0ELi4EEEvPviiifPKvS6_S6_PKlii
	.globl	_ZN12tensorrt_llm7kernels32fusedQKNormRopeKernelNTokenHeadsIN3c104HalfEfLi128ELb0ELi4EEEvPviiifPKvS6_S6_PKlii
	.p2align	8
	.type	_ZN12tensorrt_llm7kernels32fusedQKNormRopeKernelNTokenHeadsIN3c104HalfEfLi128ELb0ELi4EEEvPviiifPKvS6_S6_PKlii,@function
_ZN12tensorrt_llm7kernels32fusedQKNormRopeKernelNTokenHeadsIN3c104HalfEfLi128ELb0ELi4EEEvPviiifPKvS6_S6_PKlii: ; @_ZN12tensorrt_llm7kernels32fusedQKNormRopeKernelNTokenHeadsIN3c104HalfEfLi128ELb0ELi4EEEvPviiifPKvS6_S6_PKlii
; %bb.0:
	s_clause 0x1
	s_load_b128 s[16:19], s[0:1], 0x8
	s_load_b64 s[2:3], s[0:1], 0x38
	s_waitcnt lgkmcnt(0)
	s_add_i32 s4, s17, s16
	s_delay_alu instid0(SALU_CYCLE_1) | instskip(NEXT) | instid1(SALU_CYCLE_1)
	s_add_i32 s5, s4, 3
	s_ashr_i32 s6, s5, 31
	s_delay_alu instid0(SALU_CYCLE_1) | instskip(NEXT) | instid1(SALU_CYCLE_1)
	s_lshr_b32 s6, s6, 30
	s_add_i32 s5, s5, s6
	s_delay_alu instid0(SALU_CYCLE_1) | instskip(SKIP_2) | instid1(SALU_CYCLE_1)
	s_ashr_i32 s14, s5, 2
	s_load_b32 s5, s[0:1], 0x4c
	s_abs_i32 s6, s14
	v_cvt_f32_u32_e32 v1, s6
	s_sub_i32 s7, 0, s6
	s_delay_alu instid0(VALU_DEP_1) | instskip(SKIP_4) | instid1(VALU_DEP_1)
	v_rcp_iflag_f32_e32 v1, v1
	s_waitcnt_depctr 0xfff
	v_mul_f32_e32 v1, 0x4f7ffffe, v1
	s_waitcnt lgkmcnt(0)
	s_bfe_u32 s5, s5, 0xb0005
	v_cvt_u32_f32_e32 v4, v1
	v_lshrrev_b32_e32 v1, 5, v0
	s_delay_alu instid0(VALU_DEP_2) | instskip(NEXT) | instid1(VALU_DEP_2)
	v_mul_lo_u32 v5, s7, v4
	v_mad_u64_u32 v[2:3], null, s15, s5, v[1:2]
	s_delay_alu instid0(VALU_DEP_2) | instskip(NEXT) | instid1(VALU_DEP_2)
	v_mul_hi_u32 v3, v4, v5
	v_sub_nc_u32_e32 v5, 0, v2
	s_delay_alu instid0(VALU_DEP_1) | instskip(NEXT) | instid1(VALU_DEP_3)
	v_max_i32_e32 v5, v2, v5
	v_add_nc_u32_e32 v3, v4, v3
	s_delay_alu instid0(VALU_DEP_1) | instskip(NEXT) | instid1(VALU_DEP_1)
	v_mul_hi_u32 v3, v5, v3
	v_mul_lo_u32 v4, v3, s6
	s_delay_alu instid0(VALU_DEP_1) | instskip(SKIP_1) | instid1(VALU_DEP_2)
	v_sub_nc_u32_e32 v4, v5, v4
	v_add_nc_u32_e32 v5, 1, v3
	v_subrev_nc_u32_e32 v6, s6, v4
	v_cmp_le_u32_e32 vcc_lo, s6, v4
	s_delay_alu instid0(VALU_DEP_2) | instskip(SKIP_1) | instid1(VALU_DEP_2)
	v_dual_cndmask_b32 v4, v4, v6 :: v_dual_cndmask_b32 v3, v3, v5
	v_xor_b32_e32 v5, s14, v2
	v_cmp_le_u32_e32 vcc_lo, s6, v4
	s_delay_alu instid0(VALU_DEP_3) | instskip(NEXT) | instid1(VALU_DEP_3)
	v_add_nc_u32_e32 v6, 1, v3
	v_ashrrev_i32_e32 v5, 31, v5
	s_delay_alu instid0(VALU_DEP_2) | instskip(NEXT) | instid1(VALU_DEP_1)
	v_cndmask_b32_e32 v3, v3, v6, vcc_lo
	v_xor_b32_e32 v3, v3, v5
	s_delay_alu instid0(VALU_DEP_1) | instskip(NEXT) | instid1(VALU_DEP_1)
	v_sub_nc_u32_e32 v4, v3, v5
	v_cmp_gt_i32_e32 vcc_lo, s2, v4
	s_and_saveexec_b32 s2, vcc_lo
	s_cbranch_execz .LBB15_12
; %bb.1:
	v_mul_lo_u32 v3, v4, s14
	s_load_b64 s[12:13], s[0:1], 0x0
	v_and_b32_e32 v9, 31, v0
	v_lshlrev_b32_e32 v11, 10, v1
	v_lshlrev_b32_e32 v10, 9, v2
	s_lshl_b32 s20, s3, 2
	s_delay_alu instid0(VALU_DEP_3) | instskip(SKIP_2) | instid1(VALU_DEP_1)
	v_lshlrev_b32_e32 v8, 3, v9
	v_sub_nc_u32_e32 v3, v2, v3
	s_mul_i32 s15, s20, s5
	v_lshlrev_b32_e32 v6, 2, v3
	s_delay_alu instid0(VALU_DEP_1) | instskip(SKIP_1) | instid1(VALU_DEP_2)
	v_add_nc_u32_e32 v3, 4, v6
	v_sub_nc_u32_e32 v5, s4, v6
	v_cmp_lt_i32_e32 vcc_lo, s4, v3
	s_delay_alu instid0(VALU_DEP_2) | instskip(NEXT) | instid1(VALU_DEP_1)
	v_cndmask_b32_e32 v7, 4, v5, vcc_lo
	v_cmp_lt_i32_e32 vcc_lo, 0, v7
	s_and_saveexec_b32 s4, vcc_lo
	s_cbranch_execz .LBB15_4
; %bb.2:
	s_add_i32 s2, s18, s17
	s_lshl_b32 s5, s14, 2
	s_add_i32 s2, s2, s16
	s_mov_b32 s6, 0
	s_sub_i32 s2, s2, s5
	s_mov_b32 s5, 0
	v_mul_lo_u32 v0, s2, v4
	s_add_i32 s2, s15, 0
	s_delay_alu instid0(VALU_DEP_1) | instskip(SKIP_1) | instid1(VALU_DEP_2)
	v_lshl_add_u32 v2, v0, 7, v10
	v_add3_u32 v0, s2, v11, v8
	v_lshl_or_b32 v2, v9, 2, v2
	.p2align	6
.LBB15_3:                               ; =>This Inner Loop Header: Depth=1
	s_delay_alu instid0(VALU_DEP_1) | instskip(SKIP_1) | instid1(VALU_DEP_1)
	v_ashrrev_i32_e32 v3, 31, v2
	s_add_i32 s6, s6, 1
	v_lshlrev_b64 v[12:13], 1, v[2:3]
	v_add_nc_u32_e32 v2, 0x80, v2
	s_waitcnt lgkmcnt(0)
	s_delay_alu instid0(VALU_DEP_2) | instskip(NEXT) | instid1(VALU_DEP_1)
	v_add_co_u32 v12, s2, s12, v12
	v_add_co_ci_u32_e64 v13, s2, s13, v13, s2
	v_cmp_ge_i32_e64 s2, s6, v7
	global_load_b64 v[12:13], v[12:13], off
	s_or_b32 s5, s2, s5
	s_waitcnt vmcnt(0)
	ds_store_b64 v0, v[12:13]
	v_add_nc_u32_e32 v0, 0x100, v0
	s_and_not1_b32 exec_lo, exec_lo, s5
	s_cbranch_execnz .LBB15_3
.LBB15_4:
	s_or_b32 exec_lo, exec_lo, s4
	s_load_b256 s[4:11], s[0:1], 0x18
	s_add_i32 s0, s20, 15
	v_mul_lo_u32 v12, v1, s3
	s_ashr_i32 s1, s0, 31
	s_mov_b32 s20, exec_lo
	s_lshr_b32 s1, s1, 28
	s_delay_alu instid0(SALU_CYCLE_1) | instskip(NEXT) | instid1(SALU_CYCLE_1)
	s_add_i32 s0, s0, s1
	s_ashr_i32 s2, s0, 4
	s_delay_alu instid0(SALU_CYCLE_1)
	v_cmpx_gt_i32_e64 s2, v9
	s_cbranch_execz .LBB15_7
; %bb.5:
	v_ashrrev_i32_e32 v5, 31, v4
	s_delay_alu instid0(VALU_DEP_1) | instskip(SKIP_1) | instid1(VALU_DEP_1)
	v_lshlrev_b64 v[0:1], 3, v[4:5]
	s_waitcnt lgkmcnt(0)
	v_add_co_u32 v0, s0, s10, v0
	s_delay_alu instid0(VALU_DEP_1)
	v_add_co_ci_u32_e64 v1, s0, s11, v1, s0
	s_ashr_i32 s0, s3, 31
	global_load_b64 v[0:1], v[0:1], off
	s_waitcnt vmcnt(0)
	v_mul_lo_u32 v3, v1, s3
	v_mul_lo_u32 v5, v0, s0
	v_mad_u64_u32 v[1:2], null, v0, s3, 0
	s_delay_alu instid0(VALU_DEP_1) | instskip(SKIP_1) | instid1(VALU_DEP_2)
	v_add3_u32 v2, v2, v5, v3
	v_lshlrev_b32_e32 v3, 2, v12
	v_lshlrev_b64 v[0:1], 2, v[1:2]
	v_lshlrev_b32_e32 v2, 4, v9
	s_delay_alu instid0(VALU_DEP_1) | instskip(NEXT) | instid1(VALU_DEP_1)
	v_add_co_u32 v0, s0, v0, v2
	v_add_co_ci_u32_e64 v1, s0, 0, v1, s0
	v_add3_u32 v2, v3, v2, 0
	v_mov_b32_e32 v3, v9
	s_delay_alu instid0(VALU_DEP_4) | instskip(NEXT) | instid1(VALU_DEP_1)
	v_add_co_u32 v0, s0, s8, v0
	v_add_co_ci_u32_e64 v1, s0, s9, v1, s0
	s_mov_b32 s8, 0
	.p2align	6
.LBB15_6:                               ; =>This Inner Loop Header: Depth=1
	global_load_b128 v[13:16], v[0:1], off
	v_add_nc_u32_e32 v3, 32, v3
	v_add_co_u32 v0, s0, 0x200, v0
	s_delay_alu instid0(VALU_DEP_1) | instskip(NEXT) | instid1(VALU_DEP_3)
	v_add_co_ci_u32_e64 v1, s0, 0, v1, s0
	v_cmp_le_i32_e64 s1, s2, v3
	s_delay_alu instid0(VALU_DEP_1)
	s_or_b32 s8, s1, s8
	s_waitcnt vmcnt(0)
	ds_store_b128 v2, v[13:16]
	v_add_nc_u32_e32 v2, 0x200, v2
	s_and_not1_b32 exec_lo, exec_lo, s8
	s_cbranch_execnz .LBB15_6
.LBB15_7:
	s_or_b32 exec_lo, exec_lo, s20
	s_delay_alu instid0(SALU_CYCLE_1)
	s_and_b32 exec_lo, exec_lo, vcc_lo
	s_cbranch_execz .LBB15_12
; %bb.8:
	s_waitcnt lgkmcnt(0)
	s_clause 0x1
	global_load_b64 v[0:1], v8, s[4:5]
	global_load_b64 v[2:3], v8, s[6:7]
	s_abs_i32 s2, s3
	v_lshl_add_u32 v5, v12, 2, 0
	v_cvt_f32_u32_e32 v12, s2
	s_lshr_b32 s0, s3, 31
	v_mbcnt_lo_u32_b32 v13, -1, 0
	s_add_i32 s0, s3, s0
	v_add_nc_u32_e32 v27, s15, v11
	v_rcp_iflag_f32_e32 v12, v12
	s_lshl_b32 s0, s0, 1
	s_ashr_i32 s1, s3, 31
	s_and_b32 s0, s0, -4
	s_lshr_b32 s6, s1, 30
	s_lshr_b32 s1, s1, 29
	s_sub_i32 s7, 0, s2
	s_add_i32 s1, s3, s1
	v_xor_b32_e32 v17, 8, v13
	s_waitcnt_depctr 0xfff
	v_dual_mul_f32 v11, 0x4f7ffffe, v12 :: v_dual_add_nc_u32 v22, s0, v5
	v_xor_b32_e32 v12, 16, v13
	s_ashr_i32 s1, s1, 3
	v_xor_b32_e32 v18, 4, v13
	v_xor_b32_e32 v23, s1, v13
	v_cvt_u32_f32_e32 v11, v11
	v_cmp_gt_i32_e64 s0, s1, v9
	v_cmp_gt_i32_e64 s1, 32, v12
	v_xor_b32_e32 v20, 2, v13
	v_xor_b32_e32 v21, 1, v13
	v_mul_lo_u32 v19, s7, v11
	v_or_b32_e32 v14, 2, v8
	v_cndmask_b32_e64 v12, v13, v12, s1
	v_cmp_gt_i32_e64 s1, 32, v17
	v_or_b32_e32 v15, 4, v8
	v_or_b32_e32 v16, 6, v8
	s_add_i32 s4, s18, s17
	s_lshl_b32 s5, s14, 2
	v_mul_hi_u32 v19, v11, v19
	v_cndmask_b32_e64 v17, v13, v17, s1
	v_cmp_gt_i32_e64 s1, 32, v18
	s_add_i32 s4, s4, s16
	s_add_i32 s6, s3, s6
	s_sub_i32 s3, s4, s5
	s_ashr_i32 s4, s6, 2
	v_cndmask_b32_e64 v18, v13, v18, s1
	v_cmp_gt_i32_e64 s1, 32, v20
	v_add_nc_u32_e32 v11, v11, v19
	v_mul_lo_u32 v4, s3, v4
	v_cmp_gt_i32_e32 vcc_lo, s4, v9
	s_mov_b32 s3, 0
	v_cndmask_b32_e64 v19, v13, v20, s1
	v_cmp_gt_i32_e64 s1, 32, v21
	v_mul_hi_u32 v20, v8, v11
	v_mul_hi_u32 v24, v14, v11
	;; [unrolled: 1-line block ×4, first 2 shown]
	v_cndmask_b32_e64 v21, v13, v21, s1
	v_cmp_gt_i32_e64 s1, 32, v23
	v_lshl_add_u32 v4, v4, 7, v10
	v_lshlrev_b32_e32 v10, 2, v12
	v_lshlrev_b32_e32 v12, 2, v18
	s_mov_b32 s4, 0
	v_cndmask_b32_e64 v23, v13, v23, s1
	v_mul_lo_u32 v13, v20, s2
	v_mul_lo_u32 v20, v24, s2
	;; [unrolled: 1-line block ×4, first 2 shown]
	v_lshlrev_b32_e32 v11, 2, v17
	v_lshl_or_b32 v4, v9, 2, v4
	v_sub_nc_u32_e32 v17, v8, v13
	v_sub_nc_u32_e32 v14, v14, v20
	;; [unrolled: 1-line block ×3, first 2 shown]
	v_lshlrev_b32_e32 v13, 2, v19
	v_sub_nc_u32_e32 v16, v16, v25
	v_subrev_nc_u32_e32 v18, s2, v17
	v_cmp_le_u32_e64 s1, s2, v17
	v_subrev_nc_u32_e32 v19, s2, v14
	v_subrev_nc_u32_e32 v20, s2, v15
	;; [unrolled: 1-line block ×3, first 2 shown]
	v_add3_u32 v8, v27, v8, 0
	v_cndmask_b32_e64 v17, v17, v18, s1
	v_cmp_le_u32_e64 s1, s2, v14
	s_delay_alu instid0(VALU_DEP_1) | instskip(SKIP_1) | instid1(VALU_DEP_4)
	v_cndmask_b32_e64 v18, v14, v19, s1
	v_cmp_le_u32_e64 s1, s2, v15
	v_subrev_nc_u32_e32 v19, s2, v17
	v_lshlrev_b32_e32 v14, 2, v21
	s_delay_alu instid0(VALU_DEP_3) | instskip(SKIP_2) | instid1(VALU_DEP_3)
	v_cndmask_b32_e64 v15, v15, v20, s1
	v_cmp_le_u32_e64 s1, s2, v16
	v_subrev_nc_u32_e32 v20, s2, v18
	v_subrev_nc_u32_e32 v21, s2, v15
	s_delay_alu instid0(VALU_DEP_3) | instskip(SKIP_1) | instid1(VALU_DEP_2)
	v_cndmask_b32_e64 v16, v16, v24, s1
	v_cmp_le_u32_e64 s1, s2, v17
	v_subrev_nc_u32_e32 v24, s2, v16
	s_delay_alu instid0(VALU_DEP_2) | instskip(SKIP_1) | instid1(VALU_DEP_2)
	v_cndmask_b32_e64 v17, v17, v19, s1
	v_cmp_le_u32_e64 s1, s2, v18
	v_lshlrev_b32_e32 v17, 1, v17
	s_delay_alu instid0(VALU_DEP_2) | instskip(SKIP_1) | instid1(VALU_DEP_3)
	v_cndmask_b32_e64 v18, v18, v20, s1
	v_cmp_le_u32_e64 s1, s2, v15
	v_and_b32_e32 v17, -4, v17
	s_delay_alu instid0(VALU_DEP_3) | instskip(NEXT) | instid1(VALU_DEP_3)
	v_lshlrev_b32_e32 v18, 1, v18
	v_cndmask_b32_e64 v19, v15, v21, s1
	v_cmp_le_u32_e64 s1, s2, v16
	v_lshlrev_b32_e32 v15, 2, v23
	v_add_nc_u32_e32 v9, v5, v17
	v_and_b32_e32 v18, -4, v18
	v_lshlrev_b32_e32 v19, 1, v19
	v_cndmask_b32_e64 v16, v16, v24, s1
	s_delay_alu instid0(VALU_DEP_2) | instskip(NEXT) | instid1(VALU_DEP_2)
	v_and_b32_e32 v20, -4, v19
	v_lshlrev_b32_e32 v16, 1, v16
	s_delay_alu instid0(VALU_DEP_2) | instskip(NEXT) | instid1(VALU_DEP_2)
	v_add_nc_u32_e32 v19, v5, v20
	v_and_b32_e32 v23, -4, v16
	v_add_nc_u32_e32 v16, v22, v17
	v_add_nc_u32_e32 v17, v5, v18
	;; [unrolled: 1-line block ×6, first 2 shown]
	s_waitcnt vmcnt(1)
	v_lshrrev_b32_e32 v23, 16, v0
	v_lshrrev_b32_e32 v24, 16, v1
	s_waitcnt vmcnt(0)
	v_lshrrev_b32_e32 v25, 16, v2
	v_lshrrev_b32_e32 v26, 16, v3
	s_branch .LBB15_10
.LBB15_9:                               ;   in Loop: Header=BB15_10 Depth=1
	s_or_b32 exec_lo, exec_lo, s1
	v_ashrrev_i32_e32 v5, 31, v4
	v_cvt_f16_f32_e32 v31, v30
	v_cvt_f16_f32_e32 v32, v29
	s_add_i32 s4, s4, 1
	v_add_nc_u32_e32 v8, 0x100, v8
	v_lshlrev_b64 v[29:30], 1, v[4:5]
	v_cvt_f16_f32_e32 v5, v27
	v_cvt_f16_f32_e32 v27, v28
	v_pack_b32_f16 v28, v31, v32
	v_add_nc_u32_e32 v4, 0x80, v4
	v_add_co_u32 v29, s1, s12, v29
	s_delay_alu instid0(VALU_DEP_1) | instskip(SKIP_2) | instid1(VALU_DEP_2)
	v_add_co_ci_u32_e64 v30, s1, s13, v30, s1
	v_cmp_ge_i32_e64 s1, s4, v7
	v_pack_b32_f16 v27, v5, v27
	s_or_b32 s3, s1, s3
	global_store_b64 v[29:30], v[27:28], off
	s_and_not1_b32 exec_lo, exec_lo, s3
	s_cbranch_execz .LBB15_12
.LBB15_10:                              ; =>This Inner Loop Header: Depth=1
	ds_load_b64 v[27:28], v8
	s_waitcnt lgkmcnt(0)
	v_lshrrev_b32_e32 v5, 16, v27
	v_lshrrev_b32_e32 v35, 16, v28
	s_delay_alu instid0(VALU_DEP_2) | instskip(NEXT) | instid1(VALU_DEP_2)
	v_cvt_f32_f16_e32 v5, v5
	v_cvt_f32_f16_e32 v35, v35
	s_delay_alu instid0(VALU_DEP_2) | instskip(NEXT) | instid1(VALU_DEP_1)
	v_mul_f32_e32 v29, v5, v5
	v_fma_mix_f32 v29, v27, v27, v29 op_sel_hi:[1,1,0]
	v_cvt_f32_f16_e32 v27, v27
	s_delay_alu instid0(VALU_DEP_2) | instskip(NEXT) | instid1(VALU_DEP_1)
	v_fma_mix_f32 v29, v28, v28, v29 op_sel_hi:[1,1,0]
	v_fma_mix_f32 v29, v28, v28, v29 op_sel:[1,1,0] op_sel_hi:[1,1,0]
	ds_bpermute_b32 v30, v10, v29
	s_waitcnt lgkmcnt(0)
	v_add_f32_e32 v29, v29, v30
	ds_bpermute_b32 v30, v11, v29
	s_waitcnt lgkmcnt(0)
	v_add_f32_e32 v29, v29, v30
	;; [unrolled: 3-line block ×5, first 2 shown]
	s_delay_alu instid0(VALU_DEP_1) | instskip(NEXT) | instid1(VALU_DEP_1)
	v_fma_f32 v29, 0x3c000000, v29, s19
	v_mul_f32_e32 v30, 0x4b800000, v29
	v_cmp_gt_f32_e64 s1, 0x800000, v29
	s_delay_alu instid0(VALU_DEP_1) | instskip(SKIP_1) | instid1(VALU_DEP_2)
	v_cndmask_b32_e64 v29, v29, v30, s1
	v_add_nc_u32_e32 v30, s4, v6
	v_rsq_f32_e32 v29, v29
	s_delay_alu instid0(VALU_DEP_1) | instskip(NEXT) | instid1(VALU_DEP_1)
	v_cmp_gt_i32_e64 s2, s16, v30
	v_cndmask_b32_e64 v30, v2, v0, s2
	v_cndmask_b32_e64 v31, v25, v23, s2
	;; [unrolled: 1-line block ×4, first 2 shown]
	s_delay_alu instid0(VALU_DEP_4) | instskip(NEXT) | instid1(TRANS32_DEP_1)
	v_cvt_f32_f16_e32 v30, v30
	v_mul_f32_e32 v33, 0x45800000, v29
	v_cvt_f32_f16_e32 v31, v31
	v_cvt_f32_f16_e32 v32, v32
	s_delay_alu instid0(VALU_DEP_3) | instskip(SKIP_2) | instid1(VALU_DEP_3)
	v_cndmask_b32_e64 v29, v29, v33, s1
	v_cvt_f32_f16_e32 v33, v34
	v_cvt_f32_f16_e32 v34, v28
	v_mul_f32_e32 v28, v29, v30
	v_mul_f32_e32 v30, v29, v31
	;; [unrolled: 1-line block ×4, first 2 shown]
	s_delay_alu instid0(VALU_DEP_3) | instskip(NEXT) | instid1(VALU_DEP_2)
	v_dual_mul_f32 v27, v28, v27 :: v_dual_mul_f32 v28, v30, v5
	v_dual_mul_f32 v30, v31, v34 :: v_dual_mul_f32 v29, v29, v35
	s_and_saveexec_b32 s1, vcc_lo
	s_cbranch_execz .LBB15_9
; %bb.11:                               ;   in Loop: Header=BB15_10 Depth=1
	ds_bpermute_b32 v5, v15, v27
	ds_bpermute_b32 v31, v15, v28
	ds_bpermute_b32 v32, v15, v30
	ds_bpermute_b32 v33, v15, v29
	; wave barrier
	ds_load_b32 v34, v16
	ds_load_b32 v35, v18
	;; [unrolled: 1-line block ×8, first 2 shown]
	; wave barrier
	s_waitcnt lgkmcnt(11)
	v_cndmask_b32_e64 v5, v5, -v5, s0
	s_waitcnt lgkmcnt(10)
	v_cndmask_b32_e64 v31, v31, -v31, s0
	;; [unrolled: 2-line block ×4, first 2 shown]
	s_waitcnt lgkmcnt(5)
	s_delay_alu instid0(VALU_DEP_2) | instskip(SKIP_1) | instid1(VALU_DEP_1)
	v_dual_mul_f32 v5, v5, v34 :: v_dual_mul_f32 v32, v32, v36
	s_waitcnt lgkmcnt(1)
	v_dual_mul_f32 v31, v31, v35 :: v_dual_fmac_f32 v32, v30, v40
	s_delay_alu instid0(VALU_DEP_1) | instskip(SKIP_1) | instid1(VALU_DEP_3)
	v_fmac_f32_e32 v31, v28, v39
	v_mul_f32_e32 v33, v33, v37
	v_dual_fmac_f32 v5, v27, v38 :: v_dual_mov_b32 v30, v32
	s_waitcnt lgkmcnt(0)
	s_delay_alu instid0(VALU_DEP_2) | instskip(NEXT) | instid1(VALU_DEP_2)
	v_dual_mov_b32 v28, v31 :: v_dual_fmac_f32 v33, v29, v41
	v_mov_b32_e32 v27, v5
	s_delay_alu instid0(VALU_DEP_2)
	v_mov_b32_e32 v29, v33
	s_branch .LBB15_9
.LBB15_12:
	s_nop 0
	s_sendmsg sendmsg(MSG_DEALLOC_VGPRS)
	s_endpgm
	.section	.rodata,"a",@progbits
	.p2align	6, 0x0
	.amdhsa_kernel _ZN12tensorrt_llm7kernels32fusedQKNormRopeKernelNTokenHeadsIN3c104HalfEfLi128ELb0ELi4EEEvPviiifPKvS6_S6_PKlii
		.amdhsa_group_segment_fixed_size 0
		.amdhsa_private_segment_fixed_size 0
		.amdhsa_kernarg_size 320
		.amdhsa_user_sgpr_count 15
		.amdhsa_user_sgpr_dispatch_ptr 0
		.amdhsa_user_sgpr_queue_ptr 0
		.amdhsa_user_sgpr_kernarg_segment_ptr 1
		.amdhsa_user_sgpr_dispatch_id 0
		.amdhsa_user_sgpr_private_segment_size 0
		.amdhsa_wavefront_size32 1
		.amdhsa_uses_dynamic_stack 0
		.amdhsa_enable_private_segment 0
		.amdhsa_system_sgpr_workgroup_id_x 1
		.amdhsa_system_sgpr_workgroup_id_y 0
		.amdhsa_system_sgpr_workgroup_id_z 0
		.amdhsa_system_sgpr_workgroup_info 0
		.amdhsa_system_vgpr_workitem_id 0
		.amdhsa_next_free_vgpr 42
		.amdhsa_next_free_sgpr 21
		.amdhsa_reserve_vcc 1
		.amdhsa_float_round_mode_32 0
		.amdhsa_float_round_mode_16_64 0
		.amdhsa_float_denorm_mode_32 3
		.amdhsa_float_denorm_mode_16_64 3
		.amdhsa_dx10_clamp 1
		.amdhsa_ieee_mode 1
		.amdhsa_fp16_overflow 0
		.amdhsa_workgroup_processor_mode 1
		.amdhsa_memory_ordered 1
		.amdhsa_forward_progress 0
		.amdhsa_shared_vgpr_count 0
		.amdhsa_exception_fp_ieee_invalid_op 0
		.amdhsa_exception_fp_denorm_src 0
		.amdhsa_exception_fp_ieee_div_zero 0
		.amdhsa_exception_fp_ieee_overflow 0
		.amdhsa_exception_fp_ieee_underflow 0
		.amdhsa_exception_fp_ieee_inexact 0
		.amdhsa_exception_int_div_zero 0
	.end_amdhsa_kernel
	.section	.text._ZN12tensorrt_llm7kernels32fusedQKNormRopeKernelNTokenHeadsIN3c104HalfEfLi128ELb0ELi4EEEvPviiifPKvS6_S6_PKlii,"axG",@progbits,_ZN12tensorrt_llm7kernels32fusedQKNormRopeKernelNTokenHeadsIN3c104HalfEfLi128ELb0ELi4EEEvPviiifPKvS6_S6_PKlii,comdat
.Lfunc_end15:
	.size	_ZN12tensorrt_llm7kernels32fusedQKNormRopeKernelNTokenHeadsIN3c104HalfEfLi128ELb0ELi4EEEvPviiifPKvS6_S6_PKlii, .Lfunc_end15-_ZN12tensorrt_llm7kernels32fusedQKNormRopeKernelNTokenHeadsIN3c104HalfEfLi128ELb0ELi4EEEvPviiifPKvS6_S6_PKlii
                                        ; -- End function
	.section	.AMDGPU.csdata,"",@progbits
; Kernel info:
; codeLenInByte = 2272
; NumSgprs: 23
; NumVgprs: 42
; ScratchSize: 0
; MemoryBound: 0
; FloatMode: 240
; IeeeMode: 1
; LDSByteSize: 0 bytes/workgroup (compile time only)
; SGPRBlocks: 2
; VGPRBlocks: 5
; NumSGPRsForWavesPerEU: 23
; NumVGPRsForWavesPerEU: 42
; Occupancy: 16
; WaveLimiterHint : 0
; COMPUTE_PGM_RSRC2:SCRATCH_EN: 0
; COMPUTE_PGM_RSRC2:USER_SGPR: 15
; COMPUTE_PGM_RSRC2:TRAP_HANDLER: 0
; COMPUTE_PGM_RSRC2:TGID_X_EN: 1
; COMPUTE_PGM_RSRC2:TGID_Y_EN: 0
; COMPUTE_PGM_RSRC2:TGID_Z_EN: 0
; COMPUTE_PGM_RSRC2:TIDIG_COMP_CNT: 0
	.section	.text._ZN12tensorrt_llm7kernels32fusedQKNormRopeKernelNTokenHeadsIN3c104HalfEfLi256ELb1ELi4EEEvPviiifPKvS6_S6_PKlii,"axG",@progbits,_ZN12tensorrt_llm7kernels32fusedQKNormRopeKernelNTokenHeadsIN3c104HalfEfLi256ELb1ELi4EEEvPviiifPKvS6_S6_PKlii,comdat
	.protected	_ZN12tensorrt_llm7kernels32fusedQKNormRopeKernelNTokenHeadsIN3c104HalfEfLi256ELb1ELi4EEEvPviiifPKvS6_S6_PKlii ; -- Begin function _ZN12tensorrt_llm7kernels32fusedQKNormRopeKernelNTokenHeadsIN3c104HalfEfLi256ELb1ELi4EEEvPviiifPKvS6_S6_PKlii
	.globl	_ZN12tensorrt_llm7kernels32fusedQKNormRopeKernelNTokenHeadsIN3c104HalfEfLi256ELb1ELi4EEEvPviiifPKvS6_S6_PKlii
	.p2align	8
	.type	_ZN12tensorrt_llm7kernels32fusedQKNormRopeKernelNTokenHeadsIN3c104HalfEfLi256ELb1ELi4EEEvPviiifPKvS6_S6_PKlii,@function
_ZN12tensorrt_llm7kernels32fusedQKNormRopeKernelNTokenHeadsIN3c104HalfEfLi256ELb1ELi4EEEvPviiifPKvS6_S6_PKlii: ; @_ZN12tensorrt_llm7kernels32fusedQKNormRopeKernelNTokenHeadsIN3c104HalfEfLi256ELb1ELi4EEEvPviiifPKvS6_S6_PKlii
; %bb.0:
	s_clause 0x1
	s_load_b128 s[16:19], s[0:1], 0x8
	s_load_b64 s[2:3], s[0:1], 0x38
	s_waitcnt lgkmcnt(0)
	s_add_i32 s4, s17, s16
	s_delay_alu instid0(SALU_CYCLE_1) | instskip(NEXT) | instid1(SALU_CYCLE_1)
	s_add_i32 s5, s4, 3
	s_ashr_i32 s6, s5, 31
	s_delay_alu instid0(SALU_CYCLE_1) | instskip(NEXT) | instid1(SALU_CYCLE_1)
	s_lshr_b32 s6, s6, 30
	s_add_i32 s5, s5, s6
	s_delay_alu instid0(SALU_CYCLE_1) | instskip(SKIP_2) | instid1(SALU_CYCLE_1)
	s_ashr_i32 s14, s5, 2
	s_load_b32 s5, s[0:1], 0x4c
	s_abs_i32 s6, s14
	v_cvt_f32_u32_e32 v1, s6
	s_sub_i32 s7, 0, s6
	s_delay_alu instid0(VALU_DEP_1) | instskip(SKIP_4) | instid1(VALU_DEP_1)
	v_rcp_iflag_f32_e32 v1, v1
	s_waitcnt_depctr 0xfff
	v_mul_f32_e32 v1, 0x4f7ffffe, v1
	s_waitcnt lgkmcnt(0)
	s_bfe_u32 s5, s5, 0xb0005
	v_cvt_u32_f32_e32 v4, v1
	v_lshrrev_b32_e32 v1, 5, v0
	s_delay_alu instid0(VALU_DEP_2) | instskip(NEXT) | instid1(VALU_DEP_2)
	v_mul_lo_u32 v5, s7, v4
	v_mad_u64_u32 v[2:3], null, s15, s5, v[1:2]
	s_delay_alu instid0(VALU_DEP_2) | instskip(NEXT) | instid1(VALU_DEP_2)
	v_mul_hi_u32 v3, v4, v5
	v_sub_nc_u32_e32 v5, 0, v2
	s_delay_alu instid0(VALU_DEP_1) | instskip(NEXT) | instid1(VALU_DEP_3)
	v_max_i32_e32 v5, v2, v5
	v_add_nc_u32_e32 v3, v4, v3
	s_delay_alu instid0(VALU_DEP_1) | instskip(NEXT) | instid1(VALU_DEP_1)
	v_mul_hi_u32 v3, v5, v3
	v_mul_lo_u32 v4, v3, s6
	s_delay_alu instid0(VALU_DEP_1) | instskip(SKIP_1) | instid1(VALU_DEP_2)
	v_sub_nc_u32_e32 v4, v5, v4
	v_add_nc_u32_e32 v5, 1, v3
	v_subrev_nc_u32_e32 v6, s6, v4
	v_cmp_le_u32_e32 vcc_lo, s6, v4
	s_delay_alu instid0(VALU_DEP_2) | instskip(SKIP_1) | instid1(VALU_DEP_2)
	v_dual_cndmask_b32 v4, v4, v6 :: v_dual_cndmask_b32 v3, v3, v5
	v_xor_b32_e32 v5, s14, v2
	v_cmp_le_u32_e32 vcc_lo, s6, v4
	s_delay_alu instid0(VALU_DEP_3) | instskip(NEXT) | instid1(VALU_DEP_3)
	v_add_nc_u32_e32 v6, 1, v3
	v_ashrrev_i32_e32 v5, 31, v5
	s_delay_alu instid0(VALU_DEP_2) | instskip(NEXT) | instid1(VALU_DEP_1)
	v_cndmask_b32_e32 v3, v3, v6, vcc_lo
	v_xor_b32_e32 v3, v3, v5
	s_delay_alu instid0(VALU_DEP_1) | instskip(NEXT) | instid1(VALU_DEP_1)
	v_sub_nc_u32_e32 v8, v3, v5
	v_cmp_gt_i32_e32 vcc_lo, s2, v8
	s_and_saveexec_b32 s2, vcc_lo
	s_cbranch_execz .LBB16_12
; %bb.1:
	v_mul_lo_u32 v3, v8, s14
	s_load_b64 s[12:13], s[0:1], 0x0
	v_and_b32_e32 v20, 31, v0
	v_lshlrev_b32_e32 v13, 11, v1
	v_lshlrev_b32_e32 v14, 10, v2
	s_lshl_b32 s20, s3, 2
	s_delay_alu instid0(VALU_DEP_3) | instskip(SKIP_2) | instid1(VALU_DEP_1)
	v_lshlrev_b32_e32 v18, 4, v20
	v_sub_nc_u32_e32 v3, v2, v3
	s_mul_i32 s15, s20, s5
	v_lshlrev_b32_e32 v10, 2, v3
	s_delay_alu instid0(VALU_DEP_1) | instskip(SKIP_1) | instid1(VALU_DEP_2)
	v_add_nc_u32_e32 v3, 4, v10
	v_sub_nc_u32_e32 v4, s4, v10
	v_cmp_lt_i32_e32 vcc_lo, s4, v3
	s_delay_alu instid0(VALU_DEP_2) | instskip(NEXT) | instid1(VALU_DEP_1)
	v_cndmask_b32_e32 v11, 4, v4, vcc_lo
	v_cmp_lt_i32_e32 vcc_lo, 0, v11
	s_and_saveexec_b32 s4, vcc_lo
	s_cbranch_execz .LBB16_4
; %bb.2:
	s_add_i32 s2, s18, s17
	s_lshl_b32 s5, s14, 2
	s_add_i32 s2, s2, s16
	s_mov_b32 s6, 0
	s_sub_i32 s2, s2, s5
	s_mov_b32 s5, 0
	v_mul_lo_u32 v2, s2, v8
	s_add_i32 s2, s15, 0
	s_delay_alu instid0(SALU_CYCLE_1) | instskip(NEXT) | instid1(VALU_DEP_2)
	v_add3_u32 v4, s2, v13, v18
	v_lshl_add_u32 v2, v2, 8, v14
	s_delay_alu instid0(VALU_DEP_1)
	v_lshl_or_b32 v2, v20, 3, v2
	.p2align	6
.LBB16_3:                               ; =>This Inner Loop Header: Depth=1
	s_delay_alu instid0(VALU_DEP_1) | instskip(SKIP_1) | instid1(VALU_DEP_1)
	v_ashrrev_i32_e32 v3, 31, v2
	s_add_i32 s6, s6, 1
	v_lshlrev_b64 v[5:6], 1, v[2:3]
	v_add_nc_u32_e32 v2, 0x100, v2
	s_waitcnt lgkmcnt(0)
	s_delay_alu instid0(VALU_DEP_2) | instskip(NEXT) | instid1(VALU_DEP_1)
	v_add_co_u32 v5, s2, s12, v5
	v_add_co_ci_u32_e64 v6, s2, s13, v6, s2
	v_cmp_ge_i32_e64 s2, s6, v11
	global_load_b128 v[21:24], v[5:6], off
	s_or_b32 s5, s2, s5
	s_waitcnt vmcnt(0)
	ds_store_b128 v4, v[21:24]
	v_add_nc_u32_e32 v4, 0x200, v4
	s_and_not1_b32 exec_lo, exec_lo, s5
	s_cbranch_execnz .LBB16_3
.LBB16_4:
	s_or_b32 exec_lo, exec_lo, s4
	s_load_b256 s[4:11], s[0:1], 0x18
	v_mul_lo_u32 v1, v1, s3
	s_add_i32 s0, s20, 15
	s_mov_b32 s20, exec_lo
	s_ashr_i32 s1, s0, 31
	s_delay_alu instid0(SALU_CYCLE_1) | instskip(NEXT) | instid1(SALU_CYCLE_1)
	s_lshr_b32 s1, s1, 28
	s_add_i32 s0, s0, s1
	s_delay_alu instid0(VALU_DEP_1) | instskip(SKIP_1) | instid1(SALU_CYCLE_1)
	v_lshlrev_b32_e32 v12, 2, v1
	s_ashr_i32 s2, s0, 4
	v_cmpx_gt_i32_e64 s2, v20
	s_cbranch_execz .LBB16_7
; %bb.5:
	v_ashrrev_i32_e32 v9, 31, v8
	s_delay_alu instid0(VALU_DEP_1) | instskip(SKIP_1) | instid1(VALU_DEP_1)
	v_lshlrev_b64 v[1:2], 3, v[8:9]
	s_waitcnt lgkmcnt(0)
	v_add_co_u32 v1, s0, s10, v1
	s_delay_alu instid0(VALU_DEP_1)
	v_add_co_ci_u32_e64 v2, s0, s11, v2, s0
	s_ashr_i32 s0, s3, 31
	global_load_b64 v[1:2], v[1:2], off
	s_waitcnt vmcnt(0)
	v_mul_lo_u32 v4, v2, s3
	v_mul_lo_u32 v5, v1, s0
	v_mad_u64_u32 v[2:3], null, v1, s3, 0
	s_delay_alu instid0(VALU_DEP_1) | instskip(SKIP_1) | instid1(VALU_DEP_2)
	v_add3_u32 v3, v3, v5, v4
	v_and_b32_e32 v4, 31, v0
	v_lshlrev_b64 v[0:1], 2, v[2:3]
	s_delay_alu instid0(VALU_DEP_2) | instskip(NEXT) | instid1(VALU_DEP_1)
	v_dual_mov_b32 v3, v20 :: v_dual_lshlrev_b32 v2, 4, v4
	v_add_co_u32 v0, s0, v0, v2
	s_delay_alu instid0(VALU_DEP_1) | instskip(SKIP_1) | instid1(VALU_DEP_3)
	v_add_co_ci_u32_e64 v1, s0, 0, v1, s0
	v_add3_u32 v2, v12, v18, 0
	v_add_co_u32 v0, s0, s8, v0
	s_delay_alu instid0(VALU_DEP_1)
	v_add_co_ci_u32_e64 v1, s0, s9, v1, s0
	s_mov_b32 s8, 0
	.p2align	6
.LBB16_6:                               ; =>This Inner Loop Header: Depth=1
	global_load_b128 v[4:7], v[0:1], off
	v_add_nc_u32_e32 v3, 32, v3
	v_add_co_u32 v0, s0, 0x200, v0
	s_delay_alu instid0(VALU_DEP_1) | instskip(NEXT) | instid1(VALU_DEP_3)
	v_add_co_ci_u32_e64 v1, s0, 0, v1, s0
	v_cmp_le_i32_e64 s1, s2, v3
	s_delay_alu instid0(VALU_DEP_1)
	s_or_b32 s8, s1, s8
	s_waitcnt vmcnt(0)
	ds_store_b128 v2, v[4:7]
	v_add_nc_u32_e32 v2, 0x200, v2
	s_and_not1_b32 exec_lo, exec_lo, s8
	s_cbranch_execnz .LBB16_6
.LBB16_7:
	s_or_b32 exec_lo, exec_lo, s20
	s_delay_alu instid0(SALU_CYCLE_1)
	s_and_b32 exec_lo, exec_lo, vcc_lo
	s_cbranch_execz .LBB16_12
; %bb.8:
	s_waitcnt lgkmcnt(0)
	s_clause 0x1
	global_load_b128 v[0:3], v18, s[4:5]
	global_load_b128 v[4:7], v18, s[6:7]
	v_mbcnt_lo_u32_b32 v9, -1, 0
	s_lshr_b32 s0, s3, 31
	v_add3_u32 v12, 0, v12, v18
	s_add_i32 s0, s3, s0
	v_add_nc_u32_e32 v28, s15, v13
	v_xor_b32_e32 v15, 16, v9
	s_lshl_b32 s0, s0, 1
	v_xor_b32_e32 v16, 8, v9
	s_and_b32 s0, s0, -4
	v_xor_b32_e32 v17, 4, v9
	v_add_nc_u32_e32 v13, s0, v12
	v_cmp_gt_i32_e64 s0, 32, v15
	v_xor_b32_e32 v19, 2, v9
	s_add_i32 s2, s18, s17
	s_lshl_b32 s4, s14, 2
	s_add_i32 s2, s2, s16
	v_cndmask_b32_e64 v15, v9, v15, s0
	v_cmp_gt_i32_e64 s0, 32, v16
	s_sub_i32 s2, s2, s4
	v_xor_b32_e32 v21, 1, v9
	v_mul_lo_u32 v8, s2, v8
	s_ashr_i32 s1, s3, 31
	v_cndmask_b32_e64 v16, v9, v16, s0
	v_cmp_gt_i32_e64 s0, 32, v17
	s_lshr_b32 s1, s1, 29
	v_add3_u32 v18, v28, v18, 0
	s_add_i32 s1, s3, s1
	s_mov_b32 s2, 0
	v_cndmask_b32_e64 v17, v9, v17, s0
	v_cmp_gt_i32_e64 s0, 32, v19
	v_lshl_add_u32 v8, v8, 8, v14
	s_ashr_i32 s1, s1, 3
	v_lshlrev_b32_e32 v14, 2, v15
	v_cmp_gt_i32_e32 vcc_lo, s1, v20
	v_cndmask_b32_e64 v19, v9, v19, s0
	v_cmp_gt_i32_e64 s0, 32, v21
	v_lshlrev_b32_e32 v15, 2, v16
	v_lshlrev_b32_e32 v16, 2, v17
	v_lshl_or_b32 v8, v20, 3, v8
	v_lshlrev_b32_e32 v17, 2, v19
	v_cndmask_b32_e64 v9, v9, v21, s0
	s_mov_b32 s3, 0
	s_delay_alu instid0(VALU_DEP_1)
	v_lshlrev_b32_e32 v19, 2, v9
	s_waitcnt vmcnt(1)
	v_lshrrev_b32_e32 v20, 16, v0
	v_lshrrev_b32_e32 v21, 16, v1
	;; [unrolled: 1-line block ×4, first 2 shown]
	s_waitcnt vmcnt(0)
	v_lshrrev_b32_e32 v24, 16, v4
	v_lshrrev_b32_e32 v25, 16, v5
	;; [unrolled: 1-line block ×4, first 2 shown]
	s_branch .LBB16_10
.LBB16_9:                               ;   in Loop: Header=BB16_10 Depth=1
	s_or_b32 exec_lo, exec_lo, s0
	v_ashrrev_i32_e32 v9, 31, v8
	v_cvt_f16_f32_e32 v36, v32
	v_cvt_f16_f32_e32 v37, v33
	;; [unrolled: 1-line block ×4, first 2 shown]
	v_lshlrev_b64 v[32:33], 1, v[8:9]
	v_cvt_f16_f32_e32 v9, v29
	v_cvt_f16_f32_e32 v29, v30
	;; [unrolled: 1-line block ×4, first 2 shown]
	s_add_i32 s3, s3, 1
	v_add_co_u32 v32, s0, s12, v32
	s_delay_alu instid0(VALU_DEP_1)
	v_add_co_ci_u32_e64 v33, s0, s13, v33, s0
	v_cmp_ge_i32_e64 s0, s3, v11
	v_pack_b32_f16 v31, v30, v28
	v_pack_b32_f16 v30, v9, v29
	;; [unrolled: 1-line block ×4, first 2 shown]
	v_add_nc_u32_e32 v8, 0x100, v8
	v_add_nc_u32_e32 v18, 0x200, v18
	s_or_b32 s2, s0, s2
	global_store_b128 v[32:33], v[28:31], off
	s_and_not1_b32 exec_lo, exec_lo, s2
	s_cbranch_execz .LBB16_12
.LBB16_10:                              ; =>This Inner Loop Header: Depth=1
	ds_load_b128 v[28:31], v18
	v_add_nc_u32_e32 v34, s3, v10
	s_delay_alu instid0(VALU_DEP_1) | instskip(NEXT) | instid1(VALU_DEP_1)
	v_cmp_gt_i32_e64 s0, s16, v34
	v_cndmask_b32_e64 v35, v24, v20, s0
	v_cndmask_b32_e64 v37, v25, v21, s0
	v_cndmask_b32_e64 v36, v5, v1, s0
	v_cndmask_b32_e64 v38, v26, v22, s0
	v_cndmask_b32_e64 v39, v7, v3, s0
	v_cvt_f32_f16_e32 v35, v35
	v_cndmask_b32_e64 v40, v27, v23, s0
	v_cvt_f32_f16_e32 v37, v37
	v_cvt_f32_f16_e32 v36, v36
	s_waitcnt lgkmcnt(0)
	v_lshrrev_b32_e32 v9, 16, v28
	v_cvt_f32_f16_e32 v43, v30
	v_lshrrev_b32_e32 v44, 16, v31
	v_cvt_f32_f16_e32 v38, v38
	v_cvt_f32_f16_e32 v39, v39
	;; [unrolled: 1-line block ×5, first 2 shown]
	s_delay_alu instid0(VALU_DEP_3) | instskip(NEXT) | instid1(VALU_DEP_1)
	v_mul_f32_e32 v32, v9, v9
	v_fma_mix_f32 v32, v28, v28, v32 op_sel_hi:[1,1,0]
	v_cvt_f32_f16_e32 v28, v28
	s_delay_alu instid0(VALU_DEP_2) | instskip(NEXT) | instid1(VALU_DEP_1)
	v_fma_mix_f32 v32, v29, v29, v32 op_sel_hi:[1,1,0]
	v_fma_mix_f32 v32, v29, v29, v32 op_sel:[1,1,0] op_sel_hi:[1,1,0]
	v_lshrrev_b32_e32 v29, 16, v29
	s_delay_alu instid0(VALU_DEP_2) | instskip(NEXT) | instid1(VALU_DEP_2)
	v_fma_mix_f32 v32, v30, v30, v32 op_sel_hi:[1,1,0]
	v_cvt_f32_f16_e32 v29, v29
	s_delay_alu instid0(VALU_DEP_2) | instskip(SKIP_1) | instid1(VALU_DEP_2)
	v_fma_mix_f32 v32, v30, v30, v32 op_sel:[1,1,0] op_sel_hi:[1,1,0]
	v_lshrrev_b32_e32 v30, 16, v30
	v_fma_mix_f32 v32, v31, v31, v32 op_sel_hi:[1,1,0]
	s_delay_alu instid0(VALU_DEP_2) | instskip(NEXT) | instid1(VALU_DEP_2)
	v_cvt_f32_f16_e32 v30, v30
	v_fma_mix_f32 v32, v31, v31, v32 op_sel:[1,1,0] op_sel_hi:[1,1,0]
	v_cvt_f32_f16_e32 v31, v31
	ds_bpermute_b32 v33, v14, v32
	s_waitcnt lgkmcnt(0)
	v_add_f32_e32 v32, v32, v33
	ds_bpermute_b32 v33, v15, v32
	s_waitcnt lgkmcnt(0)
	v_add_f32_e32 v32, v32, v33
	;; [unrolled: 3-line block ×5, first 2 shown]
	v_cndmask_b32_e64 v33, v4, v0, s0
	s_delay_alu instid0(VALU_DEP_2) | instskip(NEXT) | instid1(VALU_DEP_2)
	v_fma_f32 v32, 0x3b800000, v32, s19
	v_cvt_f32_f16_e32 v33, v33
	s_delay_alu instid0(VALU_DEP_2) | instskip(SKIP_1) | instid1(VALU_DEP_1)
	v_mul_f32_e32 v34, 0x4b800000, v32
	v_cmp_gt_f32_e64 s1, 0x800000, v32
	v_cndmask_b32_e64 v32, v32, v34, s1
	v_cndmask_b32_e64 v34, v6, v2, s0
	s_delay_alu instid0(VALU_DEP_2) | instskip(NEXT) | instid1(VALU_DEP_1)
	v_rsq_f32_e32 v32, v32
	v_cvt_f32_f16_e32 v34, v34
	s_waitcnt_depctr 0xfff
	v_mul_f32_e32 v42, 0x45800000, v32
	s_delay_alu instid0(VALU_DEP_1) | instskip(SKIP_1) | instid1(VALU_DEP_2)
	v_cndmask_b32_e64 v32, v32, v42, s1
	v_cvt_f32_f16_e32 v42, v44
	v_mul_f32_e32 v37, v32, v37
	v_mul_f32_e32 v33, v32, v33
	;; [unrolled: 1-line block ×8, first 2 shown]
	v_dual_mul_f32 v32, v33, v28 :: v_dual_mul_f32 v33, v35, v9
	v_mul_f32_e32 v34, v36, v41
	v_mul_f32_e32 v35, v37, v29
	v_dual_mul_f32 v29, v44, v43 :: v_dual_mul_f32 v30, v38, v30
	v_dual_mul_f32 v31, v39, v31 :: v_dual_mul_f32 v28, v40, v42
	s_and_saveexec_b32 s0, vcc_lo
	s_cbranch_execz .LBB16_9
; %bb.11:                               ;   in Loop: Header=BB16_10 Depth=1
	ds_load_2addr_b32 v[36:37], v13 offset1:1
	ds_load_2addr_b32 v[38:39], v13 offset0:2 offset1:3
	ds_load_2addr_b32 v[40:41], v12 offset1:1
	ds_load_2addr_b32 v[42:43], v12 offset0:2 offset1:3
	s_waitcnt lgkmcnt(3)
	v_dual_mul_f32 v9, v33, v36 :: v_dual_mul_f32 v44, v35, v37
	v_dual_mul_f32 v36, v32, v36 :: v_dual_mul_f32 v37, v34, v37
	s_waitcnt lgkmcnt(2)
	v_dual_mul_f32 v45, v30, v38 :: v_dual_mul_f32 v46, v28, v39
	v_dual_mul_f32 v38, v29, v38 :: v_dual_mul_f32 v39, v31, v39
	s_waitcnt lgkmcnt(1)
	v_dual_fmac_f32 v36, v33, v40 :: v_dual_fmac_f32 v37, v35, v41
	v_fma_f32 v32, v32, v40, -v9
	s_waitcnt lgkmcnt(0)
	v_dual_fmac_f32 v38, v30, v42 :: v_dual_fmac_f32 v39, v28, v43
	v_fma_f32 v34, v34, v41, -v44
	v_fma_f32 v29, v29, v42, -v45
	;; [unrolled: 1-line block ×3, first 2 shown]
	s_delay_alu instid0(VALU_DEP_4)
	v_dual_mov_b32 v33, v36 :: v_dual_mov_b32 v30, v38
	v_dual_mov_b32 v35, v37 :: v_dual_mov_b32 v28, v39
	s_branch .LBB16_9
.LBB16_12:
	s_nop 0
	s_sendmsg sendmsg(MSG_DEALLOC_VGPRS)
	s_endpgm
	.section	.rodata,"a",@progbits
	.p2align	6, 0x0
	.amdhsa_kernel _ZN12tensorrt_llm7kernels32fusedQKNormRopeKernelNTokenHeadsIN3c104HalfEfLi256ELb1ELi4EEEvPviiifPKvS6_S6_PKlii
		.amdhsa_group_segment_fixed_size 0
		.amdhsa_private_segment_fixed_size 0
		.amdhsa_kernarg_size 320
		.amdhsa_user_sgpr_count 15
		.amdhsa_user_sgpr_dispatch_ptr 0
		.amdhsa_user_sgpr_queue_ptr 0
		.amdhsa_user_sgpr_kernarg_segment_ptr 1
		.amdhsa_user_sgpr_dispatch_id 0
		.amdhsa_user_sgpr_private_segment_size 0
		.amdhsa_wavefront_size32 1
		.amdhsa_uses_dynamic_stack 0
		.amdhsa_enable_private_segment 0
		.amdhsa_system_sgpr_workgroup_id_x 1
		.amdhsa_system_sgpr_workgroup_id_y 0
		.amdhsa_system_sgpr_workgroup_id_z 0
		.amdhsa_system_sgpr_workgroup_info 0
		.amdhsa_system_vgpr_workitem_id 0
		.amdhsa_next_free_vgpr 47
		.amdhsa_next_free_sgpr 21
		.amdhsa_reserve_vcc 1
		.amdhsa_float_round_mode_32 0
		.amdhsa_float_round_mode_16_64 0
		.amdhsa_float_denorm_mode_32 3
		.amdhsa_float_denorm_mode_16_64 3
		.amdhsa_dx10_clamp 1
		.amdhsa_ieee_mode 1
		.amdhsa_fp16_overflow 0
		.amdhsa_workgroup_processor_mode 1
		.amdhsa_memory_ordered 1
		.amdhsa_forward_progress 0
		.amdhsa_shared_vgpr_count 0
		.amdhsa_exception_fp_ieee_invalid_op 0
		.amdhsa_exception_fp_denorm_src 0
		.amdhsa_exception_fp_ieee_div_zero 0
		.amdhsa_exception_fp_ieee_overflow 0
		.amdhsa_exception_fp_ieee_underflow 0
		.amdhsa_exception_fp_ieee_inexact 0
		.amdhsa_exception_int_div_zero 0
	.end_amdhsa_kernel
	.section	.text._ZN12tensorrt_llm7kernels32fusedQKNormRopeKernelNTokenHeadsIN3c104HalfEfLi256ELb1ELi4EEEvPviiifPKvS6_S6_PKlii,"axG",@progbits,_ZN12tensorrt_llm7kernels32fusedQKNormRopeKernelNTokenHeadsIN3c104HalfEfLi256ELb1ELi4EEEvPviiifPKvS6_S6_PKlii,comdat
.Lfunc_end16:
	.size	_ZN12tensorrt_llm7kernels32fusedQKNormRopeKernelNTokenHeadsIN3c104HalfEfLi256ELb1ELi4EEEvPviiifPKvS6_S6_PKlii, .Lfunc_end16-_ZN12tensorrt_llm7kernels32fusedQKNormRopeKernelNTokenHeadsIN3c104HalfEfLi256ELb1ELi4EEEvPviiifPKvS6_S6_PKlii
                                        ; -- End function
	.section	.AMDGPU.csdata,"",@progbits
; Kernel info:
; codeLenInByte = 1964
; NumSgprs: 23
; NumVgprs: 47
; ScratchSize: 0
; MemoryBound: 0
; FloatMode: 240
; IeeeMode: 1
; LDSByteSize: 0 bytes/workgroup (compile time only)
; SGPRBlocks: 2
; VGPRBlocks: 5
; NumSGPRsForWavesPerEU: 23
; NumVGPRsForWavesPerEU: 47
; Occupancy: 16
; WaveLimiterHint : 0
; COMPUTE_PGM_RSRC2:SCRATCH_EN: 0
; COMPUTE_PGM_RSRC2:USER_SGPR: 15
; COMPUTE_PGM_RSRC2:TRAP_HANDLER: 0
; COMPUTE_PGM_RSRC2:TGID_X_EN: 1
; COMPUTE_PGM_RSRC2:TGID_Y_EN: 0
; COMPUTE_PGM_RSRC2:TGID_Z_EN: 0
; COMPUTE_PGM_RSRC2:TIDIG_COMP_CNT: 0
	.section	.text._ZN12tensorrt_llm7kernels32fusedQKNormRopeKernelNTokenHeadsIN3c104HalfEfLi256ELb0ELi4EEEvPviiifPKvS6_S6_PKlii,"axG",@progbits,_ZN12tensorrt_llm7kernels32fusedQKNormRopeKernelNTokenHeadsIN3c104HalfEfLi256ELb0ELi4EEEvPviiifPKvS6_S6_PKlii,comdat
	.protected	_ZN12tensorrt_llm7kernels32fusedQKNormRopeKernelNTokenHeadsIN3c104HalfEfLi256ELb0ELi4EEEvPviiifPKvS6_S6_PKlii ; -- Begin function _ZN12tensorrt_llm7kernels32fusedQKNormRopeKernelNTokenHeadsIN3c104HalfEfLi256ELb0ELi4EEEvPviiifPKvS6_S6_PKlii
	.globl	_ZN12tensorrt_llm7kernels32fusedQKNormRopeKernelNTokenHeadsIN3c104HalfEfLi256ELb0ELi4EEEvPviiifPKvS6_S6_PKlii
	.p2align	8
	.type	_ZN12tensorrt_llm7kernels32fusedQKNormRopeKernelNTokenHeadsIN3c104HalfEfLi256ELb0ELi4EEEvPviiifPKvS6_S6_PKlii,@function
_ZN12tensorrt_llm7kernels32fusedQKNormRopeKernelNTokenHeadsIN3c104HalfEfLi256ELb0ELi4EEEvPviiifPKvS6_S6_PKlii: ; @_ZN12tensorrt_llm7kernels32fusedQKNormRopeKernelNTokenHeadsIN3c104HalfEfLi256ELb0ELi4EEEvPviiifPKvS6_S6_PKlii
; %bb.0:
	s_clause 0x1
	s_load_b128 s[16:19], s[0:1], 0x8
	s_load_b64 s[2:3], s[0:1], 0x38
	s_waitcnt lgkmcnt(0)
	s_add_i32 s4, s17, s16
	s_delay_alu instid0(SALU_CYCLE_1) | instskip(NEXT) | instid1(SALU_CYCLE_1)
	s_add_i32 s5, s4, 3
	s_ashr_i32 s6, s5, 31
	s_delay_alu instid0(SALU_CYCLE_1) | instskip(NEXT) | instid1(SALU_CYCLE_1)
	s_lshr_b32 s6, s6, 30
	s_add_i32 s5, s5, s6
	s_delay_alu instid0(SALU_CYCLE_1) | instskip(SKIP_2) | instid1(SALU_CYCLE_1)
	s_ashr_i32 s14, s5, 2
	s_load_b32 s5, s[0:1], 0x4c
	s_abs_i32 s6, s14
	v_cvt_f32_u32_e32 v1, s6
	s_sub_i32 s7, 0, s6
	s_delay_alu instid0(VALU_DEP_1) | instskip(SKIP_4) | instid1(VALU_DEP_1)
	v_rcp_iflag_f32_e32 v1, v1
	s_waitcnt_depctr 0xfff
	v_mul_f32_e32 v1, 0x4f7ffffe, v1
	s_waitcnt lgkmcnt(0)
	s_bfe_u32 s5, s5, 0xb0005
	v_cvt_u32_f32_e32 v4, v1
	v_lshrrev_b32_e32 v1, 5, v0
	s_delay_alu instid0(VALU_DEP_2) | instskip(NEXT) | instid1(VALU_DEP_2)
	v_mul_lo_u32 v5, s7, v4
	v_mad_u64_u32 v[2:3], null, s15, s5, v[1:2]
	s_delay_alu instid0(VALU_DEP_2) | instskip(NEXT) | instid1(VALU_DEP_2)
	v_mul_hi_u32 v3, v4, v5
	v_sub_nc_u32_e32 v5, 0, v2
	s_delay_alu instid0(VALU_DEP_1) | instskip(NEXT) | instid1(VALU_DEP_3)
	v_max_i32_e32 v5, v2, v5
	v_add_nc_u32_e32 v3, v4, v3
	s_delay_alu instid0(VALU_DEP_1) | instskip(NEXT) | instid1(VALU_DEP_1)
	v_mul_hi_u32 v3, v5, v3
	v_mul_lo_u32 v4, v3, s6
	s_delay_alu instid0(VALU_DEP_1) | instskip(SKIP_1) | instid1(VALU_DEP_2)
	v_sub_nc_u32_e32 v4, v5, v4
	v_add_nc_u32_e32 v5, 1, v3
	v_subrev_nc_u32_e32 v6, s6, v4
	v_cmp_le_u32_e32 vcc_lo, s6, v4
	s_delay_alu instid0(VALU_DEP_2) | instskip(SKIP_1) | instid1(VALU_DEP_2)
	v_dual_cndmask_b32 v4, v4, v6 :: v_dual_cndmask_b32 v3, v3, v5
	v_xor_b32_e32 v5, s14, v2
	v_cmp_le_u32_e32 vcc_lo, s6, v4
	s_delay_alu instid0(VALU_DEP_3) | instskip(NEXT) | instid1(VALU_DEP_3)
	v_add_nc_u32_e32 v6, 1, v3
	v_ashrrev_i32_e32 v5, 31, v5
	s_delay_alu instid0(VALU_DEP_2) | instskip(NEXT) | instid1(VALU_DEP_1)
	v_cndmask_b32_e32 v3, v3, v6, vcc_lo
	v_xor_b32_e32 v3, v3, v5
	s_delay_alu instid0(VALU_DEP_1) | instskip(NEXT) | instid1(VALU_DEP_1)
	v_sub_nc_u32_e32 v8, v3, v5
	v_cmp_gt_i32_e32 vcc_lo, s2, v8
	s_and_saveexec_b32 s2, vcc_lo
	s_cbranch_execz .LBB17_12
; %bb.1:
	v_mul_lo_u32 v3, v8, s14
	s_load_b64 s[12:13], s[0:1], 0x0
	v_and_b32_e32 v19, 31, v0
	v_lshlrev_b32_e32 v14, 11, v1
	v_lshlrev_b32_e32 v13, 10, v2
	s_lshl_b32 s20, s3, 2
	s_delay_alu instid0(VALU_DEP_3) | instskip(SKIP_2) | instid1(VALU_DEP_1)
	v_lshlrev_b32_e32 v12, 4, v19
	v_sub_nc_u32_e32 v3, v2, v3
	s_mul_i32 s15, s20, s5
	v_lshlrev_b32_e32 v10, 2, v3
	s_delay_alu instid0(VALU_DEP_1) | instskip(SKIP_1) | instid1(VALU_DEP_2)
	v_add_nc_u32_e32 v3, 4, v10
	v_sub_nc_u32_e32 v4, s4, v10
	v_cmp_lt_i32_e32 vcc_lo, s4, v3
	s_delay_alu instid0(VALU_DEP_2) | instskip(NEXT) | instid1(VALU_DEP_1)
	v_cndmask_b32_e32 v11, 4, v4, vcc_lo
	v_cmp_lt_i32_e32 vcc_lo, 0, v11
	s_and_saveexec_b32 s4, vcc_lo
	s_cbranch_execz .LBB17_4
; %bb.2:
	s_add_i32 s2, s18, s17
	s_lshl_b32 s5, s14, 2
	s_add_i32 s2, s2, s16
	s_mov_b32 s6, 0
	s_sub_i32 s2, s2, s5
	s_mov_b32 s5, 0
	v_mul_lo_u32 v2, s2, v8
	s_add_i32 s2, s15, 0
	s_delay_alu instid0(SALU_CYCLE_1) | instskip(NEXT) | instid1(VALU_DEP_2)
	v_add3_u32 v4, s2, v14, v12
	v_lshl_add_u32 v2, v2, 8, v13
	s_delay_alu instid0(VALU_DEP_1)
	v_lshl_or_b32 v2, v19, 3, v2
	.p2align	6
.LBB17_3:                               ; =>This Inner Loop Header: Depth=1
	s_delay_alu instid0(VALU_DEP_1) | instskip(SKIP_1) | instid1(VALU_DEP_1)
	v_ashrrev_i32_e32 v3, 31, v2
	s_add_i32 s6, s6, 1
	v_lshlrev_b64 v[5:6], 1, v[2:3]
	v_add_nc_u32_e32 v2, 0x100, v2
	s_waitcnt lgkmcnt(0)
	s_delay_alu instid0(VALU_DEP_2) | instskip(NEXT) | instid1(VALU_DEP_1)
	v_add_co_u32 v5, s2, s12, v5
	v_add_co_ci_u32_e64 v6, s2, s13, v6, s2
	v_cmp_ge_i32_e64 s2, s6, v11
	global_load_b128 v[15:18], v[5:6], off
	s_or_b32 s5, s2, s5
	s_waitcnt vmcnt(0)
	ds_store_b128 v4, v[15:18]
	v_add_nc_u32_e32 v4, 0x200, v4
	s_and_not1_b32 exec_lo, exec_lo, s5
	s_cbranch_execnz .LBB17_3
.LBB17_4:
	s_or_b32 exec_lo, exec_lo, s4
	s_load_b256 s[4:11], s[0:1], 0x18
	s_add_i32 s0, s20, 15
	v_mul_lo_u32 v15, v1, s3
	s_ashr_i32 s1, s0, 31
	s_mov_b32 s20, exec_lo
	s_lshr_b32 s1, s1, 28
	s_delay_alu instid0(SALU_CYCLE_1) | instskip(NEXT) | instid1(SALU_CYCLE_1)
	s_add_i32 s0, s0, s1
	s_ashr_i32 s2, s0, 4
	s_delay_alu instid0(SALU_CYCLE_1)
	v_cmpx_gt_i32_e64 s2, v19
	s_cbranch_execz .LBB17_7
; %bb.5:
	v_ashrrev_i32_e32 v9, 31, v8
	s_delay_alu instid0(VALU_DEP_1) | instskip(SKIP_1) | instid1(VALU_DEP_1)
	v_lshlrev_b64 v[1:2], 3, v[8:9]
	s_waitcnt lgkmcnt(0)
	v_add_co_u32 v1, s0, s10, v1
	s_delay_alu instid0(VALU_DEP_1)
	v_add_co_ci_u32_e64 v2, s0, s11, v2, s0
	s_ashr_i32 s0, s3, 31
	global_load_b64 v[1:2], v[1:2], off
	s_waitcnt vmcnt(0)
	v_mul_lo_u32 v4, v2, s3
	v_mul_lo_u32 v5, v1, s0
	v_mad_u64_u32 v[2:3], null, v1, s3, 0
	s_delay_alu instid0(VALU_DEP_1) | instskip(SKIP_1) | instid1(VALU_DEP_2)
	v_add3_u32 v3, v3, v5, v4
	v_and_b32_e32 v4, 31, v0
	v_lshlrev_b64 v[0:1], 2, v[2:3]
	s_delay_alu instid0(VALU_DEP_2) | instskip(SKIP_1) | instid1(VALU_DEP_2)
	v_lshlrev_b32_e32 v2, 4, v4
	v_lshlrev_b32_e32 v3, 2, v15
	v_add_co_u32 v0, s0, v0, v2
	s_delay_alu instid0(VALU_DEP_1) | instskip(NEXT) | instid1(VALU_DEP_3)
	v_add_co_ci_u32_e64 v1, s0, 0, v1, s0
	v_add3_u32 v2, v3, v12, 0
	v_mov_b32_e32 v3, v19
	s_delay_alu instid0(VALU_DEP_4) | instskip(NEXT) | instid1(VALU_DEP_1)
	v_add_co_u32 v0, s0, s8, v0
	v_add_co_ci_u32_e64 v1, s0, s9, v1, s0
	s_mov_b32 s8, 0
	.p2align	6
.LBB17_6:                               ; =>This Inner Loop Header: Depth=1
	global_load_b128 v[4:7], v[0:1], off
	v_add_nc_u32_e32 v3, 32, v3
	v_add_co_u32 v0, s0, 0x200, v0
	s_delay_alu instid0(VALU_DEP_1) | instskip(NEXT) | instid1(VALU_DEP_3)
	v_add_co_ci_u32_e64 v1, s0, 0, v1, s0
	v_cmp_le_i32_e64 s1, s2, v3
	s_delay_alu instid0(VALU_DEP_1)
	s_or_b32 s8, s1, s8
	s_waitcnt vmcnt(0)
	ds_store_b128 v2, v[4:7]
	v_add_nc_u32_e32 v2, 0x200, v2
	s_and_not1_b32 exec_lo, exec_lo, s8
	s_cbranch_execnz .LBB17_6
.LBB17_7:
	s_or_b32 exec_lo, exec_lo, s20
	s_delay_alu instid0(SALU_CYCLE_1)
	s_and_b32 exec_lo, exec_lo, vcc_lo
	s_cbranch_execz .LBB17_12
; %bb.8:
	s_waitcnt lgkmcnt(0)
	s_clause 0x1
	global_load_b128 v[0:3], v12, s[4:5]
	global_load_b128 v[4:7], v12, s[6:7]
	s_abs_i32 s2, s3
	v_add_nc_u32_e32 v43, s15, v14
	v_cvt_f32_u32_e32 v14, s2
	v_lshl_add_u32 v9, v15, 2, 0
	v_mbcnt_lo_u32_b32 v15, -1, 0
	s_lshr_b32 s0, s3, 31
	s_ashr_i32 s1, s3, 31
	v_rcp_iflag_f32_e32 v14, v14
	s_add_i32 s0, s3, s0
	s_lshr_b32 s6, s1, 29
	s_lshr_b32 s1, s1, 28
	v_xor_b32_e32 v16, 16, v15
	s_lshl_b32 s0, s0, 1
	s_add_i32 s1, s3, s1
	s_sub_i32 s7, 0, s2
	s_and_b32 s0, s0, -4
	s_ashr_i32 s1, s1, 4
	s_waitcnt_depctr 0xfff
	v_mul_f32_e32 v14, 0x4f7ffffe, v14
	v_xor_b32_e32 v17, 8, v15
	v_add_nc_u32_e32 v34, s0, v9
	v_cmp_gt_i32_e64 s0, s1, v19
	s_add_i32 s4, s18, s17
	v_cvt_u32_f32_e32 v29, v14
	v_xor_b32_e32 v14, s1, v15
	v_cmp_gt_i32_e64 s1, 32, v16
	s_lshl_b32 s5, s14, 2
	s_add_i32 s4, s4, s16
	v_mul_lo_u32 v30, s7, v29
	s_add_i32 s6, s3, s6
	s_sub_i32 s3, s4, s5
	v_xor_b32_e32 v18, 4, v15
	v_cndmask_b32_e64 v16, v15, v16, s1
	v_cmp_gt_i32_e64 s1, 32, v17
	v_mul_lo_u32 v8, s3, v8
	v_xor_b32_e32 v27, 2, v15
	v_mul_hi_u32 v30, v29, v30
	v_xor_b32_e32 v28, 1, v15
	v_cndmask_b32_e64 v17, v15, v17, s1
	v_cmp_gt_i32_e64 s1, 32, v18
	s_ashr_i32 s4, s6, 3
	v_or_b32_e32 v20, 2, v12
	v_lshl_add_u32 v8, v8, 8, v13
	v_lshlrev_b32_e32 v13, 2, v16
	v_cndmask_b32_e64 v18, v15, v18, s1
	v_cmp_gt_i32_e64 s1, 32, v27
	v_add_nc_u32_e32 v29, v29, v30
	v_cmp_gt_i32_e32 vcc_lo, s4, v19
	v_lshl_or_b32 v8, v19, 3, v8
	v_or_b32_e32 v21, 4, v12
	v_cndmask_b32_e64 v27, v15, v27, s1
	v_cmp_gt_i32_e64 s1, 32, v28
	v_mul_hi_u32 v19, v12, v29
	v_or_b32_e32 v22, 6, v12
	v_or_b32_e32 v23, 8, v12
	v_lshlrev_b32_e32 v16, 2, v27
	v_cndmask_b32_e64 v28, v15, v28, s1
	v_cmp_gt_i32_e64 s1, 32, v14
	v_mul_hi_u32 v27, v20, v29
	v_or_b32_e32 v24, 10, v12
	v_mul_lo_u32 v19, v19, s2
	v_or_b32_e32 v25, 12, v12
	v_or_b32_e32 v26, 14, v12
	v_cndmask_b32_e64 v31, v15, v14, s1
	v_lshlrev_b32_e32 v14, 2, v17
	v_lshlrev_b32_e32 v17, 2, v28
	v_mul_hi_u32 v28, v21, v29
	v_mul_lo_u32 v27, v27, s2
	v_lshlrev_b32_e32 v15, 2, v18
	v_lshlrev_b32_e32 v18, 2, v31
	v_mul_hi_u32 v30, v22, v29
	v_mul_hi_u32 v31, v23, v29
	;; [unrolled: 1-line block ×5, first 2 shown]
	v_sub_nc_u32_e32 v19, v12, v19
	v_mul_lo_u32 v28, v28, s2
	v_sub_nc_u32_e32 v20, v20, v27
	v_mul_lo_u32 v30, v30, s2
	v_mul_lo_u32 v31, v31, s2
	v_subrev_nc_u32_e32 v27, s2, v19
	v_cmp_le_u32_e64 s1, s2, v19
	v_mul_lo_u32 v29, v29, s2
	v_mul_lo_u32 v32, v32, s2
	v_sub_nc_u32_e32 v21, v21, v28
	v_subrev_nc_u32_e32 v28, s2, v20
	v_cndmask_b32_e64 v19, v19, v27, s1
	v_cmp_le_u32_e64 s1, s2, v20
	v_sub_nc_u32_e32 v22, v22, v30
	v_sub_nc_u32_e32 v23, v23, v31
	;; [unrolled: 1-line block ×3, first 2 shown]
	v_subrev_nc_u32_e32 v29, s2, v21
	v_cndmask_b32_e64 v20, v20, v28, s1
	v_cmp_le_u32_e64 s1, s2, v21
	v_subrev_nc_u32_e32 v30, s2, v22
	v_mul_lo_u32 v33, v33, s2
	v_sub_nc_u32_e32 v24, v24, v32
	v_subrev_nc_u32_e32 v31, s2, v23
	v_cndmask_b32_e64 v21, v21, v29, s1
	v_cmp_le_u32_e64 s1, s2, v22
	v_subrev_nc_u32_e32 v35, s2, v26
	v_subrev_nc_u32_e32 v32, s2, v24
	;; [unrolled: 1-line block ×3, first 2 shown]
	v_sub_nc_u32_e32 v25, v25, v33
	v_cndmask_b32_e64 v22, v22, v30, s1
	v_cmp_le_u32_e64 s1, s2, v23
	v_subrev_nc_u32_e32 v28, s2, v20
	v_subrev_nc_u32_e32 v29, s2, v21
	;; [unrolled: 1-line block ×4, first 2 shown]
	v_cndmask_b32_e64 v23, v23, v31, s1
	v_cmp_le_u32_e64 s1, s2, v24
	v_add3_u32 v12, v43, v12, 0
	s_mov_b32 s3, 0
	s_mov_b32 s4, 0
	v_subrev_nc_u32_e32 v31, s2, v23
	v_cndmask_b32_e64 v24, v24, v32, s1
	v_cmp_le_u32_e64 s1, s2, v25
	s_delay_alu instid0(VALU_DEP_2) | instskip(NEXT) | instid1(VALU_DEP_2)
	v_subrev_nc_u32_e32 v32, s2, v24
	v_cndmask_b32_e64 v25, v25, v33, s1
	v_cmp_le_u32_e64 s1, s2, v26
	s_delay_alu instid0(VALU_DEP_2) | instskip(NEXT) | instid1(VALU_DEP_2)
	;; [unrolled: 4-line block ×4, first 2 shown]
	v_lshlrev_b32_e32 v19, 1, v19
	v_cndmask_b32_e64 v20, v20, v28, s1
	v_cmp_le_u32_e64 s1, s2, v21
	s_delay_alu instid0(VALU_DEP_3) | instskip(NEXT) | instid1(VALU_DEP_3)
	v_and_b32_e32 v27, -4, v19
	v_lshlrev_b32_e32 v20, 1, v20
	s_delay_alu instid0(VALU_DEP_3) | instskip(SKIP_1) | instid1(VALU_DEP_4)
	v_cndmask_b32_e64 v21, v21, v29, s1
	v_cmp_le_u32_e64 s1, s2, v22
	v_add_nc_u32_e32 v19, v9, v27
	s_delay_alu instid0(VALU_DEP_4) | instskip(NEXT) | instid1(VALU_DEP_4)
	v_and_b32_e32 v28, -4, v20
	v_lshlrev_b32_e32 v21, 1, v21
	s_delay_alu instid0(VALU_DEP_4) | instskip(SKIP_2) | instid1(VALU_DEP_4)
	v_cndmask_b32_e64 v22, v22, v30, s1
	v_cmp_le_u32_e64 s1, s2, v23
	v_add_nc_u32_e32 v20, v34, v27
	v_and_b32_e32 v29, -4, v21
	s_delay_alu instid0(VALU_DEP_4) | instskip(NEXT) | instid1(VALU_DEP_4)
	v_lshlrev_b32_e32 v22, 1, v22
	v_cndmask_b32_e64 v23, v23, v31, s1
	v_cmp_le_u32_e64 s1, s2, v24
	v_add_nc_u32_e32 v21, v9, v28
	s_delay_alu instid0(VALU_DEP_4) | instskip(NEXT) | instid1(VALU_DEP_4)
	v_and_b32_e32 v30, -4, v22
	v_lshlrev_b32_e32 v23, 1, v23
	s_delay_alu instid0(VALU_DEP_4) | instskip(SKIP_2) | instid1(VALU_DEP_4)
	v_cndmask_b32_e64 v24, v24, v32, s1
	v_cmp_le_u32_e64 s1, s2, v25
	v_add_nc_u32_e32 v22, v34, v28
	v_and_b32_e32 v31, -4, v23
	s_delay_alu instid0(VALU_DEP_4) | instskip(NEXT) | instid1(VALU_DEP_4)
	v_lshlrev_b32_e32 v24, 1, v24
	v_cndmask_b32_e64 v25, v25, v33, s1
	v_cmp_le_u32_e64 s1, s2, v26
	v_add_nc_u32_e32 v23, v9, v29
	v_add_nc_u32_e32 v27, v9, v31
	v_and_b32_e32 v32, -4, v24
	v_lshlrev_b32_e32 v25, 1, v25
	v_cndmask_b32_e64 v26, v26, v35, s1
	v_add_nc_u32_e32 v24, v34, v29
	v_add_nc_u32_e32 v28, v34, v31
	;; [unrolled: 1-line block ×3, first 2 shown]
	v_and_b32_e32 v33, -4, v25
	v_lshlrev_b32_e32 v26, 1, v26
	v_add_nc_u32_e32 v25, v9, v30
	s_delay_alu instid0(VALU_DEP_3) | instskip(NEXT) | instid1(VALU_DEP_3)
	v_add_nc_u32_e32 v31, v9, v33
	v_and_b32_e32 v35, -4, v26
	v_add_nc_u32_e32 v26, v34, v30
	v_add_nc_u32_e32 v30, v34, v32
	;; [unrolled: 1-line block ×3, first 2 shown]
	s_delay_alu instid0(VALU_DEP_4)
	v_add_nc_u32_e32 v33, v9, v35
	v_add_nc_u32_e32 v34, v34, v35
	s_waitcnt vmcnt(1)
	v_lshrrev_b32_e32 v35, 16, v0
	v_lshrrev_b32_e32 v36, 16, v1
	;; [unrolled: 1-line block ×4, first 2 shown]
	s_waitcnt vmcnt(0)
	v_lshrrev_b32_e32 v39, 16, v4
	v_lshrrev_b32_e32 v40, 16, v5
	;; [unrolled: 1-line block ×4, first 2 shown]
	s_branch .LBB17_10
.LBB17_9:                               ;   in Loop: Header=BB17_10 Depth=1
	s_or_b32 exec_lo, exec_lo, s1
	v_ashrrev_i32_e32 v9, 31, v8
	v_cvt_f16_f32_e32 v51, v48
	v_cvt_f16_f32_e32 v52, v47
	v_cvt_f16_f32_e32 v49, v49
	v_cvt_f16_f32_e32 v50, v50
	v_lshlrev_b64 v[47:48], 1, v[8:9]
	v_cvt_f16_f32_e32 v9, v44
	v_cvt_f16_f32_e32 v44, v45
	;; [unrolled: 1-line block ×4, first 2 shown]
	s_add_i32 s4, s4, 1
	v_add_co_u32 v47, s1, s12, v47
	s_delay_alu instid0(VALU_DEP_1)
	v_add_co_ci_u32_e64 v48, s1, s13, v48, s1
	v_cmp_ge_i32_e64 s1, s4, v11
	v_pack_b32_f16 v46, v45, v43
	v_pack_b32_f16 v45, v9, v44
	;; [unrolled: 1-line block ×4, first 2 shown]
	v_add_nc_u32_e32 v8, 0x100, v8
	v_add_nc_u32_e32 v12, 0x200, v12
	s_or_b32 s3, s1, s3
	global_store_b128 v[47:48], v[43:46], off
	s_and_not1_b32 exec_lo, exec_lo, s3
	s_cbranch_execz .LBB17_12
.LBB17_10:                              ; =>This Inner Loop Header: Depth=1
	ds_load_b128 v[43:46], v12
	v_add_nc_u32_e32 v49, s4, v10
	s_delay_alu instid0(VALU_DEP_1) | instskip(NEXT) | instid1(VALU_DEP_1)
	v_cmp_gt_i32_e64 s1, s16, v49
	v_cndmask_b32_e64 v50, v39, v35, s1
	v_cndmask_b32_e64 v52, v40, v36, s1
	v_cndmask_b32_e64 v51, v5, v1, s1
	v_cndmask_b32_e64 v53, v41, v37, s1
	v_cndmask_b32_e64 v54, v7, v3, s1
	v_cvt_f32_f16_e32 v50, v50
	v_cndmask_b32_e64 v55, v42, v38, s1
	v_cvt_f32_f16_e32 v52, v52
	v_cvt_f32_f16_e32 v51, v51
	s_waitcnt lgkmcnt(0)
	v_lshrrev_b32_e32 v9, 16, v43
	v_lshrrev_b32_e32 v59, 16, v46
	v_cvt_f32_f16_e32 v53, v53
	v_cvt_f32_f16_e32 v54, v54
	;; [unrolled: 1-line block ×6, first 2 shown]
	s_delay_alu instid0(VALU_DEP_3) | instskip(NEXT) | instid1(VALU_DEP_1)
	v_mul_f32_e32 v47, v9, v9
	v_fma_mix_f32 v47, v43, v43, v47 op_sel_hi:[1,1,0]
	v_cvt_f32_f16_e32 v43, v43
	s_delay_alu instid0(VALU_DEP_2) | instskip(NEXT) | instid1(VALU_DEP_1)
	v_fma_mix_f32 v47, v44, v44, v47 op_sel_hi:[1,1,0]
	v_fma_mix_f32 v47, v44, v44, v47 op_sel:[1,1,0] op_sel_hi:[1,1,0]
	v_lshrrev_b32_e32 v44, 16, v44
	s_delay_alu instid0(VALU_DEP_2) | instskip(NEXT) | instid1(VALU_DEP_2)
	v_fma_mix_f32 v47, v45, v45, v47 op_sel_hi:[1,1,0]
	v_cvt_f32_f16_e32 v44, v44
	s_delay_alu instid0(VALU_DEP_2) | instskip(SKIP_1) | instid1(VALU_DEP_2)
	v_fma_mix_f32 v47, v45, v45, v47 op_sel:[1,1,0] op_sel_hi:[1,1,0]
	v_lshrrev_b32_e32 v45, 16, v45
	v_fma_mix_f32 v47, v46, v46, v47 op_sel_hi:[1,1,0]
	s_delay_alu instid0(VALU_DEP_2) | instskip(NEXT) | instid1(VALU_DEP_2)
	v_cvt_f32_f16_e32 v45, v45
	v_fma_mix_f32 v47, v46, v46, v47 op_sel:[1,1,0] op_sel_hi:[1,1,0]
	v_cvt_f32_f16_e32 v46, v46
	ds_bpermute_b32 v48, v13, v47
	s_waitcnt lgkmcnt(0)
	v_add_f32_e32 v47, v47, v48
	ds_bpermute_b32 v48, v14, v47
	s_waitcnt lgkmcnt(0)
	v_add_f32_e32 v47, v47, v48
	;; [unrolled: 3-line block ×5, first 2 shown]
	v_cndmask_b32_e64 v48, v4, v0, s1
	s_delay_alu instid0(VALU_DEP_2) | instskip(NEXT) | instid1(VALU_DEP_2)
	v_fma_f32 v47, 0x3b800000, v47, s19
	v_cvt_f32_f16_e32 v48, v48
	s_delay_alu instid0(VALU_DEP_2) | instskip(SKIP_1) | instid1(VALU_DEP_1)
	v_mul_f32_e32 v49, 0x4b800000, v47
	v_cmp_gt_f32_e64 s2, 0x800000, v47
	v_cndmask_b32_e64 v47, v47, v49, s2
	v_cndmask_b32_e64 v49, v6, v2, s1
	s_delay_alu instid0(VALU_DEP_2) | instskip(NEXT) | instid1(VALU_DEP_1)
	v_rsq_f32_e32 v47, v47
	v_cvt_f32_f16_e32 v49, v49
	s_waitcnt_depctr 0xfff
	v_mul_f32_e32 v57, 0x45800000, v47
	s_delay_alu instid0(VALU_DEP_1) | instskip(SKIP_1) | instid1(VALU_DEP_2)
	v_cndmask_b32_e64 v47, v47, v57, s2
	v_cvt_f32_f16_e32 v57, v59
	v_mul_f32_e32 v52, v47, v52
	v_mul_f32_e32 v48, v47, v48
	;; [unrolled: 1-line block ×6, first 2 shown]
	s_delay_alu instid0(VALU_DEP_4) | instskip(SKIP_2) | instid1(VALU_DEP_4)
	v_dual_mul_f32 v54, v47, v54 :: v_dual_mul_f32 v49, v50, v9
	v_mul_f32_e32 v55, v47, v55
	v_mul_f32_e32 v48, v48, v43
	v_dual_mul_f32 v50, v51, v56 :: v_dual_mul_f32 v45, v53, v45
	v_dual_mul_f32 v47, v52, v44 :: v_dual_mul_f32 v44, v59, v58
	s_delay_alu instid0(VALU_DEP_4)
	v_dual_mul_f32 v46, v54, v46 :: v_dual_mul_f32 v43, v55, v57
	s_and_saveexec_b32 s1, vcc_lo
	s_cbranch_execz .LBB17_9
; %bb.11:                               ;   in Loop: Header=BB17_10 Depth=1
	ds_bpermute_b32 v9, v18, v48
	ds_bpermute_b32 v51, v18, v49
	;; [unrolled: 1-line block ×3, first 2 shown]
	; wave barrier
	ds_load_b32 v54, v19
	ds_load_b32 v55, v20
	;; [unrolled: 1-line block ×8, first 2 shown]
	ds_bpermute_b32 v53, v18, v47
	ds_bpermute_b32 v62, v18, v44
	;; [unrolled: 1-line block ×5, first 2 shown]
	ds_load_b32 v66, v27
	ds_load_b32 v67, v28
	;; [unrolled: 1-line block ×8, first 2 shown]
	; wave barrier
	s_waitcnt lgkmcnt(23)
	v_cndmask_b32_e64 v9, v9, -v9, s0
	s_waitcnt lgkmcnt(22)
	v_cndmask_b32_e64 v51, v51, -v51, s0
	;; [unrolled: 2-line block ×3, first 2 shown]
	s_waitcnt lgkmcnt(15)
	s_delay_alu instid0(VALU_DEP_1) | instskip(SKIP_1) | instid1(VALU_DEP_2)
	v_dual_mul_f32 v51, v51, v57 :: v_dual_mul_f32 v52, v52, v59
	v_mul_f32_e32 v9, v9, v55
	v_dual_fmac_f32 v51, v49, v56 :: v_dual_fmac_f32 v52, v50, v58
	s_waitcnt lgkmcnt(11)
	v_cndmask_b32_e64 v49, v62, -v62, s0
	s_delay_alu instid0(VALU_DEP_3)
	v_fmac_f32_e32 v9, v48, v54
	v_cndmask_b32_e64 v48, v53, -v53, s0
	s_waitcnt lgkmcnt(10)
	v_cndmask_b32_e64 v50, v63, -v63, s0
	s_waitcnt lgkmcnt(9)
	;; [unrolled: 2-line block ×3, first 2 shown]
	v_mul_f32_e32 v56, v49, v67
	v_cndmask_b32_e64 v54, v65, -v65, s0
	v_dual_mul_f32 v55, v48, v61 :: v_dual_mov_b32 v48, v9
	s_waitcnt lgkmcnt(4)
	s_delay_alu instid0(VALU_DEP_3) | instskip(SKIP_3) | instid1(VALU_DEP_3)
	v_dual_mul_f32 v57, v50, v69 :: v_dual_fmac_f32 v56, v44, v66
	s_waitcnt lgkmcnt(2)
	v_dual_mul_f32 v54, v54, v71 :: v_dual_mul_f32 v53, v53, v70
	v_dual_fmac_f32 v55, v47, v60 :: v_dual_mov_b32 v50, v52
	v_dual_fmac_f32 v57, v45, v68 :: v_dual_mov_b32 v44, v56
	s_waitcnt lgkmcnt(0)
	s_delay_alu instid0(VALU_DEP_3) | instskip(SKIP_3) | instid1(VALU_DEP_4)
	v_dual_fmac_f32 v54, v43, v73 :: v_dual_fmac_f32 v53, v46, v72
	v_mov_b32_e32 v49, v51
	v_mov_b32_e32 v47, v55
	;; [unrolled: 1-line block ×3, first 2 shown]
	v_dual_mov_b32 v43, v54 :: v_dual_mov_b32 v46, v53
	s_branch .LBB17_9
.LBB17_12:
	s_nop 0
	s_sendmsg sendmsg(MSG_DEALLOC_VGPRS)
	s_endpgm
	.section	.rodata,"a",@progbits
	.p2align	6, 0x0
	.amdhsa_kernel _ZN12tensorrt_llm7kernels32fusedQKNormRopeKernelNTokenHeadsIN3c104HalfEfLi256ELb0ELi4EEEvPviiifPKvS6_S6_PKlii
		.amdhsa_group_segment_fixed_size 0
		.amdhsa_private_segment_fixed_size 0
		.amdhsa_kernarg_size 320
		.amdhsa_user_sgpr_count 15
		.amdhsa_user_sgpr_dispatch_ptr 0
		.amdhsa_user_sgpr_queue_ptr 0
		.amdhsa_user_sgpr_kernarg_segment_ptr 1
		.amdhsa_user_sgpr_dispatch_id 0
		.amdhsa_user_sgpr_private_segment_size 0
		.amdhsa_wavefront_size32 1
		.amdhsa_uses_dynamic_stack 0
		.amdhsa_enable_private_segment 0
		.amdhsa_system_sgpr_workgroup_id_x 1
		.amdhsa_system_sgpr_workgroup_id_y 0
		.amdhsa_system_sgpr_workgroup_id_z 0
		.amdhsa_system_sgpr_workgroup_info 0
		.amdhsa_system_vgpr_workitem_id 0
		.amdhsa_next_free_vgpr 74
		.amdhsa_next_free_sgpr 21
		.amdhsa_reserve_vcc 1
		.amdhsa_float_round_mode_32 0
		.amdhsa_float_round_mode_16_64 0
		.amdhsa_float_denorm_mode_32 3
		.amdhsa_float_denorm_mode_16_64 3
		.amdhsa_dx10_clamp 1
		.amdhsa_ieee_mode 1
		.amdhsa_fp16_overflow 0
		.amdhsa_workgroup_processor_mode 1
		.amdhsa_memory_ordered 1
		.amdhsa_forward_progress 0
		.amdhsa_shared_vgpr_count 0
		.amdhsa_exception_fp_ieee_invalid_op 0
		.amdhsa_exception_fp_denorm_src 0
		.amdhsa_exception_fp_ieee_div_zero 0
		.amdhsa_exception_fp_ieee_overflow 0
		.amdhsa_exception_fp_ieee_underflow 0
		.amdhsa_exception_fp_ieee_inexact 0
		.amdhsa_exception_int_div_zero 0
	.end_amdhsa_kernel
	.section	.text._ZN12tensorrt_llm7kernels32fusedQKNormRopeKernelNTokenHeadsIN3c104HalfEfLi256ELb0ELi4EEEvPviiifPKvS6_S6_PKlii,"axG",@progbits,_ZN12tensorrt_llm7kernels32fusedQKNormRopeKernelNTokenHeadsIN3c104HalfEfLi256ELb0ELi4EEEvPviiifPKvS6_S6_PKlii,comdat
.Lfunc_end17:
	.size	_ZN12tensorrt_llm7kernels32fusedQKNormRopeKernelNTokenHeadsIN3c104HalfEfLi256ELb0ELi4EEEvPviiifPKvS6_S6_PKlii, .Lfunc_end17-_ZN12tensorrt_llm7kernels32fusedQKNormRopeKernelNTokenHeadsIN3c104HalfEfLi256ELb0ELi4EEEvPviiifPKvS6_S6_PKlii
                                        ; -- End function
	.section	.AMDGPU.csdata,"",@progbits
; Kernel info:
; codeLenInByte = 3020
; NumSgprs: 23
; NumVgprs: 74
; ScratchSize: 0
; MemoryBound: 0
; FloatMode: 240
; IeeeMode: 1
; LDSByteSize: 0 bytes/workgroup (compile time only)
; SGPRBlocks: 2
; VGPRBlocks: 9
; NumSGPRsForWavesPerEU: 23
; NumVGPRsForWavesPerEU: 74
; Occupancy: 16
; WaveLimiterHint : 0
; COMPUTE_PGM_RSRC2:SCRATCH_EN: 0
; COMPUTE_PGM_RSRC2:USER_SGPR: 15
; COMPUTE_PGM_RSRC2:TRAP_HANDLER: 0
; COMPUTE_PGM_RSRC2:TGID_X_EN: 1
; COMPUTE_PGM_RSRC2:TGID_Y_EN: 0
; COMPUTE_PGM_RSRC2:TGID_Z_EN: 0
; COMPUTE_PGM_RSRC2:TIDIG_COMP_CNT: 0
	.section	.text._ZN12tensorrt_llm7kernels32fusedQKNormRopeKernelNTokenHeadsIN3c104HalfEfLi64ELb1ELi8EEEvPviiifPKvS6_S6_PKlii,"axG",@progbits,_ZN12tensorrt_llm7kernels32fusedQKNormRopeKernelNTokenHeadsIN3c104HalfEfLi64ELb1ELi8EEEvPviiifPKvS6_S6_PKlii,comdat
	.protected	_ZN12tensorrt_llm7kernels32fusedQKNormRopeKernelNTokenHeadsIN3c104HalfEfLi64ELb1ELi8EEEvPviiifPKvS6_S6_PKlii ; -- Begin function _ZN12tensorrt_llm7kernels32fusedQKNormRopeKernelNTokenHeadsIN3c104HalfEfLi64ELb1ELi8EEEvPviiifPKvS6_S6_PKlii
	.globl	_ZN12tensorrt_llm7kernels32fusedQKNormRopeKernelNTokenHeadsIN3c104HalfEfLi64ELb1ELi8EEEvPviiifPKvS6_S6_PKlii
	.p2align	8
	.type	_ZN12tensorrt_llm7kernels32fusedQKNormRopeKernelNTokenHeadsIN3c104HalfEfLi64ELb1ELi8EEEvPviiifPKvS6_S6_PKlii,@function
_ZN12tensorrt_llm7kernels32fusedQKNormRopeKernelNTokenHeadsIN3c104HalfEfLi64ELb1ELi8EEEvPviiifPKvS6_S6_PKlii: ; @_ZN12tensorrt_llm7kernels32fusedQKNormRopeKernelNTokenHeadsIN3c104HalfEfLi64ELb1ELi8EEEvPviiifPKvS6_S6_PKlii
; %bb.0:
	s_clause 0x1
	s_load_b128 s[16:19], s[0:1], 0x8
	s_load_b64 s[2:3], s[0:1], 0x38
	v_lshrrev_b32_e32 v2, 5, v0
	s_waitcnt lgkmcnt(0)
	s_add_i32 s4, s17, s16
	s_delay_alu instid0(SALU_CYCLE_1) | instskip(NEXT) | instid1(SALU_CYCLE_1)
	s_add_i32 s5, s4, 7
	s_ashr_i32 s6, s5, 31
	s_delay_alu instid0(SALU_CYCLE_1) | instskip(NEXT) | instid1(SALU_CYCLE_1)
	s_lshr_b32 s6, s6, 29
	s_add_i32 s5, s5, s6
	s_delay_alu instid0(SALU_CYCLE_1) | instskip(SKIP_2) | instid1(SALU_CYCLE_1)
	s_ashr_i32 s14, s5, 3
	s_load_b32 s5, s[0:1], 0x4c
	s_abs_i32 s6, s14
	v_cvt_f32_u32_e32 v1, s6
	s_sub_i32 s7, 0, s6
	s_delay_alu instid0(VALU_DEP_1) | instskip(SKIP_4) | instid1(SALU_CYCLE_1)
	v_rcp_iflag_f32_e32 v1, v1
	s_waitcnt_depctr 0xfff
	v_mul_f32_e32 v1, 0x4f7ffffe, v1
	s_waitcnt lgkmcnt(0)
	s_bfe_u32 s5, s5, 0xb0005
	v_mad_u64_u32 v[3:4], null, s15, s5, v[2:3]
	s_delay_alu instid0(VALU_DEP_2) | instskip(NEXT) | instid1(VALU_DEP_1)
	v_cvt_u32_f32_e32 v1, v1
	v_mul_lo_u32 v5, s7, v1
	s_delay_alu instid0(VALU_DEP_1) | instskip(NEXT) | instid1(VALU_DEP_4)
	v_mul_hi_u32 v4, v1, v5
	v_sub_nc_u32_e32 v5, 0, v3
	s_delay_alu instid0(VALU_DEP_1) | instskip(NEXT) | instid1(VALU_DEP_3)
	v_max_i32_e32 v5, v3, v5
	v_add_nc_u32_e32 v1, v1, v4
	s_delay_alu instid0(VALU_DEP_1) | instskip(NEXT) | instid1(VALU_DEP_1)
	v_mul_hi_u32 v1, v5, v1
	v_mul_lo_u32 v4, v1, s6
	s_delay_alu instid0(VALU_DEP_1) | instskip(SKIP_1) | instid1(VALU_DEP_2)
	v_sub_nc_u32_e32 v4, v5, v4
	v_add_nc_u32_e32 v5, 1, v1
	v_subrev_nc_u32_e32 v6, s6, v4
	v_cmp_le_u32_e32 vcc_lo, s6, v4
	s_delay_alu instid0(VALU_DEP_2) | instskip(SKIP_1) | instid1(VALU_DEP_2)
	v_dual_cndmask_b32 v4, v4, v6 :: v_dual_cndmask_b32 v1, v1, v5
	v_xor_b32_e32 v5, s14, v3
	v_cmp_le_u32_e32 vcc_lo, s6, v4
	s_delay_alu instid0(VALU_DEP_3) | instskip(NEXT) | instid1(VALU_DEP_3)
	v_add_nc_u32_e32 v6, 1, v1
	v_ashrrev_i32_e32 v5, 31, v5
	s_delay_alu instid0(VALU_DEP_2) | instskip(NEXT) | instid1(VALU_DEP_1)
	v_cndmask_b32_e32 v1, v1, v6, vcc_lo
	v_xor_b32_e32 v1, v1, v5
	s_delay_alu instid0(VALU_DEP_1) | instskip(NEXT) | instid1(VALU_DEP_1)
	v_sub_nc_u32_e32 v1, v1, v5
	v_cmp_gt_i32_e32 vcc_lo, s2, v1
	s_and_saveexec_b32 s2, vcc_lo
	s_cbranch_execz .LBB18_12
; %bb.1:
	v_mul_lo_u32 v4, v1, s14
	s_load_b64 s[12:13], s[0:1], 0x0
	v_and_b32_e32 v0, 31, v0
	v_lshlrev_b32_e32 v9, 10, v2
	v_lshlrev_b32_e32 v8, 9, v3
	s_lshl_b32 s20, s3, 2
	s_delay_alu instid0(VALU_DEP_3) | instskip(SKIP_2) | instid1(VALU_DEP_1)
	v_lshlrev_b32_e32 v7, 2, v0
	v_sub_nc_u32_e32 v4, v3, v4
	s_mul_i32 s15, s20, s5
	v_lshlrev_b32_e32 v5, 3, v4
	s_delay_alu instid0(VALU_DEP_1) | instskip(SKIP_1) | instid1(VALU_DEP_2)
	v_add_nc_u32_e32 v4, 8, v5
	v_sub_nc_u32_e32 v6, s4, v5
	v_cmp_lt_i32_e32 vcc_lo, s4, v4
	s_delay_alu instid0(VALU_DEP_2) | instskip(NEXT) | instid1(VALU_DEP_1)
	v_cndmask_b32_e32 v6, 8, v6, vcc_lo
	v_cmp_lt_i32_e32 vcc_lo, 0, v6
	s_and_saveexec_b32 s4, vcc_lo
	s_cbranch_execz .LBB18_4
; %bb.2:
	s_add_i32 s2, s18, s17
	s_lshl_b32 s5, s14, 3
	s_add_i32 s2, s2, s16
	s_mov_b32 s6, 0
	s_sub_i32 s2, s2, s5
	s_mov_b32 s5, 0
	v_mul_lo_u32 v3, s2, v1
	s_add_i32 s2, s15, 0
	s_delay_alu instid0(SALU_CYCLE_1) | instskip(NEXT) | instid1(VALU_DEP_2)
	v_add3_u32 v10, s2, v9, v7
	v_lshl_add_u32 v3, v3, 6, v8
	s_delay_alu instid0(VALU_DEP_1)
	v_lshl_or_b32 v3, v0, 1, v3
	.p2align	6
.LBB18_3:                               ; =>This Inner Loop Header: Depth=1
	s_delay_alu instid0(VALU_DEP_1) | instskip(SKIP_1) | instid1(VALU_DEP_1)
	v_ashrrev_i32_e32 v4, 31, v3
	s_add_i32 s6, s6, 1
	v_lshlrev_b64 v[11:12], 1, v[3:4]
	v_add_nc_u32_e32 v3, 64, v3
	s_waitcnt lgkmcnt(0)
	s_delay_alu instid0(VALU_DEP_2) | instskip(NEXT) | instid1(VALU_DEP_1)
	v_add_co_u32 v11, s2, s12, v11
	v_add_co_ci_u32_e64 v12, s2, s13, v12, s2
	v_cmp_ge_i32_e64 s2, s6, v6
	global_load_b32 v4, v[11:12], off
	s_or_b32 s5, s2, s5
	s_waitcnt vmcnt(0)
	ds_store_b32 v10, v4
	v_add_nc_u32_e32 v10, 0x80, v10
	s_and_not1_b32 exec_lo, exec_lo, s5
	s_cbranch_execnz .LBB18_3
.LBB18_4:
	s_or_b32 exec_lo, exec_lo, s4
	s_load_b256 s[4:11], s[0:1], 0x18
	v_mul_lo_u32 v2, v2, s3
	s_add_i32 s0, s20, 15
	s_mov_b32 s20, exec_lo
	s_ashr_i32 s1, s0, 31
	s_delay_alu instid0(SALU_CYCLE_1) | instskip(NEXT) | instid1(SALU_CYCLE_1)
	s_lshr_b32 s1, s1, 28
	s_add_i32 s0, s0, s1
	s_delay_alu instid0(VALU_DEP_1) | instskip(SKIP_1) | instid1(SALU_CYCLE_1)
	v_lshlrev_b32_e32 v4, 2, v2
	s_ashr_i32 s2, s0, 4
	v_cmpx_gt_i32_e64 s2, v0
	s_cbranch_execz .LBB18_7
; %bb.5:
	v_ashrrev_i32_e32 v2, 31, v1
	s_delay_alu instid0(VALU_DEP_1) | instskip(SKIP_1) | instid1(VALU_DEP_1)
	v_lshlrev_b64 v[2:3], 3, v[1:2]
	s_waitcnt lgkmcnt(0)
	v_add_co_u32 v2, s0, s10, v2
	s_delay_alu instid0(VALU_DEP_1)
	v_add_co_ci_u32_e64 v3, s0, s11, v3, s0
	s_ashr_i32 s0, s3, 31
	global_load_b64 v[2:3], v[2:3], off
	s_waitcnt vmcnt(0)
	v_mul_lo_u32 v3, v3, s3
	v_mul_lo_u32 v12, v2, s0
	v_mad_u64_u32 v[10:11], null, v2, s3, 0
	s_delay_alu instid0(VALU_DEP_1) | instskip(NEXT) | instid1(VALU_DEP_1)
	v_add3_u32 v11, v11, v12, v3
	v_lshlrev_b64 v[2:3], 2, v[10:11]
	v_dual_mov_b32 v11, v0 :: v_dual_lshlrev_b32 v10, 4, v0
	s_delay_alu instid0(VALU_DEP_1) | instskip(NEXT) | instid1(VALU_DEP_1)
	v_add_co_u32 v2, s0, v2, v10
	v_add_co_ci_u32_e64 v3, s0, 0, v3, s0
	v_add3_u32 v10, v4, v10, 0
	s_delay_alu instid0(VALU_DEP_3) | instskip(NEXT) | instid1(VALU_DEP_1)
	v_add_co_u32 v2, s0, s8, v2
	v_add_co_ci_u32_e64 v3, s0, s9, v3, s0
	s_mov_b32 s8, 0
	.p2align	6
.LBB18_6:                               ; =>This Inner Loop Header: Depth=1
	global_load_b128 v[12:15], v[2:3], off
	v_add_nc_u32_e32 v11, 32, v11
	v_add_co_u32 v2, s0, 0x200, v2
	s_delay_alu instid0(VALU_DEP_1) | instskip(NEXT) | instid1(VALU_DEP_3)
	v_add_co_ci_u32_e64 v3, s0, 0, v3, s0
	v_cmp_le_i32_e64 s1, s2, v11
	s_delay_alu instid0(VALU_DEP_1)
	s_or_b32 s8, s1, s8
	s_waitcnt vmcnt(0)
	ds_store_b128 v10, v[12:15]
	v_add_nc_u32_e32 v10, 0x200, v10
	s_and_not1_b32 exec_lo, exec_lo, s8
	s_cbranch_execnz .LBB18_6
.LBB18_7:
	s_or_b32 exec_lo, exec_lo, s20
	s_delay_alu instid0(SALU_CYCLE_1)
	s_and_b32 exec_lo, exec_lo, vcc_lo
	s_cbranch_execz .LBB18_12
; %bb.8:
	s_waitcnt lgkmcnt(0)
	s_clause 0x1
	global_load_b32 v2, v7, s[4:5]
	global_load_b32 v3, v7, s[6:7]
	v_mbcnt_lo_u32_b32 v10, -1, 0
	s_lshr_b32 s0, s3, 31
	v_add3_u32 v4, 0, v4, v7
	s_add_i32 s0, s3, s0
	v_add_nc_u32_e32 v16, s15, v9
	v_xor_b32_e32 v11, 16, v10
	s_ashr_i32 s0, s0, 1
	v_xor_b32_e32 v12, 8, v10
	v_cmp_gt_i32_e32 vcc_lo, s0, v0
	v_lshl_add_u32 v9, s0, 2, v4
	v_cmp_gt_i32_e64 s0, 32, v11
	v_xor_b32_e32 v13, 4, v10
	v_xor_b32_e32 v14, 2, v10
	s_add_i32 s1, s18, s17
	s_lshl_b32 s2, s14, 3
	v_cndmask_b32_e64 v11, v10, v11, s0
	v_cmp_gt_i32_e64 s0, 32, v12
	s_add_i32 s1, s1, s16
	v_xor_b32_e32 v15, 1, v10
	s_sub_i32 s1, s1, s2
	v_add3_u32 v7, v16, v7, 0
	v_cndmask_b32_e64 v12, v10, v12, s0
	v_cmp_gt_i32_e64 s0, 32, v13
	v_mul_lo_u32 v1, s1, v1
	s_mov_b32 s2, 0
	s_mov_b32 s3, 0
	s_delay_alu instid0(VALU_DEP_2) | instskip(SKIP_1) | instid1(VALU_DEP_3)
	v_cndmask_b32_e64 v13, v10, v13, s0
	v_cmp_gt_i32_e64 s0, 32, v14
	v_lshl_add_u32 v1, v1, 6, v8
	v_lshlrev_b32_e32 v8, 2, v11
	s_delay_alu instid0(VALU_DEP_3) | instskip(SKIP_3) | instid1(VALU_DEP_3)
	v_cndmask_b32_e64 v14, v10, v14, s0
	v_cmp_gt_i32_e64 s0, 32, v15
	v_lshlrev_b32_e32 v11, 2, v13
	v_lshl_or_b32 v0, v0, 1, v1
	v_cndmask_b32_e64 v15, v10, v15, s0
	v_lshlrev_b32_e32 v10, 2, v12
	v_lshlrev_b32_e32 v12, 2, v14
	s_delay_alu instid0(VALU_DEP_3)
	v_lshlrev_b32_e32 v13, 2, v15
	s_waitcnt vmcnt(1)
	v_lshrrev_b32_e32 v14, 16, v2
	s_waitcnt vmcnt(0)
	v_lshrrev_b32_e32 v15, 16, v3
	s_branch .LBB18_10
.LBB18_9:                               ;   in Loop: Header=BB18_10 Depth=1
	s_or_b32 exec_lo, exec_lo, s0
	v_ashrrev_i32_e32 v1, 31, v0
	s_delay_alu instid0(VALU_DEP_2)
	v_cvt_f16_f32_e32 v18, v17
	v_cvt_f16_f32_e32 v19, v16
	s_add_i32 s3, s3, 1
	v_add_nc_u32_e32 v7, 0x80, v7
	v_lshlrev_b64 v[16:17], 1, v[0:1]
	v_cmp_ge_i32_e64 s0, s3, v6
	v_pack_b32_f16 v1, v18, v19
	v_add_nc_u32_e32 v0, 64, v0
	s_delay_alu instid0(VALU_DEP_3) | instskip(NEXT) | instid1(VALU_DEP_4)
	s_or_b32 s2, s0, s2
	v_add_co_u32 v16, s1, s12, v16
	s_delay_alu instid0(VALU_DEP_1)
	v_add_co_ci_u32_e64 v17, s1, s13, v17, s1
	global_store_b32 v[16:17], v1, off
	s_and_not1_b32 exec_lo, exec_lo, s2
	s_cbranch_execz .LBB18_12
.LBB18_10:                              ; =>This Inner Loop Header: Depth=1
	ds_load_b32 v1, v7
	s_waitcnt lgkmcnt(0)
	v_cvt_f32_f16_e32 v16, v1
	s_delay_alu instid0(VALU_DEP_1) | instskip(NEXT) | instid1(VALU_DEP_1)
	v_mul_f32_e32 v17, v16, v16
	v_fma_mix_f32 v17, v1, v1, v17 op_sel:[1,1,0] op_sel_hi:[1,1,0]
	v_lshrrev_b32_e32 v1, 16, v1
	ds_bpermute_b32 v18, v8, v17
	v_cvt_f32_f16_e32 v1, v1
	s_waitcnt lgkmcnt(0)
	v_add_f32_e32 v17, v17, v18
	ds_bpermute_b32 v18, v10, v17
	s_waitcnt lgkmcnt(0)
	v_add_f32_e32 v17, v17, v18
	ds_bpermute_b32 v18, v11, v17
	;; [unrolled: 3-line block ×4, first 2 shown]
	s_waitcnt lgkmcnt(0)
	v_add_f32_e32 v17, v17, v18
	s_delay_alu instid0(VALU_DEP_1) | instskip(NEXT) | instid1(VALU_DEP_1)
	v_fma_f32 v17, 0x3c800000, v17, s19
	v_mul_f32_e32 v18, 0x4b800000, v17
	v_cmp_gt_f32_e64 s0, 0x800000, v17
	s_delay_alu instid0(VALU_DEP_1) | instskip(SKIP_1) | instid1(VALU_DEP_2)
	v_cndmask_b32_e64 v17, v17, v18, s0
	v_add_nc_u32_e32 v18, s3, v5
	v_rsq_f32_e32 v17, v17
	s_delay_alu instid0(VALU_DEP_1) | instskip(NEXT) | instid1(VALU_DEP_1)
	v_cmp_gt_i32_e64 s1, s16, v18
	v_cndmask_b32_e64 v18, v3, v2, s1
	v_cndmask_b32_e64 v20, v15, v14, s1
	s_delay_alu instid0(VALU_DEP_2) | instskip(SKIP_2) | instid1(VALU_DEP_1)
	v_cvt_f32_f16_e32 v18, v18
	s_waitcnt_depctr 0xfff
	v_mul_f32_e32 v19, 0x45800000, v17
	v_cndmask_b32_e64 v17, v17, v19, s0
	v_cvt_f32_f16_e32 v19, v20
	s_delay_alu instid0(VALU_DEP_2) | instskip(NEXT) | instid1(VALU_DEP_2)
	v_mul_f32_e32 v18, v17, v18
	v_mul_f32_e32 v19, v17, v19
	s_delay_alu instid0(VALU_DEP_1)
	v_dual_mul_f32 v17, v18, v16 :: v_dual_mul_f32 v16, v19, v1
	s_and_saveexec_b32 s0, vcc_lo
	s_cbranch_execz .LBB18_9
; %bb.11:                               ;   in Loop: Header=BB18_10 Depth=1
	ds_load_b32 v1, v9
	ds_load_b32 v18, v4
	s_waitcnt lgkmcnt(1)
	v_mul_f32_e32 v19, v16, v1
	v_mul_f32_e32 v1, v17, v1
	s_waitcnt lgkmcnt(0)
	s_delay_alu instid0(VALU_DEP_1) | instskip(NEXT) | instid1(VALU_DEP_1)
	v_fmac_f32_e32 v1, v16, v18
	v_mov_b32_e32 v16, v1
	v_fma_f32 v17, v17, v18, -v19
	s_branch .LBB18_9
.LBB18_12:
	s_nop 0
	s_sendmsg sendmsg(MSG_DEALLOC_VGPRS)
	s_endpgm
	.section	.rodata,"a",@progbits
	.p2align	6, 0x0
	.amdhsa_kernel _ZN12tensorrt_llm7kernels32fusedQKNormRopeKernelNTokenHeadsIN3c104HalfEfLi64ELb1ELi8EEEvPviiifPKvS6_S6_PKlii
		.amdhsa_group_segment_fixed_size 0
		.amdhsa_private_segment_fixed_size 0
		.amdhsa_kernarg_size 320
		.amdhsa_user_sgpr_count 15
		.amdhsa_user_sgpr_dispatch_ptr 0
		.amdhsa_user_sgpr_queue_ptr 0
		.amdhsa_user_sgpr_kernarg_segment_ptr 1
		.amdhsa_user_sgpr_dispatch_id 0
		.amdhsa_user_sgpr_private_segment_size 0
		.amdhsa_wavefront_size32 1
		.amdhsa_uses_dynamic_stack 0
		.amdhsa_enable_private_segment 0
		.amdhsa_system_sgpr_workgroup_id_x 1
		.amdhsa_system_sgpr_workgroup_id_y 0
		.amdhsa_system_sgpr_workgroup_id_z 0
		.amdhsa_system_sgpr_workgroup_info 0
		.amdhsa_system_vgpr_workitem_id 0
		.amdhsa_next_free_vgpr 21
		.amdhsa_next_free_sgpr 21
		.amdhsa_reserve_vcc 1
		.amdhsa_float_round_mode_32 0
		.amdhsa_float_round_mode_16_64 0
		.amdhsa_float_denorm_mode_32 3
		.amdhsa_float_denorm_mode_16_64 3
		.amdhsa_dx10_clamp 1
		.amdhsa_ieee_mode 1
		.amdhsa_fp16_overflow 0
		.amdhsa_workgroup_processor_mode 1
		.amdhsa_memory_ordered 1
		.amdhsa_forward_progress 0
		.amdhsa_shared_vgpr_count 0
		.amdhsa_exception_fp_ieee_invalid_op 0
		.amdhsa_exception_fp_denorm_src 0
		.amdhsa_exception_fp_ieee_div_zero 0
		.amdhsa_exception_fp_ieee_overflow 0
		.amdhsa_exception_fp_ieee_underflow 0
		.amdhsa_exception_fp_ieee_inexact 0
		.amdhsa_exception_int_div_zero 0
	.end_amdhsa_kernel
	.section	.text._ZN12tensorrt_llm7kernels32fusedQKNormRopeKernelNTokenHeadsIN3c104HalfEfLi64ELb1ELi8EEEvPviiifPKvS6_S6_PKlii,"axG",@progbits,_ZN12tensorrt_llm7kernels32fusedQKNormRopeKernelNTokenHeadsIN3c104HalfEfLi64ELb1ELi8EEEvPviiifPKvS6_S6_PKlii,comdat
.Lfunc_end18:
	.size	_ZN12tensorrt_llm7kernels32fusedQKNormRopeKernelNTokenHeadsIN3c104HalfEfLi64ELb1ELi8EEEvPviiifPKvS6_S6_PKlii, .Lfunc_end18-_ZN12tensorrt_llm7kernels32fusedQKNormRopeKernelNTokenHeadsIN3c104HalfEfLi64ELb1ELi8EEEvPviiifPKvS6_S6_PKlii
                                        ; -- End function
	.section	.AMDGPU.csdata,"",@progbits
; Kernel info:
; codeLenInByte = 1564
; NumSgprs: 23
; NumVgprs: 21
; ScratchSize: 0
; MemoryBound: 0
; FloatMode: 240
; IeeeMode: 1
; LDSByteSize: 0 bytes/workgroup (compile time only)
; SGPRBlocks: 2
; VGPRBlocks: 2
; NumSGPRsForWavesPerEU: 23
; NumVGPRsForWavesPerEU: 21
; Occupancy: 16
; WaveLimiterHint : 0
; COMPUTE_PGM_RSRC2:SCRATCH_EN: 0
; COMPUTE_PGM_RSRC2:USER_SGPR: 15
; COMPUTE_PGM_RSRC2:TRAP_HANDLER: 0
; COMPUTE_PGM_RSRC2:TGID_X_EN: 1
; COMPUTE_PGM_RSRC2:TGID_Y_EN: 0
; COMPUTE_PGM_RSRC2:TGID_Z_EN: 0
; COMPUTE_PGM_RSRC2:TIDIG_COMP_CNT: 0
	.section	.text._ZN12tensorrt_llm7kernels32fusedQKNormRopeKernelNTokenHeadsIN3c104HalfEfLi64ELb0ELi8EEEvPviiifPKvS6_S6_PKlii,"axG",@progbits,_ZN12tensorrt_llm7kernels32fusedQKNormRopeKernelNTokenHeadsIN3c104HalfEfLi64ELb0ELi8EEEvPviiifPKvS6_S6_PKlii,comdat
	.protected	_ZN12tensorrt_llm7kernels32fusedQKNormRopeKernelNTokenHeadsIN3c104HalfEfLi64ELb0ELi8EEEvPviiifPKvS6_S6_PKlii ; -- Begin function _ZN12tensorrt_llm7kernels32fusedQKNormRopeKernelNTokenHeadsIN3c104HalfEfLi64ELb0ELi8EEEvPviiifPKvS6_S6_PKlii
	.globl	_ZN12tensorrt_llm7kernels32fusedQKNormRopeKernelNTokenHeadsIN3c104HalfEfLi64ELb0ELi8EEEvPviiifPKvS6_S6_PKlii
	.p2align	8
	.type	_ZN12tensorrt_llm7kernels32fusedQKNormRopeKernelNTokenHeadsIN3c104HalfEfLi64ELb0ELi8EEEvPviiifPKvS6_S6_PKlii,@function
_ZN12tensorrt_llm7kernels32fusedQKNormRopeKernelNTokenHeadsIN3c104HalfEfLi64ELb0ELi8EEEvPviiifPKvS6_S6_PKlii: ; @_ZN12tensorrt_llm7kernels32fusedQKNormRopeKernelNTokenHeadsIN3c104HalfEfLi64ELb0ELi8EEEvPviiifPKvS6_S6_PKlii
; %bb.0:
	s_clause 0x1
	s_load_b128 s[16:19], s[0:1], 0x8
	s_load_b64 s[2:3], s[0:1], 0x38
	v_lshrrev_b32_e32 v2, 5, v0
	s_waitcnt lgkmcnt(0)
	s_add_i32 s4, s17, s16
	s_delay_alu instid0(SALU_CYCLE_1) | instskip(NEXT) | instid1(SALU_CYCLE_1)
	s_add_i32 s5, s4, 7
	s_ashr_i32 s6, s5, 31
	s_delay_alu instid0(SALU_CYCLE_1) | instskip(NEXT) | instid1(SALU_CYCLE_1)
	s_lshr_b32 s6, s6, 29
	s_add_i32 s5, s5, s6
	s_delay_alu instid0(SALU_CYCLE_1) | instskip(SKIP_2) | instid1(SALU_CYCLE_1)
	s_ashr_i32 s14, s5, 3
	s_load_b32 s5, s[0:1], 0x4c
	s_abs_i32 s6, s14
	v_cvt_f32_u32_e32 v1, s6
	s_sub_i32 s7, 0, s6
	s_delay_alu instid0(VALU_DEP_1) | instskip(SKIP_4) | instid1(SALU_CYCLE_1)
	v_rcp_iflag_f32_e32 v1, v1
	s_waitcnt_depctr 0xfff
	v_mul_f32_e32 v1, 0x4f7ffffe, v1
	s_waitcnt lgkmcnt(0)
	s_bfe_u32 s5, s5, 0xb0005
	v_mad_u64_u32 v[3:4], null, s15, s5, v[2:3]
	s_delay_alu instid0(VALU_DEP_2) | instskip(NEXT) | instid1(VALU_DEP_1)
	v_cvt_u32_f32_e32 v1, v1
	v_mul_lo_u32 v5, s7, v1
	s_delay_alu instid0(VALU_DEP_1) | instskip(NEXT) | instid1(VALU_DEP_4)
	v_mul_hi_u32 v4, v1, v5
	v_sub_nc_u32_e32 v5, 0, v3
	s_delay_alu instid0(VALU_DEP_1) | instskip(NEXT) | instid1(VALU_DEP_3)
	v_max_i32_e32 v5, v3, v5
	v_add_nc_u32_e32 v1, v1, v4
	s_delay_alu instid0(VALU_DEP_1) | instskip(NEXT) | instid1(VALU_DEP_1)
	v_mul_hi_u32 v1, v5, v1
	v_mul_lo_u32 v4, v1, s6
	s_delay_alu instid0(VALU_DEP_1) | instskip(SKIP_1) | instid1(VALU_DEP_2)
	v_sub_nc_u32_e32 v4, v5, v4
	v_add_nc_u32_e32 v5, 1, v1
	v_subrev_nc_u32_e32 v6, s6, v4
	v_cmp_le_u32_e32 vcc_lo, s6, v4
	s_delay_alu instid0(VALU_DEP_2) | instskip(SKIP_1) | instid1(VALU_DEP_2)
	v_dual_cndmask_b32 v4, v4, v6 :: v_dual_cndmask_b32 v1, v1, v5
	v_xor_b32_e32 v5, s14, v3
	v_cmp_le_u32_e32 vcc_lo, s6, v4
	s_delay_alu instid0(VALU_DEP_3) | instskip(NEXT) | instid1(VALU_DEP_3)
	v_add_nc_u32_e32 v6, 1, v1
	v_ashrrev_i32_e32 v5, 31, v5
	s_delay_alu instid0(VALU_DEP_2) | instskip(NEXT) | instid1(VALU_DEP_1)
	v_cndmask_b32_e32 v1, v1, v6, vcc_lo
	v_xor_b32_e32 v1, v1, v5
	s_delay_alu instid0(VALU_DEP_1) | instskip(NEXT) | instid1(VALU_DEP_1)
	v_sub_nc_u32_e32 v1, v1, v5
	v_cmp_gt_i32_e32 vcc_lo, s2, v1
	s_and_saveexec_b32 s2, vcc_lo
	s_cbranch_execz .LBB19_12
; %bb.1:
	v_mul_lo_u32 v4, v1, s14
	s_load_b64 s[12:13], s[0:1], 0x0
	v_and_b32_e32 v0, 31, v0
	v_lshlrev_b32_e32 v9, 10, v2
	v_lshlrev_b32_e32 v8, 9, v3
	s_lshl_b32 s20, s3, 2
	s_delay_alu instid0(VALU_DEP_3) | instskip(SKIP_2) | instid1(VALU_DEP_1)
	v_lshlrev_b32_e32 v7, 2, v0
	v_sub_nc_u32_e32 v4, v3, v4
	s_mul_i32 s15, s20, s5
	v_lshlrev_b32_e32 v5, 3, v4
	s_delay_alu instid0(VALU_DEP_1) | instskip(SKIP_1) | instid1(VALU_DEP_2)
	v_add_nc_u32_e32 v4, 8, v5
	v_sub_nc_u32_e32 v6, s4, v5
	v_cmp_lt_i32_e32 vcc_lo, s4, v4
	s_delay_alu instid0(VALU_DEP_2) | instskip(NEXT) | instid1(VALU_DEP_1)
	v_cndmask_b32_e32 v6, 8, v6, vcc_lo
	v_cmp_lt_i32_e32 vcc_lo, 0, v6
	s_and_saveexec_b32 s4, vcc_lo
	s_cbranch_execz .LBB19_4
; %bb.2:
	s_add_i32 s2, s18, s17
	s_lshl_b32 s5, s14, 3
	s_add_i32 s2, s2, s16
	s_mov_b32 s6, 0
	s_sub_i32 s2, s2, s5
	s_mov_b32 s5, 0
	v_mul_lo_u32 v3, s2, v1
	s_add_i32 s2, s15, 0
	s_delay_alu instid0(SALU_CYCLE_1) | instskip(NEXT) | instid1(VALU_DEP_2)
	v_add3_u32 v10, s2, v9, v7
	v_lshl_add_u32 v3, v3, 6, v8
	s_delay_alu instid0(VALU_DEP_1)
	v_lshl_or_b32 v3, v0, 1, v3
	.p2align	6
.LBB19_3:                               ; =>This Inner Loop Header: Depth=1
	s_delay_alu instid0(VALU_DEP_1) | instskip(SKIP_1) | instid1(VALU_DEP_1)
	v_ashrrev_i32_e32 v4, 31, v3
	s_add_i32 s6, s6, 1
	v_lshlrev_b64 v[11:12], 1, v[3:4]
	v_add_nc_u32_e32 v3, 64, v3
	s_waitcnt lgkmcnt(0)
	s_delay_alu instid0(VALU_DEP_2) | instskip(NEXT) | instid1(VALU_DEP_1)
	v_add_co_u32 v11, s2, s12, v11
	v_add_co_ci_u32_e64 v12, s2, s13, v12, s2
	v_cmp_ge_i32_e64 s2, s6, v6
	global_load_b32 v4, v[11:12], off
	s_or_b32 s5, s2, s5
	s_waitcnt vmcnt(0)
	ds_store_b32 v10, v4
	v_add_nc_u32_e32 v10, 0x80, v10
	s_and_not1_b32 exec_lo, exec_lo, s5
	s_cbranch_execnz .LBB19_3
.LBB19_4:
	s_or_b32 exec_lo, exec_lo, s4
	s_load_b256 s[4:11], s[0:1], 0x18
	s_add_i32 s0, s20, 15
	v_mul_lo_u32 v4, v2, s3
	s_ashr_i32 s1, s0, 31
	s_mov_b32 s20, exec_lo
	s_lshr_b32 s1, s1, 28
	s_delay_alu instid0(SALU_CYCLE_1) | instskip(NEXT) | instid1(SALU_CYCLE_1)
	s_add_i32 s0, s0, s1
	s_ashr_i32 s2, s0, 4
	s_delay_alu instid0(SALU_CYCLE_1)
	v_cmpx_gt_i32_e64 s2, v0
	s_cbranch_execz .LBB19_7
; %bb.5:
	v_ashrrev_i32_e32 v2, 31, v1
	s_delay_alu instid0(VALU_DEP_1) | instskip(SKIP_1) | instid1(VALU_DEP_1)
	v_lshlrev_b64 v[2:3], 3, v[1:2]
	s_waitcnt lgkmcnt(0)
	v_add_co_u32 v2, s0, s10, v2
	s_delay_alu instid0(VALU_DEP_1)
	v_add_co_ci_u32_e64 v3, s0, s11, v3, s0
	s_ashr_i32 s0, s3, 31
	global_load_b64 v[2:3], v[2:3], off
	s_waitcnt vmcnt(0)
	v_mul_lo_u32 v3, v3, s3
	v_mul_lo_u32 v12, v2, s0
	v_mad_u64_u32 v[10:11], null, v2, s3, 0
	s_delay_alu instid0(VALU_DEP_1) | instskip(NEXT) | instid1(VALU_DEP_1)
	v_add3_u32 v11, v11, v12, v3
	v_lshlrev_b64 v[2:3], 2, v[10:11]
	v_lshlrev_b32_e32 v10, 4, v0
	v_lshlrev_b32_e32 v11, 2, v4
	s_delay_alu instid0(VALU_DEP_2) | instskip(NEXT) | instid1(VALU_DEP_1)
	v_add_co_u32 v2, s0, v2, v10
	v_add_co_ci_u32_e64 v3, s0, 0, v3, s0
	s_delay_alu instid0(VALU_DEP_3) | instskip(SKIP_1) | instid1(VALU_DEP_4)
	v_add3_u32 v10, v11, v10, 0
	v_mov_b32_e32 v11, v0
	v_add_co_u32 v2, s0, s8, v2
	s_delay_alu instid0(VALU_DEP_1)
	v_add_co_ci_u32_e64 v3, s0, s9, v3, s0
	s_mov_b32 s8, 0
	.p2align	6
.LBB19_6:                               ; =>This Inner Loop Header: Depth=1
	global_load_b128 v[12:15], v[2:3], off
	v_add_nc_u32_e32 v11, 32, v11
	v_add_co_u32 v2, s0, 0x200, v2
	s_delay_alu instid0(VALU_DEP_1) | instskip(NEXT) | instid1(VALU_DEP_3)
	v_add_co_ci_u32_e64 v3, s0, 0, v3, s0
	v_cmp_le_i32_e64 s1, s2, v11
	s_delay_alu instid0(VALU_DEP_1)
	s_or_b32 s8, s1, s8
	s_waitcnt vmcnt(0)
	ds_store_b128 v10, v[12:15]
	v_add_nc_u32_e32 v10, 0x200, v10
	s_and_not1_b32 exec_lo, exec_lo, s8
	s_cbranch_execnz .LBB19_6
.LBB19_7:
	s_or_b32 exec_lo, exec_lo, s20
	s_delay_alu instid0(SALU_CYCLE_1)
	s_and_b32 exec_lo, exec_lo, vcc_lo
	s_cbranch_execz .LBB19_12
; %bb.8:
	s_waitcnt lgkmcnt(0)
	s_clause 0x1
	global_load_b32 v2, v7, s[4:5]
	global_load_b32 v3, v7, s[6:7]
	s_abs_i32 s2, s3
	v_or_b32_e32 v12, 2, v7
	v_cvt_f32_u32_e32 v10, s2
	s_sub_i32 s0, 0, s2
	v_lshl_add_u32 v15, v4, 2, 0
	v_mbcnt_lo_u32_b32 v4, -1, 0
	s_add_i32 s1, s18, s17
	v_rcp_iflag_f32_e32 v10, v10
	s_lshl_b32 s4, s14, 3
	s_add_i32 s1, s1, s16
	v_xor_b32_e32 v13, 8, v4
	s_sub_i32 s1, s1, s4
	v_xor_b32_e32 v14, 4, v4
	v_mul_lo_u32 v1, s1, v1
	v_xor_b32_e32 v16, 2, v4
	v_xor_b32_e32 v17, 1, v4
	s_waitcnt_depctr 0xfff
	v_dual_mul_f32 v10, 0x4f7ffffe, v10 :: v_dual_add_nc_u32 v19, s15, v9
	s_mov_b32 s4, 0
	v_lshl_add_u32 v1, v1, 6, v8
	s_delay_alu instid0(VALU_DEP_2) | instskip(NEXT) | instid1(VALU_DEP_1)
	v_cvt_u32_f32_e32 v10, v10
	v_mul_lo_u32 v11, s0, v10
	s_lshr_b32 s0, s3, 31
	s_delay_alu instid0(SALU_CYCLE_1) | instskip(SKIP_2) | instid1(SALU_CYCLE_1)
	s_add_i32 s0, s3, s0
	s_mov_b32 s3, 0
	s_ashr_i32 s0, s0, 1
	v_lshl_add_u32 v18, s0, 2, v15
	s_delay_alu instid0(VALU_DEP_2) | instskip(SKIP_2) | instid1(SALU_CYCLE_1)
	v_mul_hi_u32 v11, v10, v11
	v_cmp_gt_i32_e32 vcc_lo, s0, v0
	s_lshr_b32 s0, s0, 1
	v_xor_b32_e32 v20, s0, v4
	v_cmp_gt_u32_e64 s0, s0, v0
	v_lshl_or_b32 v0, v0, 1, v1
	v_add_nc_u32_e32 v10, v10, v11
	v_xor_b32_e32 v11, 16, v4
	s_delay_alu instid0(VALU_DEP_2) | instskip(SKIP_1) | instid1(VALU_DEP_3)
	v_mul_hi_u32 v9, v7, v10
	v_mul_hi_u32 v10, v12, v10
	v_cmp_gt_i32_e64 s1, 32, v11
	s_delay_alu instid0(VALU_DEP_1) | instskip(NEXT) | instid1(VALU_DEP_4)
	v_cndmask_b32_e64 v11, v4, v11, s1
	v_mul_lo_u32 v9, v9, s2
	s_delay_alu instid0(VALU_DEP_4) | instskip(SKIP_1) | instid1(VALU_DEP_3)
	v_mul_lo_u32 v10, v10, s2
	v_cmp_gt_i32_e64 s1, 32, v13
	v_sub_nc_u32_e32 v9, v7, v9
	s_delay_alu instid0(VALU_DEP_3) | instskip(NEXT) | instid1(VALU_DEP_3)
	v_sub_nc_u32_e32 v10, v12, v10
	v_cndmask_b32_e64 v12, v4, v13, s1
	v_cmp_gt_i32_e64 s1, 32, v14
	v_add3_u32 v7, v19, v7, 0
	v_subrev_nc_u32_e32 v13, s2, v9
	v_subrev_nc_u32_e32 v21, s2, v10
	v_lshlrev_b32_e32 v8, 2, v12
	v_cndmask_b32_e64 v14, v4, v14, s1
	v_cmp_le_u32_e64 s1, s2, v9
	s_delay_alu instid0(VALU_DEP_1) | instskip(SKIP_1) | instid1(VALU_DEP_1)
	v_cndmask_b32_e64 v9, v9, v13, s1
	v_cmp_le_u32_e64 s1, s2, v10
	v_cndmask_b32_e64 v10, v10, v21, s1
	v_cmp_gt_i32_e64 s1, 32, v16
	s_delay_alu instid0(VALU_DEP_2) | instskip(NEXT) | instid1(VALU_DEP_2)
	v_subrev_nc_u32_e32 v21, s2, v10
	v_cndmask_b32_e64 v13, v4, v16, s1
	v_cmp_gt_i32_e64 s1, 32, v17
	s_delay_alu instid0(VALU_DEP_1) | instskip(SKIP_2) | instid1(VALU_DEP_2)
	v_cndmask_b32_e64 v16, v4, v17, s1
	v_cmp_gt_i32_e64 s1, 32, v20
	v_subrev_nc_u32_e32 v17, s2, v9
	v_cndmask_b32_e64 v20, v4, v20, s1
	v_cmp_le_u32_e64 s1, s2, v9
	v_lshlrev_b32_e32 v4, 2, v11
	s_delay_alu instid0(VALU_DEP_2) | instskip(SKIP_1) | instid1(VALU_DEP_2)
	v_cndmask_b32_e64 v9, v9, v17, s1
	v_cmp_le_u32_e64 s1, s2, v10
	v_lshlrev_b32_e32 v11, 1, v9
	s_delay_alu instid0(VALU_DEP_2) | instskip(SKIP_1) | instid1(VALU_DEP_3)
	v_cndmask_b32_e64 v10, v10, v21, s1
	v_lshlrev_b32_e32 v9, 2, v14
	v_and_b32_e32 v14, -4, v11
	s_delay_alu instid0(VALU_DEP_3) | instskip(SKIP_2) | instid1(VALU_DEP_4)
	v_lshlrev_b32_e32 v12, 1, v10
	v_lshlrev_b32_e32 v11, 2, v16
	;; [unrolled: 1-line block ×3, first 2 shown]
	v_add_nc_u32_e32 v13, v15, v14
	s_delay_alu instid0(VALU_DEP_4) | instskip(SKIP_2) | instid1(VALU_DEP_3)
	v_and_b32_e32 v16, -4, v12
	v_lshlrev_b32_e32 v12, 2, v20
	v_add_nc_u32_e32 v14, v18, v14
	v_add_nc_u32_e32 v15, v15, v16
	;; [unrolled: 1-line block ×3, first 2 shown]
	s_waitcnt vmcnt(1)
	v_lshrrev_b32_e32 v17, 16, v2
	s_waitcnt vmcnt(0)
	v_lshrrev_b32_e32 v18, 16, v3
	s_branch .LBB19_10
.LBB19_9:                               ;   in Loop: Header=BB19_10 Depth=1
	s_or_b32 exec_lo, exec_lo, s1
	v_ashrrev_i32_e32 v1, 31, v0
	v_cvt_f16_f32_e32 v21, v20
	v_cvt_f16_f32_e32 v22, v19
	s_add_i32 s4, s4, 1
	v_add_nc_u32_e32 v7, 0x80, v7
	v_lshlrev_b64 v[19:20], 1, v[0:1]
	v_cmp_ge_i32_e64 s1, s4, v6
	v_pack_b32_f16 v1, v21, v22
	v_add_nc_u32_e32 v0, 64, v0
	s_delay_alu instid0(VALU_DEP_3) | instskip(NEXT) | instid1(VALU_DEP_4)
	s_or_b32 s3, s1, s3
	v_add_co_u32 v19, s2, s12, v19
	s_delay_alu instid0(VALU_DEP_1)
	v_add_co_ci_u32_e64 v20, s2, s13, v20, s2
	global_store_b32 v[19:20], v1, off
	s_and_not1_b32 exec_lo, exec_lo, s3
	s_cbranch_execz .LBB19_12
.LBB19_10:                              ; =>This Inner Loop Header: Depth=1
	ds_load_b32 v1, v7
	s_waitcnt lgkmcnt(0)
	v_cvt_f32_f16_e32 v19, v1
	s_delay_alu instid0(VALU_DEP_1) | instskip(NEXT) | instid1(VALU_DEP_1)
	v_mul_f32_e32 v20, v19, v19
	v_fma_mix_f32 v20, v1, v1, v20 op_sel:[1,1,0] op_sel_hi:[1,1,0]
	v_lshrrev_b32_e32 v1, 16, v1
	ds_bpermute_b32 v21, v4, v20
	v_cvt_f32_f16_e32 v1, v1
	s_waitcnt lgkmcnt(0)
	v_add_f32_e32 v20, v20, v21
	ds_bpermute_b32 v21, v8, v20
	s_waitcnt lgkmcnt(0)
	v_add_f32_e32 v20, v20, v21
	ds_bpermute_b32 v21, v9, v20
	;; [unrolled: 3-line block ×4, first 2 shown]
	s_waitcnt lgkmcnt(0)
	v_add_f32_e32 v20, v20, v21
	s_delay_alu instid0(VALU_DEP_1) | instskip(NEXT) | instid1(VALU_DEP_1)
	v_fma_f32 v20, 0x3c800000, v20, s19
	v_mul_f32_e32 v21, 0x4b800000, v20
	v_cmp_gt_f32_e64 s1, 0x800000, v20
	s_delay_alu instid0(VALU_DEP_1) | instskip(SKIP_1) | instid1(VALU_DEP_2)
	v_cndmask_b32_e64 v20, v20, v21, s1
	v_add_nc_u32_e32 v21, s4, v5
	v_rsq_f32_e32 v20, v20
	s_delay_alu instid0(VALU_DEP_1) | instskip(NEXT) | instid1(VALU_DEP_1)
	v_cmp_gt_i32_e64 s2, s16, v21
	v_cndmask_b32_e64 v21, v3, v2, s2
	v_cndmask_b32_e64 v23, v18, v17, s2
	s_delay_alu instid0(VALU_DEP_2) | instskip(SKIP_2) | instid1(VALU_DEP_1)
	v_cvt_f32_f16_e32 v21, v21
	s_waitcnt_depctr 0xfff
	v_mul_f32_e32 v22, 0x45800000, v20
	v_cndmask_b32_e64 v20, v20, v22, s1
	v_cvt_f32_f16_e32 v22, v23
	s_delay_alu instid0(VALU_DEP_2) | instskip(NEXT) | instid1(VALU_DEP_2)
	v_mul_f32_e32 v21, v20, v21
	v_mul_f32_e32 v22, v20, v22
	s_delay_alu instid0(VALU_DEP_1)
	v_dual_mul_f32 v20, v21, v19 :: v_dual_mul_f32 v19, v22, v1
	s_and_saveexec_b32 s1, vcc_lo
	s_cbranch_execz .LBB19_9
; %bb.11:                               ;   in Loop: Header=BB19_10 Depth=1
	ds_bpermute_b32 v1, v12, v20
	ds_bpermute_b32 v21, v12, v19
	; wave barrier
	ds_load_b32 v22, v14
	ds_load_b32 v23, v16
	ds_load_b32 v24, v13
	ds_load_b32 v25, v15
	; wave barrier
	s_waitcnt lgkmcnt(5)
	v_cndmask_b32_e64 v1, v1, -v1, s0
	s_waitcnt lgkmcnt(4)
	v_cndmask_b32_e64 v21, v21, -v21, s0
	s_waitcnt lgkmcnt(3)
	s_delay_alu instid0(VALU_DEP_2) | instskip(SKIP_1) | instid1(VALU_DEP_2)
	v_mul_f32_e32 v1, v1, v22
	s_waitcnt lgkmcnt(2)
	v_mul_f32_e32 v21, v21, v23
	s_waitcnt lgkmcnt(1)
	s_delay_alu instid0(VALU_DEP_2) | instskip(SKIP_1) | instid1(VALU_DEP_1)
	v_fmac_f32_e32 v1, v20, v24
	s_waitcnt lgkmcnt(0)
	v_dual_fmac_f32 v21, v19, v25 :: v_dual_mov_b32 v20, v1
	s_delay_alu instid0(VALU_DEP_1)
	v_mov_b32_e32 v19, v21
	s_branch .LBB19_9
.LBB19_12:
	s_nop 0
	s_sendmsg sendmsg(MSG_DEALLOC_VGPRS)
	s_endpgm
	.section	.rodata,"a",@progbits
	.p2align	6, 0x0
	.amdhsa_kernel _ZN12tensorrt_llm7kernels32fusedQKNormRopeKernelNTokenHeadsIN3c104HalfEfLi64ELb0ELi8EEEvPviiifPKvS6_S6_PKlii
		.amdhsa_group_segment_fixed_size 0
		.amdhsa_private_segment_fixed_size 0
		.amdhsa_kernarg_size 320
		.amdhsa_user_sgpr_count 15
		.amdhsa_user_sgpr_dispatch_ptr 0
		.amdhsa_user_sgpr_queue_ptr 0
		.amdhsa_user_sgpr_kernarg_segment_ptr 1
		.amdhsa_user_sgpr_dispatch_id 0
		.amdhsa_user_sgpr_private_segment_size 0
		.amdhsa_wavefront_size32 1
		.amdhsa_uses_dynamic_stack 0
		.amdhsa_enable_private_segment 0
		.amdhsa_system_sgpr_workgroup_id_x 1
		.amdhsa_system_sgpr_workgroup_id_y 0
		.amdhsa_system_sgpr_workgroup_id_z 0
		.amdhsa_system_sgpr_workgroup_info 0
		.amdhsa_system_vgpr_workitem_id 0
		.amdhsa_next_free_vgpr 26
		.amdhsa_next_free_sgpr 21
		.amdhsa_reserve_vcc 1
		.amdhsa_float_round_mode_32 0
		.amdhsa_float_round_mode_16_64 0
		.amdhsa_float_denorm_mode_32 3
		.amdhsa_float_denorm_mode_16_64 3
		.amdhsa_dx10_clamp 1
		.amdhsa_ieee_mode 1
		.amdhsa_fp16_overflow 0
		.amdhsa_workgroup_processor_mode 1
		.amdhsa_memory_ordered 1
		.amdhsa_forward_progress 0
		.amdhsa_shared_vgpr_count 0
		.amdhsa_exception_fp_ieee_invalid_op 0
		.amdhsa_exception_fp_denorm_src 0
		.amdhsa_exception_fp_ieee_div_zero 0
		.amdhsa_exception_fp_ieee_overflow 0
		.amdhsa_exception_fp_ieee_underflow 0
		.amdhsa_exception_fp_ieee_inexact 0
		.amdhsa_exception_int_div_zero 0
	.end_amdhsa_kernel
	.section	.text._ZN12tensorrt_llm7kernels32fusedQKNormRopeKernelNTokenHeadsIN3c104HalfEfLi64ELb0ELi8EEEvPviiifPKvS6_S6_PKlii,"axG",@progbits,_ZN12tensorrt_llm7kernels32fusedQKNormRopeKernelNTokenHeadsIN3c104HalfEfLi64ELb0ELi8EEEvPviiifPKvS6_S6_PKlii,comdat
.Lfunc_end19:
	.size	_ZN12tensorrt_llm7kernels32fusedQKNormRopeKernelNTokenHeadsIN3c104HalfEfLi64ELb0ELi8EEEvPviiifPKvS6_S6_PKlii, .Lfunc_end19-_ZN12tensorrt_llm7kernels32fusedQKNormRopeKernelNTokenHeadsIN3c104HalfEfLi64ELb0ELi8EEEvPviiifPKvS6_S6_PKlii
                                        ; -- End function
	.section	.AMDGPU.csdata,"",@progbits
; Kernel info:
; codeLenInByte = 1924
; NumSgprs: 23
; NumVgprs: 26
; ScratchSize: 0
; MemoryBound: 0
; FloatMode: 240
; IeeeMode: 1
; LDSByteSize: 0 bytes/workgroup (compile time only)
; SGPRBlocks: 2
; VGPRBlocks: 3
; NumSGPRsForWavesPerEU: 23
; NumVGPRsForWavesPerEU: 26
; Occupancy: 16
; WaveLimiterHint : 0
; COMPUTE_PGM_RSRC2:SCRATCH_EN: 0
; COMPUTE_PGM_RSRC2:USER_SGPR: 15
; COMPUTE_PGM_RSRC2:TRAP_HANDLER: 0
; COMPUTE_PGM_RSRC2:TGID_X_EN: 1
; COMPUTE_PGM_RSRC2:TGID_Y_EN: 0
; COMPUTE_PGM_RSRC2:TGID_Z_EN: 0
; COMPUTE_PGM_RSRC2:TIDIG_COMP_CNT: 0
	.section	.text._ZN12tensorrt_llm7kernels32fusedQKNormRopeKernelNTokenHeadsIN3c104HalfEfLi128ELb1ELi8EEEvPviiifPKvS6_S6_PKlii,"axG",@progbits,_ZN12tensorrt_llm7kernels32fusedQKNormRopeKernelNTokenHeadsIN3c104HalfEfLi128ELb1ELi8EEEvPviiifPKvS6_S6_PKlii,comdat
	.protected	_ZN12tensorrt_llm7kernels32fusedQKNormRopeKernelNTokenHeadsIN3c104HalfEfLi128ELb1ELi8EEEvPviiifPKvS6_S6_PKlii ; -- Begin function _ZN12tensorrt_llm7kernels32fusedQKNormRopeKernelNTokenHeadsIN3c104HalfEfLi128ELb1ELi8EEEvPviiifPKvS6_S6_PKlii
	.globl	_ZN12tensorrt_llm7kernels32fusedQKNormRopeKernelNTokenHeadsIN3c104HalfEfLi128ELb1ELi8EEEvPviiifPKvS6_S6_PKlii
	.p2align	8
	.type	_ZN12tensorrt_llm7kernels32fusedQKNormRopeKernelNTokenHeadsIN3c104HalfEfLi128ELb1ELi8EEEvPviiifPKvS6_S6_PKlii,@function
_ZN12tensorrt_llm7kernels32fusedQKNormRopeKernelNTokenHeadsIN3c104HalfEfLi128ELb1ELi8EEEvPviiifPKvS6_S6_PKlii: ; @_ZN12tensorrt_llm7kernels32fusedQKNormRopeKernelNTokenHeadsIN3c104HalfEfLi128ELb1ELi8EEEvPviiifPKvS6_S6_PKlii
; %bb.0:
	s_clause 0x1
	s_load_b128 s[16:19], s[0:1], 0x8
	s_load_b64 s[2:3], s[0:1], 0x38
	v_lshrrev_b32_e32 v2, 5, v0
	s_waitcnt lgkmcnt(0)
	s_add_i32 s4, s17, s16
	s_delay_alu instid0(SALU_CYCLE_1) | instskip(NEXT) | instid1(SALU_CYCLE_1)
	s_add_i32 s5, s4, 7
	s_ashr_i32 s6, s5, 31
	s_delay_alu instid0(SALU_CYCLE_1) | instskip(NEXT) | instid1(SALU_CYCLE_1)
	s_lshr_b32 s6, s6, 29
	s_add_i32 s5, s5, s6
	s_delay_alu instid0(SALU_CYCLE_1) | instskip(SKIP_2) | instid1(SALU_CYCLE_1)
	s_ashr_i32 s14, s5, 3
	s_load_b32 s5, s[0:1], 0x4c
	s_abs_i32 s6, s14
	v_cvt_f32_u32_e32 v1, s6
	s_sub_i32 s7, 0, s6
	s_delay_alu instid0(VALU_DEP_1) | instskip(SKIP_4) | instid1(SALU_CYCLE_1)
	v_rcp_iflag_f32_e32 v1, v1
	s_waitcnt_depctr 0xfff
	v_mul_f32_e32 v1, 0x4f7ffffe, v1
	s_waitcnt lgkmcnt(0)
	s_bfe_u32 s5, s5, 0xb0005
	v_mad_u64_u32 v[3:4], null, s15, s5, v[2:3]
	s_delay_alu instid0(VALU_DEP_2) | instskip(NEXT) | instid1(VALU_DEP_1)
	v_cvt_u32_f32_e32 v1, v1
	v_mul_lo_u32 v5, s7, v1
	s_delay_alu instid0(VALU_DEP_1) | instskip(NEXT) | instid1(VALU_DEP_4)
	v_mul_hi_u32 v4, v1, v5
	v_sub_nc_u32_e32 v5, 0, v3
	s_delay_alu instid0(VALU_DEP_1) | instskip(NEXT) | instid1(VALU_DEP_3)
	v_max_i32_e32 v5, v3, v5
	v_add_nc_u32_e32 v1, v1, v4
	s_delay_alu instid0(VALU_DEP_1) | instskip(NEXT) | instid1(VALU_DEP_1)
	v_mul_hi_u32 v1, v5, v1
	v_mul_lo_u32 v4, v1, s6
	s_delay_alu instid0(VALU_DEP_1) | instskip(SKIP_1) | instid1(VALU_DEP_2)
	v_sub_nc_u32_e32 v4, v5, v4
	v_add_nc_u32_e32 v5, 1, v1
	v_subrev_nc_u32_e32 v6, s6, v4
	v_cmp_le_u32_e32 vcc_lo, s6, v4
	s_delay_alu instid0(VALU_DEP_2) | instskip(SKIP_1) | instid1(VALU_DEP_2)
	v_dual_cndmask_b32 v4, v4, v6 :: v_dual_cndmask_b32 v1, v1, v5
	v_xor_b32_e32 v5, s14, v3
	v_cmp_le_u32_e32 vcc_lo, s6, v4
	s_delay_alu instid0(VALU_DEP_3) | instskip(NEXT) | instid1(VALU_DEP_3)
	v_add_nc_u32_e32 v6, 1, v1
	v_ashrrev_i32_e32 v5, 31, v5
	s_delay_alu instid0(VALU_DEP_2) | instskip(NEXT) | instid1(VALU_DEP_1)
	v_cndmask_b32_e32 v1, v1, v6, vcc_lo
	v_xor_b32_e32 v1, v1, v5
	s_delay_alu instid0(VALU_DEP_1) | instskip(NEXT) | instid1(VALU_DEP_1)
	v_sub_nc_u32_e32 v1, v1, v5
	v_cmp_gt_i32_e32 vcc_lo, s2, v1
	s_and_saveexec_b32 s2, vcc_lo
	s_cbranch_execz .LBB20_12
; %bb.1:
	v_mul_lo_u32 v4, v1, s14
	s_load_b64 s[12:13], s[0:1], 0x0
	v_and_b32_e32 v0, 31, v0
	v_lshlrev_b32_e32 v10, 11, v2
	v_lshlrev_b32_e32 v9, 10, v3
	s_lshl_b32 s20, s3, 2
	s_delay_alu instid0(VALU_DEP_3) | instskip(SKIP_2) | instid1(VALU_DEP_1)
	v_lshlrev_b32_e32 v8, 3, v0
	v_sub_nc_u32_e32 v4, v3, v4
	s_mul_i32 s15, s20, s5
	v_lshlrev_b32_e32 v6, 3, v4
	s_delay_alu instid0(VALU_DEP_1) | instskip(SKIP_1) | instid1(VALU_DEP_2)
	v_add_nc_u32_e32 v4, 8, v6
	v_sub_nc_u32_e32 v5, s4, v6
	v_cmp_lt_i32_e32 vcc_lo, s4, v4
	s_delay_alu instid0(VALU_DEP_2) | instskip(NEXT) | instid1(VALU_DEP_1)
	v_cndmask_b32_e32 v7, 8, v5, vcc_lo
	v_cmp_lt_i32_e32 vcc_lo, 0, v7
	s_and_saveexec_b32 s4, vcc_lo
	s_cbranch_execz .LBB20_4
; %bb.2:
	s_add_i32 s2, s18, s17
	s_lshl_b32 s5, s14, 3
	s_add_i32 s2, s2, s16
	s_mov_b32 s6, 0
	s_sub_i32 s2, s2, s5
	s_mov_b32 s5, 0
	v_mul_lo_u32 v3, s2, v1
	s_add_i32 s2, s15, 0
	s_delay_alu instid0(SALU_CYCLE_1) | instskip(NEXT) | instid1(VALU_DEP_2)
	v_add3_u32 v5, s2, v10, v8
	v_lshl_add_u32 v3, v3, 7, v9
	s_delay_alu instid0(VALU_DEP_1)
	v_lshl_or_b32 v3, v0, 2, v3
	.p2align	6
.LBB20_3:                               ; =>This Inner Loop Header: Depth=1
	s_delay_alu instid0(VALU_DEP_1) | instskip(SKIP_1) | instid1(VALU_DEP_1)
	v_ashrrev_i32_e32 v4, 31, v3
	s_add_i32 s6, s6, 1
	v_lshlrev_b64 v[11:12], 1, v[3:4]
	v_add_nc_u32_e32 v3, 0x80, v3
	s_waitcnt lgkmcnt(0)
	s_delay_alu instid0(VALU_DEP_2) | instskip(NEXT) | instid1(VALU_DEP_1)
	v_add_co_u32 v11, s2, s12, v11
	v_add_co_ci_u32_e64 v12, s2, s13, v12, s2
	v_cmp_ge_i32_e64 s2, s6, v7
	global_load_b64 v[11:12], v[11:12], off
	s_or_b32 s5, s2, s5
	s_waitcnt vmcnt(0)
	ds_store_b64 v5, v[11:12]
	v_add_nc_u32_e32 v5, 0x100, v5
	s_and_not1_b32 exec_lo, exec_lo, s5
	s_cbranch_execnz .LBB20_3
.LBB20_4:
	s_or_b32 exec_lo, exec_lo, s4
	s_load_b256 s[4:11], s[0:1], 0x18
	v_mul_lo_u32 v2, v2, s3
	s_add_i32 s0, s20, 15
	s_mov_b32 s20, exec_lo
	s_ashr_i32 s1, s0, 31
	s_delay_alu instid0(SALU_CYCLE_1) | instskip(NEXT) | instid1(SALU_CYCLE_1)
	s_lshr_b32 s1, s1, 28
	s_add_i32 s0, s0, s1
	s_delay_alu instid0(VALU_DEP_1) | instskip(SKIP_1) | instid1(SALU_CYCLE_1)
	v_lshlrev_b32_e32 v11, 2, v2
	s_ashr_i32 s2, s0, 4
	v_cmpx_gt_i32_e64 s2, v0
	s_cbranch_execz .LBB20_7
; %bb.5:
	v_ashrrev_i32_e32 v2, 31, v1
	s_delay_alu instid0(VALU_DEP_1) | instskip(SKIP_1) | instid1(VALU_DEP_1)
	v_lshlrev_b64 v[2:3], 3, v[1:2]
	s_waitcnt lgkmcnt(0)
	v_add_co_u32 v2, s0, s10, v2
	s_delay_alu instid0(VALU_DEP_1)
	v_add_co_ci_u32_e64 v3, s0, s11, v3, s0
	s_ashr_i32 s0, s3, 31
	global_load_b64 v[2:3], v[2:3], off
	s_waitcnt vmcnt(0)
	v_mul_lo_u32 v5, v3, s3
	v_mul_lo_u32 v12, v2, s0
	v_mad_u64_u32 v[3:4], null, v2, s3, 0
	s_delay_alu instid0(VALU_DEP_1) | instskip(SKIP_1) | instid1(VALU_DEP_2)
	v_add3_u32 v4, v4, v12, v5
	v_mov_b32_e32 v5, v0
	v_lshlrev_b64 v[2:3], 2, v[3:4]
	v_lshlrev_b32_e32 v4, 4, v0
	s_delay_alu instid0(VALU_DEP_1) | instskip(NEXT) | instid1(VALU_DEP_1)
	v_add_co_u32 v2, s0, v2, v4
	v_add_co_ci_u32_e64 v3, s0, 0, v3, s0
	v_add3_u32 v4, v11, v4, 0
	s_delay_alu instid0(VALU_DEP_3) | instskip(NEXT) | instid1(VALU_DEP_1)
	v_add_co_u32 v2, s0, s8, v2
	v_add_co_ci_u32_e64 v3, s0, s9, v3, s0
	s_mov_b32 s8, 0
	.p2align	6
.LBB20_6:                               ; =>This Inner Loop Header: Depth=1
	global_load_b128 v[12:15], v[2:3], off
	v_add_nc_u32_e32 v5, 32, v5
	v_add_co_u32 v2, s0, 0x200, v2
	s_delay_alu instid0(VALU_DEP_1) | instskip(NEXT) | instid1(VALU_DEP_3)
	v_add_co_ci_u32_e64 v3, s0, 0, v3, s0
	v_cmp_le_i32_e64 s1, s2, v5
	s_delay_alu instid0(VALU_DEP_1)
	s_or_b32 s8, s1, s8
	s_waitcnt vmcnt(0)
	ds_store_b128 v4, v[12:15]
	v_add_nc_u32_e32 v4, 0x200, v4
	s_and_not1_b32 exec_lo, exec_lo, s8
	s_cbranch_execnz .LBB20_6
.LBB20_7:
	s_or_b32 exec_lo, exec_lo, s20
	s_delay_alu instid0(SALU_CYCLE_1)
	s_and_b32 exec_lo, exec_lo, vcc_lo
	s_cbranch_execz .LBB20_12
; %bb.8:
	s_waitcnt lgkmcnt(0)
	s_clause 0x1
	global_load_b64 v[2:3], v8, s[4:5]
	global_load_b64 v[4:5], v8, s[6:7]
	v_mbcnt_lo_u32_b32 v12, -1, 0
	s_lshr_b32 s0, s3, 31
	v_add3_u32 v11, 0, v11, v8
	s_add_i32 s0, s3, s0
	v_add_nc_u32_e32 v20, s15, v10
	v_xor_b32_e32 v13, 16, v12
	s_lshl_b32 s0, s0, 1
	v_xor_b32_e32 v14, 8, v12
	s_and_b32 s0, s0, -4
	v_xor_b32_e32 v15, 4, v12
	v_add_nc_u32_e32 v10, s0, v11
	v_cmp_gt_i32_e64 s0, 32, v13
	v_xor_b32_e32 v16, 2, v12
	s_add_i32 s2, s18, s17
	s_lshl_b32 s4, s14, 3
	s_add_i32 s2, s2, s16
	v_cndmask_b32_e64 v13, v12, v13, s0
	v_cmp_gt_i32_e64 s0, 32, v14
	s_sub_i32 s2, s2, s4
	v_xor_b32_e32 v17, 1, v12
	v_mul_lo_u32 v1, s2, v1
	s_ashr_i32 s1, s3, 31
	v_cndmask_b32_e64 v14, v12, v14, s0
	v_cmp_gt_i32_e64 s0, 32, v15
	s_lshr_b32 s1, s1, 30
	v_add3_u32 v8, v20, v8, 0
	s_add_i32 s1, s3, s1
	s_mov_b32 s2, 0
	v_cndmask_b32_e64 v15, v12, v15, s0
	v_cmp_gt_i32_e64 s0, 32, v16
	v_lshl_add_u32 v1, v1, 7, v9
	s_ashr_i32 s1, s1, 2
	v_lshlrev_b32_e32 v9, 2, v13
	v_cmp_gt_i32_e32 vcc_lo, s1, v0
	v_cndmask_b32_e64 v16, v12, v16, s0
	v_cmp_gt_i32_e64 s0, 32, v17
	v_lshlrev_b32_e32 v13, 2, v15
	v_lshl_or_b32 v0, v0, 2, v1
	s_mov_b32 s3, 0
	s_delay_alu instid0(VALU_DEP_3) | instskip(SKIP_2) | instid1(VALU_DEP_3)
	v_cndmask_b32_e64 v17, v12, v17, s0
	v_lshlrev_b32_e32 v12, 2, v14
	v_lshlrev_b32_e32 v14, 2, v16
	;; [unrolled: 1-line block ×3, first 2 shown]
	s_waitcnt vmcnt(1)
	v_lshrrev_b32_e32 v16, 16, v2
	v_lshrrev_b32_e32 v17, 16, v3
	s_waitcnt vmcnt(0)
	v_lshrrev_b32_e32 v18, 16, v4
	v_lshrrev_b32_e32 v19, 16, v5
	s_branch .LBB20_10
.LBB20_9:                               ;   in Loop: Header=BB20_10 Depth=1
	s_or_b32 exec_lo, exec_lo, s0
	v_ashrrev_i32_e32 v1, 31, v0
	v_cvt_f16_f32_e32 v24, v23
	v_cvt_f16_f32_e32 v25, v22
	s_add_i32 s3, s3, 1
	v_add_nc_u32_e32 v8, 0x100, v8
	v_lshlrev_b64 v[22:23], 1, v[0:1]
	v_cvt_f16_f32_e32 v1, v20
	v_cvt_f16_f32_e32 v20, v21
	v_pack_b32_f16 v21, v24, v25
	v_add_nc_u32_e32 v0, 0x80, v0
	v_add_co_u32 v22, s0, s12, v22
	s_delay_alu instid0(VALU_DEP_1) | instskip(SKIP_2) | instid1(VALU_DEP_2)
	v_add_co_ci_u32_e64 v23, s0, s13, v23, s0
	v_cmp_ge_i32_e64 s0, s3, v7
	v_pack_b32_f16 v20, v1, v20
	s_or_b32 s2, s0, s2
	global_store_b64 v[22:23], v[20:21], off
	s_and_not1_b32 exec_lo, exec_lo, s2
	s_cbranch_execz .LBB20_12
.LBB20_10:                              ; =>This Inner Loop Header: Depth=1
	ds_load_b64 v[20:21], v8
	s_waitcnt lgkmcnt(0)
	v_lshrrev_b32_e32 v1, 16, v20
	v_lshrrev_b32_e32 v28, 16, v21
	s_delay_alu instid0(VALU_DEP_2) | instskip(NEXT) | instid1(VALU_DEP_2)
	v_cvt_f32_f16_e32 v1, v1
	v_cvt_f32_f16_e32 v28, v28
	s_delay_alu instid0(VALU_DEP_2) | instskip(NEXT) | instid1(VALU_DEP_1)
	v_mul_f32_e32 v22, v1, v1
	v_fma_mix_f32 v22, v20, v20, v22 op_sel_hi:[1,1,0]
	v_cvt_f32_f16_e32 v20, v20
	s_delay_alu instid0(VALU_DEP_2) | instskip(NEXT) | instid1(VALU_DEP_1)
	v_fma_mix_f32 v22, v21, v21, v22 op_sel_hi:[1,1,0]
	v_fma_mix_f32 v22, v21, v21, v22 op_sel:[1,1,0] op_sel_hi:[1,1,0]
	ds_bpermute_b32 v23, v9, v22
	s_waitcnt lgkmcnt(0)
	v_add_f32_e32 v22, v22, v23
	ds_bpermute_b32 v23, v12, v22
	s_waitcnt lgkmcnt(0)
	v_add_f32_e32 v22, v22, v23
	;; [unrolled: 3-line block ×5, first 2 shown]
	s_delay_alu instid0(VALU_DEP_1) | instskip(NEXT) | instid1(VALU_DEP_1)
	v_fma_f32 v22, 0x3c000000, v22, s19
	v_mul_f32_e32 v23, 0x4b800000, v22
	v_cmp_gt_f32_e64 s0, 0x800000, v22
	s_delay_alu instid0(VALU_DEP_1) | instskip(SKIP_1) | instid1(VALU_DEP_2)
	v_cndmask_b32_e64 v22, v22, v23, s0
	v_add_nc_u32_e32 v23, s3, v6
	v_rsq_f32_e32 v22, v22
	s_delay_alu instid0(VALU_DEP_1) | instskip(NEXT) | instid1(VALU_DEP_1)
	v_cmp_gt_i32_e64 s1, s16, v23
	v_cndmask_b32_e64 v23, v4, v2, s1
	v_cndmask_b32_e64 v24, v18, v16, s1
	v_cndmask_b32_e64 v25, v5, v3, s1
	v_cndmask_b32_e64 v27, v19, v17, s1
	s_delay_alu instid0(VALU_DEP_4) | instskip(NEXT) | instid1(TRANS32_DEP_1)
	v_cvt_f32_f16_e32 v23, v23
	v_mul_f32_e32 v26, 0x45800000, v22
	v_cvt_f32_f16_e32 v24, v24
	v_cvt_f32_f16_e32 v25, v25
	s_delay_alu instid0(VALU_DEP_3) | instskip(SKIP_2) | instid1(VALU_DEP_3)
	v_cndmask_b32_e64 v22, v22, v26, s0
	v_cvt_f32_f16_e32 v26, v27
	v_cvt_f32_f16_e32 v27, v21
	v_mul_f32_e32 v21, v22, v23
	v_mul_f32_e32 v23, v22, v24
	;; [unrolled: 1-line block ×4, first 2 shown]
	s_delay_alu instid0(VALU_DEP_3) | instskip(NEXT) | instid1(VALU_DEP_2)
	v_dual_mul_f32 v20, v21, v20 :: v_dual_mul_f32 v21, v23, v1
	v_dual_mul_f32 v23, v24, v27 :: v_dual_mul_f32 v22, v22, v28
	s_and_saveexec_b32 s0, vcc_lo
	s_cbranch_execz .LBB20_9
; %bb.11:                               ;   in Loop: Header=BB20_10 Depth=1
	ds_load_2addr_b32 v[24:25], v10 offset1:1
	ds_load_2addr_b32 v[26:27], v11 offset1:1
	s_waitcnt lgkmcnt(1)
	v_dual_mul_f32 v1, v21, v24 :: v_dual_mul_f32 v28, v22, v25
	v_dual_mul_f32 v24, v20, v24 :: v_dual_mul_f32 v25, v23, v25
	s_waitcnt lgkmcnt(0)
	s_delay_alu instid0(VALU_DEP_2) | instskip(NEXT) | instid1(VALU_DEP_3)
	v_fma_f32 v20, v20, v26, -v1
	v_fma_f32 v23, v23, v27, -v28
	s_delay_alu instid0(VALU_DEP_3) | instskip(NEXT) | instid1(VALU_DEP_1)
	v_dual_fmac_f32 v24, v21, v26 :: v_dual_fmac_f32 v25, v22, v27
	v_dual_mov_b32 v21, v24 :: v_dual_mov_b32 v22, v25
	s_branch .LBB20_9
.LBB20_12:
	s_nop 0
	s_sendmsg sendmsg(MSG_DEALLOC_VGPRS)
	s_endpgm
	.section	.rodata,"a",@progbits
	.p2align	6, 0x0
	.amdhsa_kernel _ZN12tensorrt_llm7kernels32fusedQKNormRopeKernelNTokenHeadsIN3c104HalfEfLi128ELb1ELi8EEEvPviiifPKvS6_S6_PKlii
		.amdhsa_group_segment_fixed_size 0
		.amdhsa_private_segment_fixed_size 0
		.amdhsa_kernarg_size 320
		.amdhsa_user_sgpr_count 15
		.amdhsa_user_sgpr_dispatch_ptr 0
		.amdhsa_user_sgpr_queue_ptr 0
		.amdhsa_user_sgpr_kernarg_segment_ptr 1
		.amdhsa_user_sgpr_dispatch_id 0
		.amdhsa_user_sgpr_private_segment_size 0
		.amdhsa_wavefront_size32 1
		.amdhsa_uses_dynamic_stack 0
		.amdhsa_enable_private_segment 0
		.amdhsa_system_sgpr_workgroup_id_x 1
		.amdhsa_system_sgpr_workgroup_id_y 0
		.amdhsa_system_sgpr_workgroup_id_z 0
		.amdhsa_system_sgpr_workgroup_info 0
		.amdhsa_system_vgpr_workitem_id 0
		.amdhsa_next_free_vgpr 29
		.amdhsa_next_free_sgpr 21
		.amdhsa_reserve_vcc 1
		.amdhsa_float_round_mode_32 0
		.amdhsa_float_round_mode_16_64 0
		.amdhsa_float_denorm_mode_32 3
		.amdhsa_float_denorm_mode_16_64 3
		.amdhsa_dx10_clamp 1
		.amdhsa_ieee_mode 1
		.amdhsa_fp16_overflow 0
		.amdhsa_workgroup_processor_mode 1
		.amdhsa_memory_ordered 1
		.amdhsa_forward_progress 0
		.amdhsa_shared_vgpr_count 0
		.amdhsa_exception_fp_ieee_invalid_op 0
		.amdhsa_exception_fp_denorm_src 0
		.amdhsa_exception_fp_ieee_div_zero 0
		.amdhsa_exception_fp_ieee_overflow 0
		.amdhsa_exception_fp_ieee_underflow 0
		.amdhsa_exception_fp_ieee_inexact 0
		.amdhsa_exception_int_div_zero 0
	.end_amdhsa_kernel
	.section	.text._ZN12tensorrt_llm7kernels32fusedQKNormRopeKernelNTokenHeadsIN3c104HalfEfLi128ELb1ELi8EEEvPviiifPKvS6_S6_PKlii,"axG",@progbits,_ZN12tensorrt_llm7kernels32fusedQKNormRopeKernelNTokenHeadsIN3c104HalfEfLi128ELb1ELi8EEEvPviiifPKvS6_S6_PKlii,comdat
.Lfunc_end20:
	.size	_ZN12tensorrt_llm7kernels32fusedQKNormRopeKernelNTokenHeadsIN3c104HalfEfLi128ELb1ELi8EEEvPviiifPKvS6_S6_PKlii, .Lfunc_end20-_ZN12tensorrt_llm7kernels32fusedQKNormRopeKernelNTokenHeadsIN3c104HalfEfLi128ELb1ELi8EEEvPviiifPKvS6_S6_PKlii
                                        ; -- End function
	.section	.AMDGPU.csdata,"",@progbits
; Kernel info:
; codeLenInByte = 1696
; NumSgprs: 23
; NumVgprs: 29
; ScratchSize: 0
; MemoryBound: 0
; FloatMode: 240
; IeeeMode: 1
; LDSByteSize: 0 bytes/workgroup (compile time only)
; SGPRBlocks: 2
; VGPRBlocks: 3
; NumSGPRsForWavesPerEU: 23
; NumVGPRsForWavesPerEU: 29
; Occupancy: 16
; WaveLimiterHint : 0
; COMPUTE_PGM_RSRC2:SCRATCH_EN: 0
; COMPUTE_PGM_RSRC2:USER_SGPR: 15
; COMPUTE_PGM_RSRC2:TRAP_HANDLER: 0
; COMPUTE_PGM_RSRC2:TGID_X_EN: 1
; COMPUTE_PGM_RSRC2:TGID_Y_EN: 0
; COMPUTE_PGM_RSRC2:TGID_Z_EN: 0
; COMPUTE_PGM_RSRC2:TIDIG_COMP_CNT: 0
	.section	.text._ZN12tensorrt_llm7kernels32fusedQKNormRopeKernelNTokenHeadsIN3c104HalfEfLi128ELb0ELi8EEEvPviiifPKvS6_S6_PKlii,"axG",@progbits,_ZN12tensorrt_llm7kernels32fusedQKNormRopeKernelNTokenHeadsIN3c104HalfEfLi128ELb0ELi8EEEvPviiifPKvS6_S6_PKlii,comdat
	.protected	_ZN12tensorrt_llm7kernels32fusedQKNormRopeKernelNTokenHeadsIN3c104HalfEfLi128ELb0ELi8EEEvPviiifPKvS6_S6_PKlii ; -- Begin function _ZN12tensorrt_llm7kernels32fusedQKNormRopeKernelNTokenHeadsIN3c104HalfEfLi128ELb0ELi8EEEvPviiifPKvS6_S6_PKlii
	.globl	_ZN12tensorrt_llm7kernels32fusedQKNormRopeKernelNTokenHeadsIN3c104HalfEfLi128ELb0ELi8EEEvPviiifPKvS6_S6_PKlii
	.p2align	8
	.type	_ZN12tensorrt_llm7kernels32fusedQKNormRopeKernelNTokenHeadsIN3c104HalfEfLi128ELb0ELi8EEEvPviiifPKvS6_S6_PKlii,@function
_ZN12tensorrt_llm7kernels32fusedQKNormRopeKernelNTokenHeadsIN3c104HalfEfLi128ELb0ELi8EEEvPviiifPKvS6_S6_PKlii: ; @_ZN12tensorrt_llm7kernels32fusedQKNormRopeKernelNTokenHeadsIN3c104HalfEfLi128ELb0ELi8EEEvPviiifPKvS6_S6_PKlii
; %bb.0:
	s_clause 0x1
	s_load_b128 s[16:19], s[0:1], 0x8
	s_load_b64 s[2:3], s[0:1], 0x38
	s_waitcnt lgkmcnt(0)
	s_add_i32 s4, s17, s16
	s_delay_alu instid0(SALU_CYCLE_1) | instskip(NEXT) | instid1(SALU_CYCLE_1)
	s_add_i32 s5, s4, 7
	s_ashr_i32 s6, s5, 31
	s_delay_alu instid0(SALU_CYCLE_1) | instskip(NEXT) | instid1(SALU_CYCLE_1)
	s_lshr_b32 s6, s6, 29
	s_add_i32 s5, s5, s6
	s_delay_alu instid0(SALU_CYCLE_1) | instskip(SKIP_2) | instid1(SALU_CYCLE_1)
	s_ashr_i32 s14, s5, 3
	s_load_b32 s5, s[0:1], 0x4c
	s_abs_i32 s6, s14
	v_cvt_f32_u32_e32 v1, s6
	s_sub_i32 s7, 0, s6
	s_delay_alu instid0(VALU_DEP_1) | instskip(SKIP_4) | instid1(VALU_DEP_1)
	v_rcp_iflag_f32_e32 v1, v1
	s_waitcnt_depctr 0xfff
	v_mul_f32_e32 v1, 0x4f7ffffe, v1
	s_waitcnt lgkmcnt(0)
	s_bfe_u32 s5, s5, 0xb0005
	v_cvt_u32_f32_e32 v4, v1
	v_lshrrev_b32_e32 v1, 5, v0
	s_delay_alu instid0(VALU_DEP_2) | instskip(NEXT) | instid1(VALU_DEP_2)
	v_mul_lo_u32 v5, s7, v4
	v_mad_u64_u32 v[2:3], null, s15, s5, v[1:2]
	s_delay_alu instid0(VALU_DEP_2) | instskip(NEXT) | instid1(VALU_DEP_2)
	v_mul_hi_u32 v3, v4, v5
	v_sub_nc_u32_e32 v5, 0, v2
	s_delay_alu instid0(VALU_DEP_1) | instskip(NEXT) | instid1(VALU_DEP_3)
	v_max_i32_e32 v5, v2, v5
	v_add_nc_u32_e32 v3, v4, v3
	s_delay_alu instid0(VALU_DEP_1) | instskip(NEXT) | instid1(VALU_DEP_1)
	v_mul_hi_u32 v3, v5, v3
	v_mul_lo_u32 v4, v3, s6
	s_delay_alu instid0(VALU_DEP_1) | instskip(SKIP_1) | instid1(VALU_DEP_2)
	v_sub_nc_u32_e32 v4, v5, v4
	v_add_nc_u32_e32 v5, 1, v3
	v_subrev_nc_u32_e32 v6, s6, v4
	v_cmp_le_u32_e32 vcc_lo, s6, v4
	s_delay_alu instid0(VALU_DEP_2) | instskip(SKIP_1) | instid1(VALU_DEP_2)
	v_dual_cndmask_b32 v4, v4, v6 :: v_dual_cndmask_b32 v3, v3, v5
	v_xor_b32_e32 v5, s14, v2
	v_cmp_le_u32_e32 vcc_lo, s6, v4
	s_delay_alu instid0(VALU_DEP_3) | instskip(NEXT) | instid1(VALU_DEP_3)
	v_add_nc_u32_e32 v6, 1, v3
	v_ashrrev_i32_e32 v5, 31, v5
	s_delay_alu instid0(VALU_DEP_2) | instskip(NEXT) | instid1(VALU_DEP_1)
	v_cndmask_b32_e32 v3, v3, v6, vcc_lo
	v_xor_b32_e32 v3, v3, v5
	s_delay_alu instid0(VALU_DEP_1) | instskip(NEXT) | instid1(VALU_DEP_1)
	v_sub_nc_u32_e32 v4, v3, v5
	v_cmp_gt_i32_e32 vcc_lo, s2, v4
	s_and_saveexec_b32 s2, vcc_lo
	s_cbranch_execz .LBB21_12
; %bb.1:
	v_mul_lo_u32 v3, v4, s14
	s_load_b64 s[12:13], s[0:1], 0x0
	v_and_b32_e32 v9, 31, v0
	v_lshlrev_b32_e32 v11, 11, v1
	v_lshlrev_b32_e32 v10, 10, v2
	s_lshl_b32 s20, s3, 2
	s_delay_alu instid0(VALU_DEP_3) | instskip(SKIP_2) | instid1(VALU_DEP_1)
	v_lshlrev_b32_e32 v8, 3, v9
	v_sub_nc_u32_e32 v3, v2, v3
	s_mul_i32 s15, s20, s5
	v_lshlrev_b32_e32 v6, 3, v3
	s_delay_alu instid0(VALU_DEP_1) | instskip(SKIP_1) | instid1(VALU_DEP_2)
	v_add_nc_u32_e32 v3, 8, v6
	v_sub_nc_u32_e32 v5, s4, v6
	v_cmp_lt_i32_e32 vcc_lo, s4, v3
	s_delay_alu instid0(VALU_DEP_2) | instskip(NEXT) | instid1(VALU_DEP_1)
	v_cndmask_b32_e32 v7, 8, v5, vcc_lo
	v_cmp_lt_i32_e32 vcc_lo, 0, v7
	s_and_saveexec_b32 s4, vcc_lo
	s_cbranch_execz .LBB21_4
; %bb.2:
	s_add_i32 s2, s18, s17
	s_lshl_b32 s5, s14, 3
	s_add_i32 s2, s2, s16
	s_mov_b32 s6, 0
	s_sub_i32 s2, s2, s5
	s_mov_b32 s5, 0
	v_mul_lo_u32 v0, s2, v4
	s_add_i32 s2, s15, 0
	s_delay_alu instid0(VALU_DEP_1) | instskip(SKIP_1) | instid1(VALU_DEP_2)
	v_lshl_add_u32 v2, v0, 7, v10
	v_add3_u32 v0, s2, v11, v8
	v_lshl_or_b32 v2, v9, 2, v2
	.p2align	6
.LBB21_3:                               ; =>This Inner Loop Header: Depth=1
	s_delay_alu instid0(VALU_DEP_1) | instskip(SKIP_1) | instid1(VALU_DEP_1)
	v_ashrrev_i32_e32 v3, 31, v2
	s_add_i32 s6, s6, 1
	v_lshlrev_b64 v[12:13], 1, v[2:3]
	v_add_nc_u32_e32 v2, 0x80, v2
	s_waitcnt lgkmcnt(0)
	s_delay_alu instid0(VALU_DEP_2) | instskip(NEXT) | instid1(VALU_DEP_1)
	v_add_co_u32 v12, s2, s12, v12
	v_add_co_ci_u32_e64 v13, s2, s13, v13, s2
	v_cmp_ge_i32_e64 s2, s6, v7
	global_load_b64 v[12:13], v[12:13], off
	s_or_b32 s5, s2, s5
	s_waitcnt vmcnt(0)
	ds_store_b64 v0, v[12:13]
	v_add_nc_u32_e32 v0, 0x100, v0
	s_and_not1_b32 exec_lo, exec_lo, s5
	s_cbranch_execnz .LBB21_3
.LBB21_4:
	s_or_b32 exec_lo, exec_lo, s4
	s_load_b256 s[4:11], s[0:1], 0x18
	s_add_i32 s0, s20, 15
	v_mul_lo_u32 v12, v1, s3
	s_ashr_i32 s1, s0, 31
	s_mov_b32 s20, exec_lo
	s_lshr_b32 s1, s1, 28
	s_delay_alu instid0(SALU_CYCLE_1) | instskip(NEXT) | instid1(SALU_CYCLE_1)
	s_add_i32 s0, s0, s1
	s_ashr_i32 s2, s0, 4
	s_delay_alu instid0(SALU_CYCLE_1)
	v_cmpx_gt_i32_e64 s2, v9
	s_cbranch_execz .LBB21_7
; %bb.5:
	v_ashrrev_i32_e32 v5, 31, v4
	s_delay_alu instid0(VALU_DEP_1) | instskip(SKIP_1) | instid1(VALU_DEP_1)
	v_lshlrev_b64 v[0:1], 3, v[4:5]
	s_waitcnt lgkmcnt(0)
	v_add_co_u32 v0, s0, s10, v0
	s_delay_alu instid0(VALU_DEP_1)
	v_add_co_ci_u32_e64 v1, s0, s11, v1, s0
	s_ashr_i32 s0, s3, 31
	global_load_b64 v[0:1], v[0:1], off
	s_waitcnt vmcnt(0)
	v_mul_lo_u32 v3, v1, s3
	v_mul_lo_u32 v5, v0, s0
	v_mad_u64_u32 v[1:2], null, v0, s3, 0
	s_delay_alu instid0(VALU_DEP_1) | instskip(SKIP_1) | instid1(VALU_DEP_2)
	v_add3_u32 v2, v2, v5, v3
	v_lshlrev_b32_e32 v3, 2, v12
	v_lshlrev_b64 v[0:1], 2, v[1:2]
	v_lshlrev_b32_e32 v2, 4, v9
	s_delay_alu instid0(VALU_DEP_1) | instskip(NEXT) | instid1(VALU_DEP_1)
	v_add_co_u32 v0, s0, v0, v2
	v_add_co_ci_u32_e64 v1, s0, 0, v1, s0
	v_add3_u32 v2, v3, v2, 0
	v_mov_b32_e32 v3, v9
	s_delay_alu instid0(VALU_DEP_4) | instskip(NEXT) | instid1(VALU_DEP_1)
	v_add_co_u32 v0, s0, s8, v0
	v_add_co_ci_u32_e64 v1, s0, s9, v1, s0
	s_mov_b32 s8, 0
	.p2align	6
.LBB21_6:                               ; =>This Inner Loop Header: Depth=1
	global_load_b128 v[13:16], v[0:1], off
	v_add_nc_u32_e32 v3, 32, v3
	v_add_co_u32 v0, s0, 0x200, v0
	s_delay_alu instid0(VALU_DEP_1) | instskip(NEXT) | instid1(VALU_DEP_3)
	v_add_co_ci_u32_e64 v1, s0, 0, v1, s0
	v_cmp_le_i32_e64 s1, s2, v3
	s_delay_alu instid0(VALU_DEP_1)
	s_or_b32 s8, s1, s8
	s_waitcnt vmcnt(0)
	ds_store_b128 v2, v[13:16]
	v_add_nc_u32_e32 v2, 0x200, v2
	s_and_not1_b32 exec_lo, exec_lo, s8
	s_cbranch_execnz .LBB21_6
.LBB21_7:
	s_or_b32 exec_lo, exec_lo, s20
	s_delay_alu instid0(SALU_CYCLE_1)
	s_and_b32 exec_lo, exec_lo, vcc_lo
	s_cbranch_execz .LBB21_12
; %bb.8:
	s_waitcnt lgkmcnt(0)
	s_clause 0x1
	global_load_b64 v[0:1], v8, s[4:5]
	global_load_b64 v[2:3], v8, s[6:7]
	s_abs_i32 s2, s3
	v_lshl_add_u32 v5, v12, 2, 0
	v_cvt_f32_u32_e32 v12, s2
	s_lshr_b32 s0, s3, 31
	v_mbcnt_lo_u32_b32 v13, -1, 0
	s_add_i32 s0, s3, s0
	v_add_nc_u32_e32 v27, s15, v11
	v_rcp_iflag_f32_e32 v12, v12
	s_lshl_b32 s0, s0, 1
	s_ashr_i32 s1, s3, 31
	s_and_b32 s0, s0, -4
	s_lshr_b32 s6, s1, 30
	s_lshr_b32 s1, s1, 29
	s_sub_i32 s7, 0, s2
	s_add_i32 s1, s3, s1
	v_xor_b32_e32 v17, 8, v13
	s_waitcnt_depctr 0xfff
	v_dual_mul_f32 v11, 0x4f7ffffe, v12 :: v_dual_add_nc_u32 v22, s0, v5
	v_xor_b32_e32 v12, 16, v13
	s_ashr_i32 s1, s1, 3
	v_xor_b32_e32 v18, 4, v13
	v_xor_b32_e32 v23, s1, v13
	v_cvt_u32_f32_e32 v11, v11
	v_cmp_gt_i32_e64 s0, s1, v9
	v_cmp_gt_i32_e64 s1, 32, v12
	v_xor_b32_e32 v20, 2, v13
	v_xor_b32_e32 v21, 1, v13
	v_mul_lo_u32 v19, s7, v11
	v_or_b32_e32 v14, 2, v8
	v_cndmask_b32_e64 v12, v13, v12, s1
	v_cmp_gt_i32_e64 s1, 32, v17
	v_or_b32_e32 v15, 4, v8
	v_or_b32_e32 v16, 6, v8
	s_add_i32 s4, s18, s17
	s_lshl_b32 s5, s14, 3
	v_mul_hi_u32 v19, v11, v19
	v_cndmask_b32_e64 v17, v13, v17, s1
	v_cmp_gt_i32_e64 s1, 32, v18
	s_add_i32 s4, s4, s16
	s_add_i32 s6, s3, s6
	s_sub_i32 s3, s4, s5
	s_ashr_i32 s4, s6, 2
	v_cndmask_b32_e64 v18, v13, v18, s1
	v_cmp_gt_i32_e64 s1, 32, v20
	v_add_nc_u32_e32 v11, v11, v19
	v_mul_lo_u32 v4, s3, v4
	v_cmp_gt_i32_e32 vcc_lo, s4, v9
	s_mov_b32 s3, 0
	v_cndmask_b32_e64 v19, v13, v20, s1
	v_cmp_gt_i32_e64 s1, 32, v21
	v_mul_hi_u32 v20, v8, v11
	v_mul_hi_u32 v24, v14, v11
	;; [unrolled: 1-line block ×4, first 2 shown]
	v_cndmask_b32_e64 v21, v13, v21, s1
	v_cmp_gt_i32_e64 s1, 32, v23
	v_lshl_add_u32 v4, v4, 7, v10
	v_lshlrev_b32_e32 v10, 2, v12
	v_lshlrev_b32_e32 v12, 2, v18
	s_mov_b32 s4, 0
	v_cndmask_b32_e64 v23, v13, v23, s1
	v_mul_lo_u32 v13, v20, s2
	v_mul_lo_u32 v20, v24, s2
	;; [unrolled: 1-line block ×4, first 2 shown]
	v_lshlrev_b32_e32 v11, 2, v17
	v_lshl_or_b32 v4, v9, 2, v4
	v_sub_nc_u32_e32 v17, v8, v13
	v_sub_nc_u32_e32 v14, v14, v20
	;; [unrolled: 1-line block ×3, first 2 shown]
	v_lshlrev_b32_e32 v13, 2, v19
	v_sub_nc_u32_e32 v16, v16, v25
	v_subrev_nc_u32_e32 v18, s2, v17
	v_cmp_le_u32_e64 s1, s2, v17
	v_subrev_nc_u32_e32 v19, s2, v14
	v_subrev_nc_u32_e32 v20, s2, v15
	;; [unrolled: 1-line block ×3, first 2 shown]
	v_add3_u32 v8, v27, v8, 0
	v_cndmask_b32_e64 v17, v17, v18, s1
	v_cmp_le_u32_e64 s1, s2, v14
	s_delay_alu instid0(VALU_DEP_1) | instskip(SKIP_1) | instid1(VALU_DEP_4)
	v_cndmask_b32_e64 v18, v14, v19, s1
	v_cmp_le_u32_e64 s1, s2, v15
	v_subrev_nc_u32_e32 v19, s2, v17
	v_lshlrev_b32_e32 v14, 2, v21
	s_delay_alu instid0(VALU_DEP_3) | instskip(SKIP_2) | instid1(VALU_DEP_3)
	v_cndmask_b32_e64 v15, v15, v20, s1
	v_cmp_le_u32_e64 s1, s2, v16
	v_subrev_nc_u32_e32 v20, s2, v18
	v_subrev_nc_u32_e32 v21, s2, v15
	s_delay_alu instid0(VALU_DEP_3) | instskip(SKIP_1) | instid1(VALU_DEP_2)
	v_cndmask_b32_e64 v16, v16, v24, s1
	v_cmp_le_u32_e64 s1, s2, v17
	v_subrev_nc_u32_e32 v24, s2, v16
	s_delay_alu instid0(VALU_DEP_2) | instskip(SKIP_1) | instid1(VALU_DEP_2)
	v_cndmask_b32_e64 v17, v17, v19, s1
	v_cmp_le_u32_e64 s1, s2, v18
	v_lshlrev_b32_e32 v17, 1, v17
	s_delay_alu instid0(VALU_DEP_2) | instskip(SKIP_1) | instid1(VALU_DEP_3)
	v_cndmask_b32_e64 v18, v18, v20, s1
	v_cmp_le_u32_e64 s1, s2, v15
	v_and_b32_e32 v17, -4, v17
	s_delay_alu instid0(VALU_DEP_3) | instskip(NEXT) | instid1(VALU_DEP_3)
	v_lshlrev_b32_e32 v18, 1, v18
	v_cndmask_b32_e64 v19, v15, v21, s1
	v_cmp_le_u32_e64 s1, s2, v16
	v_lshlrev_b32_e32 v15, 2, v23
	v_add_nc_u32_e32 v9, v5, v17
	v_and_b32_e32 v18, -4, v18
	v_lshlrev_b32_e32 v19, 1, v19
	v_cndmask_b32_e64 v16, v16, v24, s1
	s_delay_alu instid0(VALU_DEP_2) | instskip(NEXT) | instid1(VALU_DEP_2)
	v_and_b32_e32 v20, -4, v19
	v_lshlrev_b32_e32 v16, 1, v16
	s_delay_alu instid0(VALU_DEP_2) | instskip(NEXT) | instid1(VALU_DEP_2)
	v_add_nc_u32_e32 v19, v5, v20
	v_and_b32_e32 v23, -4, v16
	v_add_nc_u32_e32 v16, v22, v17
	v_add_nc_u32_e32 v17, v5, v18
	;; [unrolled: 1-line block ×6, first 2 shown]
	s_waitcnt vmcnt(1)
	v_lshrrev_b32_e32 v23, 16, v0
	v_lshrrev_b32_e32 v24, 16, v1
	s_waitcnt vmcnt(0)
	v_lshrrev_b32_e32 v25, 16, v2
	v_lshrrev_b32_e32 v26, 16, v3
	s_branch .LBB21_10
.LBB21_9:                               ;   in Loop: Header=BB21_10 Depth=1
	s_or_b32 exec_lo, exec_lo, s1
	v_ashrrev_i32_e32 v5, 31, v4
	v_cvt_f16_f32_e32 v31, v30
	v_cvt_f16_f32_e32 v32, v29
	s_add_i32 s4, s4, 1
	v_add_nc_u32_e32 v8, 0x100, v8
	v_lshlrev_b64 v[29:30], 1, v[4:5]
	v_cvt_f16_f32_e32 v5, v27
	v_cvt_f16_f32_e32 v27, v28
	v_pack_b32_f16 v28, v31, v32
	v_add_nc_u32_e32 v4, 0x80, v4
	v_add_co_u32 v29, s1, s12, v29
	s_delay_alu instid0(VALU_DEP_1) | instskip(SKIP_2) | instid1(VALU_DEP_2)
	v_add_co_ci_u32_e64 v30, s1, s13, v30, s1
	v_cmp_ge_i32_e64 s1, s4, v7
	v_pack_b32_f16 v27, v5, v27
	s_or_b32 s3, s1, s3
	global_store_b64 v[29:30], v[27:28], off
	s_and_not1_b32 exec_lo, exec_lo, s3
	s_cbranch_execz .LBB21_12
.LBB21_10:                              ; =>This Inner Loop Header: Depth=1
	ds_load_b64 v[27:28], v8
	s_waitcnt lgkmcnt(0)
	v_lshrrev_b32_e32 v5, 16, v27
	v_lshrrev_b32_e32 v35, 16, v28
	s_delay_alu instid0(VALU_DEP_2) | instskip(NEXT) | instid1(VALU_DEP_2)
	v_cvt_f32_f16_e32 v5, v5
	v_cvt_f32_f16_e32 v35, v35
	s_delay_alu instid0(VALU_DEP_2) | instskip(NEXT) | instid1(VALU_DEP_1)
	v_mul_f32_e32 v29, v5, v5
	v_fma_mix_f32 v29, v27, v27, v29 op_sel_hi:[1,1,0]
	v_cvt_f32_f16_e32 v27, v27
	s_delay_alu instid0(VALU_DEP_2) | instskip(NEXT) | instid1(VALU_DEP_1)
	v_fma_mix_f32 v29, v28, v28, v29 op_sel_hi:[1,1,0]
	v_fma_mix_f32 v29, v28, v28, v29 op_sel:[1,1,0] op_sel_hi:[1,1,0]
	ds_bpermute_b32 v30, v10, v29
	s_waitcnt lgkmcnt(0)
	v_add_f32_e32 v29, v29, v30
	ds_bpermute_b32 v30, v11, v29
	s_waitcnt lgkmcnt(0)
	v_add_f32_e32 v29, v29, v30
	ds_bpermute_b32 v30, v12, v29
	s_waitcnt lgkmcnt(0)
	v_add_f32_e32 v29, v29, v30
	ds_bpermute_b32 v30, v13, v29
	s_waitcnt lgkmcnt(0)
	v_add_f32_e32 v29, v29, v30
	ds_bpermute_b32 v30, v14, v29
	s_waitcnt lgkmcnt(0)
	v_add_f32_e32 v29, v29, v30
	s_delay_alu instid0(VALU_DEP_1) | instskip(NEXT) | instid1(VALU_DEP_1)
	v_fma_f32 v29, 0x3c000000, v29, s19
	v_mul_f32_e32 v30, 0x4b800000, v29
	v_cmp_gt_f32_e64 s1, 0x800000, v29
	s_delay_alu instid0(VALU_DEP_1) | instskip(SKIP_1) | instid1(VALU_DEP_2)
	v_cndmask_b32_e64 v29, v29, v30, s1
	v_add_nc_u32_e32 v30, s4, v6
	v_rsq_f32_e32 v29, v29
	s_delay_alu instid0(VALU_DEP_1) | instskip(NEXT) | instid1(VALU_DEP_1)
	v_cmp_gt_i32_e64 s2, s16, v30
	v_cndmask_b32_e64 v30, v2, v0, s2
	v_cndmask_b32_e64 v31, v25, v23, s2
	;; [unrolled: 1-line block ×4, first 2 shown]
	s_delay_alu instid0(VALU_DEP_4) | instskip(NEXT) | instid1(TRANS32_DEP_1)
	v_cvt_f32_f16_e32 v30, v30
	v_mul_f32_e32 v33, 0x45800000, v29
	v_cvt_f32_f16_e32 v31, v31
	v_cvt_f32_f16_e32 v32, v32
	s_delay_alu instid0(VALU_DEP_3) | instskip(SKIP_2) | instid1(VALU_DEP_3)
	v_cndmask_b32_e64 v29, v29, v33, s1
	v_cvt_f32_f16_e32 v33, v34
	v_cvt_f32_f16_e32 v34, v28
	v_mul_f32_e32 v28, v29, v30
	v_mul_f32_e32 v30, v29, v31
	;; [unrolled: 1-line block ×4, first 2 shown]
	s_delay_alu instid0(VALU_DEP_3) | instskip(NEXT) | instid1(VALU_DEP_2)
	v_dual_mul_f32 v27, v28, v27 :: v_dual_mul_f32 v28, v30, v5
	v_dual_mul_f32 v30, v31, v34 :: v_dual_mul_f32 v29, v29, v35
	s_and_saveexec_b32 s1, vcc_lo
	s_cbranch_execz .LBB21_9
; %bb.11:                               ;   in Loop: Header=BB21_10 Depth=1
	ds_bpermute_b32 v5, v15, v27
	ds_bpermute_b32 v31, v15, v28
	;; [unrolled: 1-line block ×4, first 2 shown]
	; wave barrier
	ds_load_b32 v34, v16
	ds_load_b32 v35, v18
	;; [unrolled: 1-line block ×8, first 2 shown]
	; wave barrier
	s_waitcnt lgkmcnt(11)
	v_cndmask_b32_e64 v5, v5, -v5, s0
	s_waitcnt lgkmcnt(10)
	v_cndmask_b32_e64 v31, v31, -v31, s0
	;; [unrolled: 2-line block ×4, first 2 shown]
	s_waitcnt lgkmcnt(5)
	s_delay_alu instid0(VALU_DEP_2) | instskip(SKIP_1) | instid1(VALU_DEP_1)
	v_dual_mul_f32 v5, v5, v34 :: v_dual_mul_f32 v32, v32, v36
	s_waitcnt lgkmcnt(1)
	v_dual_mul_f32 v31, v31, v35 :: v_dual_fmac_f32 v32, v30, v40
	s_delay_alu instid0(VALU_DEP_1) | instskip(SKIP_1) | instid1(VALU_DEP_3)
	v_fmac_f32_e32 v31, v28, v39
	v_mul_f32_e32 v33, v33, v37
	v_dual_fmac_f32 v5, v27, v38 :: v_dual_mov_b32 v30, v32
	s_waitcnt lgkmcnt(0)
	s_delay_alu instid0(VALU_DEP_2) | instskip(NEXT) | instid1(VALU_DEP_2)
	v_dual_mov_b32 v28, v31 :: v_dual_fmac_f32 v33, v29, v41
	v_mov_b32_e32 v27, v5
	s_delay_alu instid0(VALU_DEP_2)
	v_mov_b32_e32 v29, v33
	s_branch .LBB21_9
.LBB21_12:
	s_nop 0
	s_sendmsg sendmsg(MSG_DEALLOC_VGPRS)
	s_endpgm
	.section	.rodata,"a",@progbits
	.p2align	6, 0x0
	.amdhsa_kernel _ZN12tensorrt_llm7kernels32fusedQKNormRopeKernelNTokenHeadsIN3c104HalfEfLi128ELb0ELi8EEEvPviiifPKvS6_S6_PKlii
		.amdhsa_group_segment_fixed_size 0
		.amdhsa_private_segment_fixed_size 0
		.amdhsa_kernarg_size 320
		.amdhsa_user_sgpr_count 15
		.amdhsa_user_sgpr_dispatch_ptr 0
		.amdhsa_user_sgpr_queue_ptr 0
		.amdhsa_user_sgpr_kernarg_segment_ptr 1
		.amdhsa_user_sgpr_dispatch_id 0
		.amdhsa_user_sgpr_private_segment_size 0
		.amdhsa_wavefront_size32 1
		.amdhsa_uses_dynamic_stack 0
		.amdhsa_enable_private_segment 0
		.amdhsa_system_sgpr_workgroup_id_x 1
		.amdhsa_system_sgpr_workgroup_id_y 0
		.amdhsa_system_sgpr_workgroup_id_z 0
		.amdhsa_system_sgpr_workgroup_info 0
		.amdhsa_system_vgpr_workitem_id 0
		.amdhsa_next_free_vgpr 42
		.amdhsa_next_free_sgpr 21
		.amdhsa_reserve_vcc 1
		.amdhsa_float_round_mode_32 0
		.amdhsa_float_round_mode_16_64 0
		.amdhsa_float_denorm_mode_32 3
		.amdhsa_float_denorm_mode_16_64 3
		.amdhsa_dx10_clamp 1
		.amdhsa_ieee_mode 1
		.amdhsa_fp16_overflow 0
		.amdhsa_workgroup_processor_mode 1
		.amdhsa_memory_ordered 1
		.amdhsa_forward_progress 0
		.amdhsa_shared_vgpr_count 0
		.amdhsa_exception_fp_ieee_invalid_op 0
		.amdhsa_exception_fp_denorm_src 0
		.amdhsa_exception_fp_ieee_div_zero 0
		.amdhsa_exception_fp_ieee_overflow 0
		.amdhsa_exception_fp_ieee_underflow 0
		.amdhsa_exception_fp_ieee_inexact 0
		.amdhsa_exception_int_div_zero 0
	.end_amdhsa_kernel
	.section	.text._ZN12tensorrt_llm7kernels32fusedQKNormRopeKernelNTokenHeadsIN3c104HalfEfLi128ELb0ELi8EEEvPviiifPKvS6_S6_PKlii,"axG",@progbits,_ZN12tensorrt_llm7kernels32fusedQKNormRopeKernelNTokenHeadsIN3c104HalfEfLi128ELb0ELi8EEEvPviiifPKvS6_S6_PKlii,comdat
.Lfunc_end21:
	.size	_ZN12tensorrt_llm7kernels32fusedQKNormRopeKernelNTokenHeadsIN3c104HalfEfLi128ELb0ELi8EEEvPviiifPKvS6_S6_PKlii, .Lfunc_end21-_ZN12tensorrt_llm7kernels32fusedQKNormRopeKernelNTokenHeadsIN3c104HalfEfLi128ELb0ELi8EEEvPviiifPKvS6_S6_PKlii
                                        ; -- End function
	.section	.AMDGPU.csdata,"",@progbits
; Kernel info:
; codeLenInByte = 2272
; NumSgprs: 23
; NumVgprs: 42
; ScratchSize: 0
; MemoryBound: 0
; FloatMode: 240
; IeeeMode: 1
; LDSByteSize: 0 bytes/workgroup (compile time only)
; SGPRBlocks: 2
; VGPRBlocks: 5
; NumSGPRsForWavesPerEU: 23
; NumVGPRsForWavesPerEU: 42
; Occupancy: 16
; WaveLimiterHint : 0
; COMPUTE_PGM_RSRC2:SCRATCH_EN: 0
; COMPUTE_PGM_RSRC2:USER_SGPR: 15
; COMPUTE_PGM_RSRC2:TRAP_HANDLER: 0
; COMPUTE_PGM_RSRC2:TGID_X_EN: 1
; COMPUTE_PGM_RSRC2:TGID_Y_EN: 0
; COMPUTE_PGM_RSRC2:TGID_Z_EN: 0
; COMPUTE_PGM_RSRC2:TIDIG_COMP_CNT: 0
	.section	.text._ZN12tensorrt_llm7kernels32fusedQKNormRopeKernelNTokenHeadsIN3c104HalfEfLi256ELb1ELi8EEEvPviiifPKvS6_S6_PKlii,"axG",@progbits,_ZN12tensorrt_llm7kernels32fusedQKNormRopeKernelNTokenHeadsIN3c104HalfEfLi256ELb1ELi8EEEvPviiifPKvS6_S6_PKlii,comdat
	.protected	_ZN12tensorrt_llm7kernels32fusedQKNormRopeKernelNTokenHeadsIN3c104HalfEfLi256ELb1ELi8EEEvPviiifPKvS6_S6_PKlii ; -- Begin function _ZN12tensorrt_llm7kernels32fusedQKNormRopeKernelNTokenHeadsIN3c104HalfEfLi256ELb1ELi8EEEvPviiifPKvS6_S6_PKlii
	.globl	_ZN12tensorrt_llm7kernels32fusedQKNormRopeKernelNTokenHeadsIN3c104HalfEfLi256ELb1ELi8EEEvPviiifPKvS6_S6_PKlii
	.p2align	8
	.type	_ZN12tensorrt_llm7kernels32fusedQKNormRopeKernelNTokenHeadsIN3c104HalfEfLi256ELb1ELi8EEEvPviiifPKvS6_S6_PKlii,@function
_ZN12tensorrt_llm7kernels32fusedQKNormRopeKernelNTokenHeadsIN3c104HalfEfLi256ELb1ELi8EEEvPviiifPKvS6_S6_PKlii: ; @_ZN12tensorrt_llm7kernels32fusedQKNormRopeKernelNTokenHeadsIN3c104HalfEfLi256ELb1ELi8EEEvPviiifPKvS6_S6_PKlii
; %bb.0:
	s_clause 0x1
	s_load_b128 s[16:19], s[0:1], 0x8
	s_load_b64 s[2:3], s[0:1], 0x38
	s_waitcnt lgkmcnt(0)
	s_add_i32 s4, s17, s16
	s_delay_alu instid0(SALU_CYCLE_1) | instskip(NEXT) | instid1(SALU_CYCLE_1)
	s_add_i32 s5, s4, 7
	s_ashr_i32 s6, s5, 31
	s_delay_alu instid0(SALU_CYCLE_1) | instskip(NEXT) | instid1(SALU_CYCLE_1)
	s_lshr_b32 s6, s6, 29
	s_add_i32 s5, s5, s6
	s_delay_alu instid0(SALU_CYCLE_1) | instskip(SKIP_2) | instid1(SALU_CYCLE_1)
	s_ashr_i32 s14, s5, 3
	s_load_b32 s5, s[0:1], 0x4c
	s_abs_i32 s6, s14
	v_cvt_f32_u32_e32 v1, s6
	s_sub_i32 s7, 0, s6
	s_delay_alu instid0(VALU_DEP_1) | instskip(SKIP_4) | instid1(VALU_DEP_1)
	v_rcp_iflag_f32_e32 v1, v1
	s_waitcnt_depctr 0xfff
	v_mul_f32_e32 v1, 0x4f7ffffe, v1
	s_waitcnt lgkmcnt(0)
	s_bfe_u32 s5, s5, 0xb0005
	v_cvt_u32_f32_e32 v4, v1
	v_lshrrev_b32_e32 v1, 5, v0
	s_delay_alu instid0(VALU_DEP_2) | instskip(NEXT) | instid1(VALU_DEP_2)
	v_mul_lo_u32 v5, s7, v4
	v_mad_u64_u32 v[2:3], null, s15, s5, v[1:2]
	s_delay_alu instid0(VALU_DEP_2) | instskip(NEXT) | instid1(VALU_DEP_2)
	v_mul_hi_u32 v3, v4, v5
	v_sub_nc_u32_e32 v5, 0, v2
	s_delay_alu instid0(VALU_DEP_1) | instskip(NEXT) | instid1(VALU_DEP_3)
	v_max_i32_e32 v5, v2, v5
	v_add_nc_u32_e32 v3, v4, v3
	s_delay_alu instid0(VALU_DEP_1) | instskip(NEXT) | instid1(VALU_DEP_1)
	v_mul_hi_u32 v3, v5, v3
	v_mul_lo_u32 v4, v3, s6
	s_delay_alu instid0(VALU_DEP_1) | instskip(SKIP_1) | instid1(VALU_DEP_2)
	v_sub_nc_u32_e32 v4, v5, v4
	v_add_nc_u32_e32 v5, 1, v3
	v_subrev_nc_u32_e32 v6, s6, v4
	v_cmp_le_u32_e32 vcc_lo, s6, v4
	s_delay_alu instid0(VALU_DEP_2) | instskip(SKIP_1) | instid1(VALU_DEP_2)
	v_dual_cndmask_b32 v4, v4, v6 :: v_dual_cndmask_b32 v3, v3, v5
	v_xor_b32_e32 v5, s14, v2
	v_cmp_le_u32_e32 vcc_lo, s6, v4
	s_delay_alu instid0(VALU_DEP_3) | instskip(NEXT) | instid1(VALU_DEP_3)
	v_add_nc_u32_e32 v6, 1, v3
	v_ashrrev_i32_e32 v5, 31, v5
	s_delay_alu instid0(VALU_DEP_2) | instskip(NEXT) | instid1(VALU_DEP_1)
	v_cndmask_b32_e32 v3, v3, v6, vcc_lo
	v_xor_b32_e32 v3, v3, v5
	s_delay_alu instid0(VALU_DEP_1) | instskip(NEXT) | instid1(VALU_DEP_1)
	v_sub_nc_u32_e32 v8, v3, v5
	v_cmp_gt_i32_e32 vcc_lo, s2, v8
	s_and_saveexec_b32 s2, vcc_lo
	s_cbranch_execz .LBB22_12
; %bb.1:
	v_mul_lo_u32 v3, v8, s14
	s_load_b64 s[12:13], s[0:1], 0x0
	v_and_b32_e32 v20, 31, v0
	v_lshlrev_b32_e32 v13, 12, v1
	v_lshlrev_b32_e32 v14, 11, v2
	s_lshl_b32 s20, s3, 2
	s_delay_alu instid0(VALU_DEP_3) | instskip(SKIP_2) | instid1(VALU_DEP_1)
	v_lshlrev_b32_e32 v18, 4, v20
	v_sub_nc_u32_e32 v3, v2, v3
	s_mul_i32 s15, s20, s5
	v_lshlrev_b32_e32 v10, 3, v3
	s_delay_alu instid0(VALU_DEP_1) | instskip(SKIP_1) | instid1(VALU_DEP_2)
	v_add_nc_u32_e32 v3, 8, v10
	v_sub_nc_u32_e32 v4, s4, v10
	v_cmp_lt_i32_e32 vcc_lo, s4, v3
	s_delay_alu instid0(VALU_DEP_2) | instskip(NEXT) | instid1(VALU_DEP_1)
	v_cndmask_b32_e32 v11, 8, v4, vcc_lo
	v_cmp_lt_i32_e32 vcc_lo, 0, v11
	s_and_saveexec_b32 s4, vcc_lo
	s_cbranch_execz .LBB22_4
; %bb.2:
	s_add_i32 s2, s18, s17
	s_lshl_b32 s5, s14, 3
	s_add_i32 s2, s2, s16
	s_mov_b32 s6, 0
	s_sub_i32 s2, s2, s5
	s_mov_b32 s5, 0
	v_mul_lo_u32 v2, s2, v8
	s_add_i32 s2, s15, 0
	s_delay_alu instid0(SALU_CYCLE_1) | instskip(NEXT) | instid1(VALU_DEP_2)
	v_add3_u32 v4, s2, v13, v18
	v_lshl_add_u32 v2, v2, 8, v14
	s_delay_alu instid0(VALU_DEP_1)
	v_lshl_or_b32 v2, v20, 3, v2
	.p2align	6
.LBB22_3:                               ; =>This Inner Loop Header: Depth=1
	s_delay_alu instid0(VALU_DEP_1) | instskip(SKIP_1) | instid1(VALU_DEP_1)
	v_ashrrev_i32_e32 v3, 31, v2
	s_add_i32 s6, s6, 1
	v_lshlrev_b64 v[5:6], 1, v[2:3]
	v_add_nc_u32_e32 v2, 0x100, v2
	s_waitcnt lgkmcnt(0)
	s_delay_alu instid0(VALU_DEP_2) | instskip(NEXT) | instid1(VALU_DEP_1)
	v_add_co_u32 v5, s2, s12, v5
	v_add_co_ci_u32_e64 v6, s2, s13, v6, s2
	v_cmp_ge_i32_e64 s2, s6, v11
	global_load_b128 v[21:24], v[5:6], off
	s_or_b32 s5, s2, s5
	s_waitcnt vmcnt(0)
	ds_store_b128 v4, v[21:24]
	v_add_nc_u32_e32 v4, 0x200, v4
	s_and_not1_b32 exec_lo, exec_lo, s5
	s_cbranch_execnz .LBB22_3
.LBB22_4:
	s_or_b32 exec_lo, exec_lo, s4
	s_load_b256 s[4:11], s[0:1], 0x18
	v_mul_lo_u32 v1, v1, s3
	s_add_i32 s0, s20, 15
	s_mov_b32 s20, exec_lo
	s_ashr_i32 s1, s0, 31
	s_delay_alu instid0(SALU_CYCLE_1) | instskip(NEXT) | instid1(SALU_CYCLE_1)
	s_lshr_b32 s1, s1, 28
	s_add_i32 s0, s0, s1
	s_delay_alu instid0(VALU_DEP_1) | instskip(SKIP_1) | instid1(SALU_CYCLE_1)
	v_lshlrev_b32_e32 v12, 2, v1
	s_ashr_i32 s2, s0, 4
	v_cmpx_gt_i32_e64 s2, v20
	s_cbranch_execz .LBB22_7
; %bb.5:
	v_ashrrev_i32_e32 v9, 31, v8
	s_delay_alu instid0(VALU_DEP_1) | instskip(SKIP_1) | instid1(VALU_DEP_1)
	v_lshlrev_b64 v[1:2], 3, v[8:9]
	s_waitcnt lgkmcnt(0)
	v_add_co_u32 v1, s0, s10, v1
	s_delay_alu instid0(VALU_DEP_1)
	v_add_co_ci_u32_e64 v2, s0, s11, v2, s0
	s_ashr_i32 s0, s3, 31
	global_load_b64 v[1:2], v[1:2], off
	s_waitcnt vmcnt(0)
	v_mul_lo_u32 v4, v2, s3
	v_mul_lo_u32 v5, v1, s0
	v_mad_u64_u32 v[2:3], null, v1, s3, 0
	s_delay_alu instid0(VALU_DEP_1) | instskip(SKIP_1) | instid1(VALU_DEP_2)
	v_add3_u32 v3, v3, v5, v4
	v_and_b32_e32 v4, 31, v0
	v_lshlrev_b64 v[0:1], 2, v[2:3]
	s_delay_alu instid0(VALU_DEP_2) | instskip(NEXT) | instid1(VALU_DEP_1)
	v_dual_mov_b32 v3, v20 :: v_dual_lshlrev_b32 v2, 4, v4
	v_add_co_u32 v0, s0, v0, v2
	s_delay_alu instid0(VALU_DEP_1) | instskip(SKIP_1) | instid1(VALU_DEP_3)
	v_add_co_ci_u32_e64 v1, s0, 0, v1, s0
	v_add3_u32 v2, v12, v18, 0
	v_add_co_u32 v0, s0, s8, v0
	s_delay_alu instid0(VALU_DEP_1)
	v_add_co_ci_u32_e64 v1, s0, s9, v1, s0
	s_mov_b32 s8, 0
	.p2align	6
.LBB22_6:                               ; =>This Inner Loop Header: Depth=1
	global_load_b128 v[4:7], v[0:1], off
	v_add_nc_u32_e32 v3, 32, v3
	v_add_co_u32 v0, s0, 0x200, v0
	s_delay_alu instid0(VALU_DEP_1) | instskip(NEXT) | instid1(VALU_DEP_3)
	v_add_co_ci_u32_e64 v1, s0, 0, v1, s0
	v_cmp_le_i32_e64 s1, s2, v3
	s_delay_alu instid0(VALU_DEP_1)
	s_or_b32 s8, s1, s8
	s_waitcnt vmcnt(0)
	ds_store_b128 v2, v[4:7]
	v_add_nc_u32_e32 v2, 0x200, v2
	s_and_not1_b32 exec_lo, exec_lo, s8
	s_cbranch_execnz .LBB22_6
.LBB22_7:
	s_or_b32 exec_lo, exec_lo, s20
	s_delay_alu instid0(SALU_CYCLE_1)
	s_and_b32 exec_lo, exec_lo, vcc_lo
	s_cbranch_execz .LBB22_12
; %bb.8:
	s_waitcnt lgkmcnt(0)
	s_clause 0x1
	global_load_b128 v[0:3], v18, s[4:5]
	global_load_b128 v[4:7], v18, s[6:7]
	v_mbcnt_lo_u32_b32 v9, -1, 0
	s_lshr_b32 s0, s3, 31
	v_add3_u32 v12, 0, v12, v18
	s_add_i32 s0, s3, s0
	v_add_nc_u32_e32 v28, s15, v13
	v_xor_b32_e32 v15, 16, v9
	s_lshl_b32 s0, s0, 1
	v_xor_b32_e32 v16, 8, v9
	s_and_b32 s0, s0, -4
	v_xor_b32_e32 v17, 4, v9
	v_add_nc_u32_e32 v13, s0, v12
	v_cmp_gt_i32_e64 s0, 32, v15
	v_xor_b32_e32 v19, 2, v9
	s_add_i32 s2, s18, s17
	s_lshl_b32 s4, s14, 3
	s_add_i32 s2, s2, s16
	v_cndmask_b32_e64 v15, v9, v15, s0
	v_cmp_gt_i32_e64 s0, 32, v16
	s_sub_i32 s2, s2, s4
	v_xor_b32_e32 v21, 1, v9
	v_mul_lo_u32 v8, s2, v8
	s_ashr_i32 s1, s3, 31
	v_cndmask_b32_e64 v16, v9, v16, s0
	v_cmp_gt_i32_e64 s0, 32, v17
	s_lshr_b32 s1, s1, 29
	v_add3_u32 v18, v28, v18, 0
	s_add_i32 s1, s3, s1
	s_mov_b32 s2, 0
	v_cndmask_b32_e64 v17, v9, v17, s0
	v_cmp_gt_i32_e64 s0, 32, v19
	v_lshl_add_u32 v8, v8, 8, v14
	s_ashr_i32 s1, s1, 3
	v_lshlrev_b32_e32 v14, 2, v15
	v_cmp_gt_i32_e32 vcc_lo, s1, v20
	v_cndmask_b32_e64 v19, v9, v19, s0
	v_cmp_gt_i32_e64 s0, 32, v21
	v_lshlrev_b32_e32 v15, 2, v16
	v_lshlrev_b32_e32 v16, 2, v17
	v_lshl_or_b32 v8, v20, 3, v8
	v_lshlrev_b32_e32 v17, 2, v19
	v_cndmask_b32_e64 v9, v9, v21, s0
	s_mov_b32 s3, 0
	s_delay_alu instid0(VALU_DEP_1)
	v_lshlrev_b32_e32 v19, 2, v9
	s_waitcnt vmcnt(1)
	v_lshrrev_b32_e32 v20, 16, v0
	v_lshrrev_b32_e32 v21, 16, v1
	;; [unrolled: 1-line block ×4, first 2 shown]
	s_waitcnt vmcnt(0)
	v_lshrrev_b32_e32 v24, 16, v4
	v_lshrrev_b32_e32 v25, 16, v5
	;; [unrolled: 1-line block ×4, first 2 shown]
	s_branch .LBB22_10
.LBB22_9:                               ;   in Loop: Header=BB22_10 Depth=1
	s_or_b32 exec_lo, exec_lo, s0
	v_ashrrev_i32_e32 v9, 31, v8
	v_cvt_f16_f32_e32 v36, v32
	v_cvt_f16_f32_e32 v37, v33
	;; [unrolled: 1-line block ×4, first 2 shown]
	v_lshlrev_b64 v[32:33], 1, v[8:9]
	v_cvt_f16_f32_e32 v9, v29
	v_cvt_f16_f32_e32 v29, v30
	;; [unrolled: 1-line block ×4, first 2 shown]
	s_add_i32 s3, s3, 1
	v_add_co_u32 v32, s0, s12, v32
	s_delay_alu instid0(VALU_DEP_1)
	v_add_co_ci_u32_e64 v33, s0, s13, v33, s0
	v_cmp_ge_i32_e64 s0, s3, v11
	v_pack_b32_f16 v31, v30, v28
	v_pack_b32_f16 v30, v9, v29
	;; [unrolled: 1-line block ×4, first 2 shown]
	v_add_nc_u32_e32 v8, 0x100, v8
	v_add_nc_u32_e32 v18, 0x200, v18
	s_or_b32 s2, s0, s2
	global_store_b128 v[32:33], v[28:31], off
	s_and_not1_b32 exec_lo, exec_lo, s2
	s_cbranch_execz .LBB22_12
.LBB22_10:                              ; =>This Inner Loop Header: Depth=1
	ds_load_b128 v[28:31], v18
	v_add_nc_u32_e32 v34, s3, v10
	s_delay_alu instid0(VALU_DEP_1) | instskip(NEXT) | instid1(VALU_DEP_1)
	v_cmp_gt_i32_e64 s0, s16, v34
	v_cndmask_b32_e64 v35, v24, v20, s0
	v_cndmask_b32_e64 v37, v25, v21, s0
	;; [unrolled: 1-line block ×5, first 2 shown]
	v_cvt_f32_f16_e32 v35, v35
	v_cndmask_b32_e64 v40, v27, v23, s0
	v_cvt_f32_f16_e32 v37, v37
	v_cvt_f32_f16_e32 v36, v36
	s_waitcnt lgkmcnt(0)
	v_lshrrev_b32_e32 v9, 16, v28
	v_cvt_f32_f16_e32 v43, v30
	v_lshrrev_b32_e32 v44, 16, v31
	v_cvt_f32_f16_e32 v38, v38
	v_cvt_f32_f16_e32 v39, v39
	;; [unrolled: 1-line block ×5, first 2 shown]
	s_delay_alu instid0(VALU_DEP_3) | instskip(NEXT) | instid1(VALU_DEP_1)
	v_mul_f32_e32 v32, v9, v9
	v_fma_mix_f32 v32, v28, v28, v32 op_sel_hi:[1,1,0]
	v_cvt_f32_f16_e32 v28, v28
	s_delay_alu instid0(VALU_DEP_2) | instskip(NEXT) | instid1(VALU_DEP_1)
	v_fma_mix_f32 v32, v29, v29, v32 op_sel_hi:[1,1,0]
	v_fma_mix_f32 v32, v29, v29, v32 op_sel:[1,1,0] op_sel_hi:[1,1,0]
	v_lshrrev_b32_e32 v29, 16, v29
	s_delay_alu instid0(VALU_DEP_2) | instskip(NEXT) | instid1(VALU_DEP_2)
	v_fma_mix_f32 v32, v30, v30, v32 op_sel_hi:[1,1,0]
	v_cvt_f32_f16_e32 v29, v29
	s_delay_alu instid0(VALU_DEP_2) | instskip(SKIP_1) | instid1(VALU_DEP_2)
	v_fma_mix_f32 v32, v30, v30, v32 op_sel:[1,1,0] op_sel_hi:[1,1,0]
	v_lshrrev_b32_e32 v30, 16, v30
	v_fma_mix_f32 v32, v31, v31, v32 op_sel_hi:[1,1,0]
	s_delay_alu instid0(VALU_DEP_2) | instskip(NEXT) | instid1(VALU_DEP_2)
	v_cvt_f32_f16_e32 v30, v30
	v_fma_mix_f32 v32, v31, v31, v32 op_sel:[1,1,0] op_sel_hi:[1,1,0]
	v_cvt_f32_f16_e32 v31, v31
	ds_bpermute_b32 v33, v14, v32
	s_waitcnt lgkmcnt(0)
	v_add_f32_e32 v32, v32, v33
	ds_bpermute_b32 v33, v15, v32
	s_waitcnt lgkmcnt(0)
	v_add_f32_e32 v32, v32, v33
	;; [unrolled: 3-line block ×5, first 2 shown]
	v_cndmask_b32_e64 v33, v4, v0, s0
	s_delay_alu instid0(VALU_DEP_2) | instskip(NEXT) | instid1(VALU_DEP_2)
	v_fma_f32 v32, 0x3b800000, v32, s19
	v_cvt_f32_f16_e32 v33, v33
	s_delay_alu instid0(VALU_DEP_2) | instskip(SKIP_1) | instid1(VALU_DEP_1)
	v_mul_f32_e32 v34, 0x4b800000, v32
	v_cmp_gt_f32_e64 s1, 0x800000, v32
	v_cndmask_b32_e64 v32, v32, v34, s1
	v_cndmask_b32_e64 v34, v6, v2, s0
	s_delay_alu instid0(VALU_DEP_2) | instskip(NEXT) | instid1(VALU_DEP_1)
	v_rsq_f32_e32 v32, v32
	v_cvt_f32_f16_e32 v34, v34
	s_waitcnt_depctr 0xfff
	v_mul_f32_e32 v42, 0x45800000, v32
	s_delay_alu instid0(VALU_DEP_1) | instskip(SKIP_1) | instid1(VALU_DEP_2)
	v_cndmask_b32_e64 v32, v32, v42, s1
	v_cvt_f32_f16_e32 v42, v44
	v_mul_f32_e32 v37, v32, v37
	v_mul_f32_e32 v33, v32, v33
	;; [unrolled: 1-line block ×8, first 2 shown]
	v_dual_mul_f32 v32, v33, v28 :: v_dual_mul_f32 v33, v35, v9
	v_mul_f32_e32 v34, v36, v41
	v_mul_f32_e32 v35, v37, v29
	v_dual_mul_f32 v29, v44, v43 :: v_dual_mul_f32 v30, v38, v30
	v_dual_mul_f32 v31, v39, v31 :: v_dual_mul_f32 v28, v40, v42
	s_and_saveexec_b32 s0, vcc_lo
	s_cbranch_execz .LBB22_9
; %bb.11:                               ;   in Loop: Header=BB22_10 Depth=1
	ds_load_2addr_b32 v[36:37], v13 offset1:1
	ds_load_2addr_b32 v[38:39], v13 offset0:2 offset1:3
	ds_load_2addr_b32 v[40:41], v12 offset1:1
	ds_load_2addr_b32 v[42:43], v12 offset0:2 offset1:3
	s_waitcnt lgkmcnt(3)
	v_dual_mul_f32 v9, v33, v36 :: v_dual_mul_f32 v44, v35, v37
	v_dual_mul_f32 v36, v32, v36 :: v_dual_mul_f32 v37, v34, v37
	s_waitcnt lgkmcnt(2)
	v_dual_mul_f32 v45, v30, v38 :: v_dual_mul_f32 v46, v28, v39
	v_dual_mul_f32 v38, v29, v38 :: v_dual_mul_f32 v39, v31, v39
	s_waitcnt lgkmcnt(1)
	v_dual_fmac_f32 v36, v33, v40 :: v_dual_fmac_f32 v37, v35, v41
	v_fma_f32 v32, v32, v40, -v9
	s_waitcnt lgkmcnt(0)
	v_dual_fmac_f32 v38, v30, v42 :: v_dual_fmac_f32 v39, v28, v43
	v_fma_f32 v34, v34, v41, -v44
	v_fma_f32 v29, v29, v42, -v45
	;; [unrolled: 1-line block ×3, first 2 shown]
	s_delay_alu instid0(VALU_DEP_4)
	v_dual_mov_b32 v33, v36 :: v_dual_mov_b32 v30, v38
	v_dual_mov_b32 v35, v37 :: v_dual_mov_b32 v28, v39
	s_branch .LBB22_9
.LBB22_12:
	s_nop 0
	s_sendmsg sendmsg(MSG_DEALLOC_VGPRS)
	s_endpgm
	.section	.rodata,"a",@progbits
	.p2align	6, 0x0
	.amdhsa_kernel _ZN12tensorrt_llm7kernels32fusedQKNormRopeKernelNTokenHeadsIN3c104HalfEfLi256ELb1ELi8EEEvPviiifPKvS6_S6_PKlii
		.amdhsa_group_segment_fixed_size 0
		.amdhsa_private_segment_fixed_size 0
		.amdhsa_kernarg_size 320
		.amdhsa_user_sgpr_count 15
		.amdhsa_user_sgpr_dispatch_ptr 0
		.amdhsa_user_sgpr_queue_ptr 0
		.amdhsa_user_sgpr_kernarg_segment_ptr 1
		.amdhsa_user_sgpr_dispatch_id 0
		.amdhsa_user_sgpr_private_segment_size 0
		.amdhsa_wavefront_size32 1
		.amdhsa_uses_dynamic_stack 0
		.amdhsa_enable_private_segment 0
		.amdhsa_system_sgpr_workgroup_id_x 1
		.amdhsa_system_sgpr_workgroup_id_y 0
		.amdhsa_system_sgpr_workgroup_id_z 0
		.amdhsa_system_sgpr_workgroup_info 0
		.amdhsa_system_vgpr_workitem_id 0
		.amdhsa_next_free_vgpr 47
		.amdhsa_next_free_sgpr 21
		.amdhsa_reserve_vcc 1
		.amdhsa_float_round_mode_32 0
		.amdhsa_float_round_mode_16_64 0
		.amdhsa_float_denorm_mode_32 3
		.amdhsa_float_denorm_mode_16_64 3
		.amdhsa_dx10_clamp 1
		.amdhsa_ieee_mode 1
		.amdhsa_fp16_overflow 0
		.amdhsa_workgroup_processor_mode 1
		.amdhsa_memory_ordered 1
		.amdhsa_forward_progress 0
		.amdhsa_shared_vgpr_count 0
		.amdhsa_exception_fp_ieee_invalid_op 0
		.amdhsa_exception_fp_denorm_src 0
		.amdhsa_exception_fp_ieee_div_zero 0
		.amdhsa_exception_fp_ieee_overflow 0
		.amdhsa_exception_fp_ieee_underflow 0
		.amdhsa_exception_fp_ieee_inexact 0
		.amdhsa_exception_int_div_zero 0
	.end_amdhsa_kernel
	.section	.text._ZN12tensorrt_llm7kernels32fusedQKNormRopeKernelNTokenHeadsIN3c104HalfEfLi256ELb1ELi8EEEvPviiifPKvS6_S6_PKlii,"axG",@progbits,_ZN12tensorrt_llm7kernels32fusedQKNormRopeKernelNTokenHeadsIN3c104HalfEfLi256ELb1ELi8EEEvPviiifPKvS6_S6_PKlii,comdat
.Lfunc_end22:
	.size	_ZN12tensorrt_llm7kernels32fusedQKNormRopeKernelNTokenHeadsIN3c104HalfEfLi256ELb1ELi8EEEvPviiifPKvS6_S6_PKlii, .Lfunc_end22-_ZN12tensorrt_llm7kernels32fusedQKNormRopeKernelNTokenHeadsIN3c104HalfEfLi256ELb1ELi8EEEvPviiifPKvS6_S6_PKlii
                                        ; -- End function
	.section	.AMDGPU.csdata,"",@progbits
; Kernel info:
; codeLenInByte = 1964
; NumSgprs: 23
; NumVgprs: 47
; ScratchSize: 0
; MemoryBound: 0
; FloatMode: 240
; IeeeMode: 1
; LDSByteSize: 0 bytes/workgroup (compile time only)
; SGPRBlocks: 2
; VGPRBlocks: 5
; NumSGPRsForWavesPerEU: 23
; NumVGPRsForWavesPerEU: 47
; Occupancy: 16
; WaveLimiterHint : 0
; COMPUTE_PGM_RSRC2:SCRATCH_EN: 0
; COMPUTE_PGM_RSRC2:USER_SGPR: 15
; COMPUTE_PGM_RSRC2:TRAP_HANDLER: 0
; COMPUTE_PGM_RSRC2:TGID_X_EN: 1
; COMPUTE_PGM_RSRC2:TGID_Y_EN: 0
; COMPUTE_PGM_RSRC2:TGID_Z_EN: 0
; COMPUTE_PGM_RSRC2:TIDIG_COMP_CNT: 0
	.section	.text._ZN12tensorrt_llm7kernels32fusedQKNormRopeKernelNTokenHeadsIN3c104HalfEfLi256ELb0ELi8EEEvPviiifPKvS6_S6_PKlii,"axG",@progbits,_ZN12tensorrt_llm7kernels32fusedQKNormRopeKernelNTokenHeadsIN3c104HalfEfLi256ELb0ELi8EEEvPviiifPKvS6_S6_PKlii,comdat
	.protected	_ZN12tensorrt_llm7kernels32fusedQKNormRopeKernelNTokenHeadsIN3c104HalfEfLi256ELb0ELi8EEEvPviiifPKvS6_S6_PKlii ; -- Begin function _ZN12tensorrt_llm7kernels32fusedQKNormRopeKernelNTokenHeadsIN3c104HalfEfLi256ELb0ELi8EEEvPviiifPKvS6_S6_PKlii
	.globl	_ZN12tensorrt_llm7kernels32fusedQKNormRopeKernelNTokenHeadsIN3c104HalfEfLi256ELb0ELi8EEEvPviiifPKvS6_S6_PKlii
	.p2align	8
	.type	_ZN12tensorrt_llm7kernels32fusedQKNormRopeKernelNTokenHeadsIN3c104HalfEfLi256ELb0ELi8EEEvPviiifPKvS6_S6_PKlii,@function
_ZN12tensorrt_llm7kernels32fusedQKNormRopeKernelNTokenHeadsIN3c104HalfEfLi256ELb0ELi8EEEvPviiifPKvS6_S6_PKlii: ; @_ZN12tensorrt_llm7kernels32fusedQKNormRopeKernelNTokenHeadsIN3c104HalfEfLi256ELb0ELi8EEEvPviiifPKvS6_S6_PKlii
; %bb.0:
	s_clause 0x1
	s_load_b128 s[16:19], s[0:1], 0x8
	s_load_b64 s[2:3], s[0:1], 0x38
	s_waitcnt lgkmcnt(0)
	s_add_i32 s4, s17, s16
	s_delay_alu instid0(SALU_CYCLE_1) | instskip(NEXT) | instid1(SALU_CYCLE_1)
	s_add_i32 s5, s4, 7
	s_ashr_i32 s6, s5, 31
	s_delay_alu instid0(SALU_CYCLE_1) | instskip(NEXT) | instid1(SALU_CYCLE_1)
	s_lshr_b32 s6, s6, 29
	s_add_i32 s5, s5, s6
	s_delay_alu instid0(SALU_CYCLE_1) | instskip(SKIP_2) | instid1(SALU_CYCLE_1)
	s_ashr_i32 s14, s5, 3
	s_load_b32 s5, s[0:1], 0x4c
	s_abs_i32 s6, s14
	v_cvt_f32_u32_e32 v1, s6
	s_sub_i32 s7, 0, s6
	s_delay_alu instid0(VALU_DEP_1) | instskip(SKIP_4) | instid1(VALU_DEP_1)
	v_rcp_iflag_f32_e32 v1, v1
	s_waitcnt_depctr 0xfff
	v_mul_f32_e32 v1, 0x4f7ffffe, v1
	s_waitcnt lgkmcnt(0)
	s_bfe_u32 s5, s5, 0xb0005
	v_cvt_u32_f32_e32 v4, v1
	v_lshrrev_b32_e32 v1, 5, v0
	s_delay_alu instid0(VALU_DEP_2) | instskip(NEXT) | instid1(VALU_DEP_2)
	v_mul_lo_u32 v5, s7, v4
	v_mad_u64_u32 v[2:3], null, s15, s5, v[1:2]
	s_delay_alu instid0(VALU_DEP_2) | instskip(NEXT) | instid1(VALU_DEP_2)
	v_mul_hi_u32 v3, v4, v5
	v_sub_nc_u32_e32 v5, 0, v2
	s_delay_alu instid0(VALU_DEP_1) | instskip(NEXT) | instid1(VALU_DEP_3)
	v_max_i32_e32 v5, v2, v5
	v_add_nc_u32_e32 v3, v4, v3
	s_delay_alu instid0(VALU_DEP_1) | instskip(NEXT) | instid1(VALU_DEP_1)
	v_mul_hi_u32 v3, v5, v3
	v_mul_lo_u32 v4, v3, s6
	s_delay_alu instid0(VALU_DEP_1) | instskip(SKIP_1) | instid1(VALU_DEP_2)
	v_sub_nc_u32_e32 v4, v5, v4
	v_add_nc_u32_e32 v5, 1, v3
	v_subrev_nc_u32_e32 v6, s6, v4
	v_cmp_le_u32_e32 vcc_lo, s6, v4
	s_delay_alu instid0(VALU_DEP_2) | instskip(SKIP_1) | instid1(VALU_DEP_2)
	v_dual_cndmask_b32 v4, v4, v6 :: v_dual_cndmask_b32 v3, v3, v5
	v_xor_b32_e32 v5, s14, v2
	v_cmp_le_u32_e32 vcc_lo, s6, v4
	s_delay_alu instid0(VALU_DEP_3) | instskip(NEXT) | instid1(VALU_DEP_3)
	v_add_nc_u32_e32 v6, 1, v3
	v_ashrrev_i32_e32 v5, 31, v5
	s_delay_alu instid0(VALU_DEP_2) | instskip(NEXT) | instid1(VALU_DEP_1)
	v_cndmask_b32_e32 v3, v3, v6, vcc_lo
	v_xor_b32_e32 v3, v3, v5
	s_delay_alu instid0(VALU_DEP_1) | instskip(NEXT) | instid1(VALU_DEP_1)
	v_sub_nc_u32_e32 v8, v3, v5
	v_cmp_gt_i32_e32 vcc_lo, s2, v8
	s_and_saveexec_b32 s2, vcc_lo
	s_cbranch_execz .LBB23_12
; %bb.1:
	v_mul_lo_u32 v3, v8, s14
	s_load_b64 s[12:13], s[0:1], 0x0
	v_and_b32_e32 v19, 31, v0
	v_lshlrev_b32_e32 v14, 12, v1
	v_lshlrev_b32_e32 v13, 11, v2
	s_lshl_b32 s20, s3, 2
	s_delay_alu instid0(VALU_DEP_3) | instskip(SKIP_2) | instid1(VALU_DEP_1)
	v_lshlrev_b32_e32 v12, 4, v19
	v_sub_nc_u32_e32 v3, v2, v3
	s_mul_i32 s15, s20, s5
	v_lshlrev_b32_e32 v10, 3, v3
	s_delay_alu instid0(VALU_DEP_1) | instskip(SKIP_1) | instid1(VALU_DEP_2)
	v_add_nc_u32_e32 v3, 8, v10
	v_sub_nc_u32_e32 v4, s4, v10
	v_cmp_lt_i32_e32 vcc_lo, s4, v3
	s_delay_alu instid0(VALU_DEP_2) | instskip(NEXT) | instid1(VALU_DEP_1)
	v_cndmask_b32_e32 v11, 8, v4, vcc_lo
	v_cmp_lt_i32_e32 vcc_lo, 0, v11
	s_and_saveexec_b32 s4, vcc_lo
	s_cbranch_execz .LBB23_4
; %bb.2:
	s_add_i32 s2, s18, s17
	s_lshl_b32 s5, s14, 3
	s_add_i32 s2, s2, s16
	s_mov_b32 s6, 0
	s_sub_i32 s2, s2, s5
	s_mov_b32 s5, 0
	v_mul_lo_u32 v2, s2, v8
	s_add_i32 s2, s15, 0
	s_delay_alu instid0(SALU_CYCLE_1) | instskip(NEXT) | instid1(VALU_DEP_2)
	v_add3_u32 v4, s2, v14, v12
	v_lshl_add_u32 v2, v2, 8, v13
	s_delay_alu instid0(VALU_DEP_1)
	v_lshl_or_b32 v2, v19, 3, v2
	.p2align	6
.LBB23_3:                               ; =>This Inner Loop Header: Depth=1
	s_delay_alu instid0(VALU_DEP_1) | instskip(SKIP_1) | instid1(VALU_DEP_1)
	v_ashrrev_i32_e32 v3, 31, v2
	s_add_i32 s6, s6, 1
	v_lshlrev_b64 v[5:6], 1, v[2:3]
	v_add_nc_u32_e32 v2, 0x100, v2
	s_waitcnt lgkmcnt(0)
	s_delay_alu instid0(VALU_DEP_2) | instskip(NEXT) | instid1(VALU_DEP_1)
	v_add_co_u32 v5, s2, s12, v5
	v_add_co_ci_u32_e64 v6, s2, s13, v6, s2
	v_cmp_ge_i32_e64 s2, s6, v11
	global_load_b128 v[15:18], v[5:6], off
	s_or_b32 s5, s2, s5
	s_waitcnt vmcnt(0)
	ds_store_b128 v4, v[15:18]
	v_add_nc_u32_e32 v4, 0x200, v4
	s_and_not1_b32 exec_lo, exec_lo, s5
	s_cbranch_execnz .LBB23_3
.LBB23_4:
	s_or_b32 exec_lo, exec_lo, s4
	s_load_b256 s[4:11], s[0:1], 0x18
	s_add_i32 s0, s20, 15
	v_mul_lo_u32 v15, v1, s3
	s_ashr_i32 s1, s0, 31
	s_mov_b32 s20, exec_lo
	s_lshr_b32 s1, s1, 28
	s_delay_alu instid0(SALU_CYCLE_1) | instskip(NEXT) | instid1(SALU_CYCLE_1)
	s_add_i32 s0, s0, s1
	s_ashr_i32 s2, s0, 4
	s_delay_alu instid0(SALU_CYCLE_1)
	v_cmpx_gt_i32_e64 s2, v19
	s_cbranch_execz .LBB23_7
; %bb.5:
	v_ashrrev_i32_e32 v9, 31, v8
	s_delay_alu instid0(VALU_DEP_1) | instskip(SKIP_1) | instid1(VALU_DEP_1)
	v_lshlrev_b64 v[1:2], 3, v[8:9]
	s_waitcnt lgkmcnt(0)
	v_add_co_u32 v1, s0, s10, v1
	s_delay_alu instid0(VALU_DEP_1)
	v_add_co_ci_u32_e64 v2, s0, s11, v2, s0
	s_ashr_i32 s0, s3, 31
	global_load_b64 v[1:2], v[1:2], off
	s_waitcnt vmcnt(0)
	v_mul_lo_u32 v4, v2, s3
	v_mul_lo_u32 v5, v1, s0
	v_mad_u64_u32 v[2:3], null, v1, s3, 0
	s_delay_alu instid0(VALU_DEP_1) | instskip(SKIP_1) | instid1(VALU_DEP_2)
	v_add3_u32 v3, v3, v5, v4
	v_and_b32_e32 v4, 31, v0
	v_lshlrev_b64 v[0:1], 2, v[2:3]
	s_delay_alu instid0(VALU_DEP_2) | instskip(SKIP_1) | instid1(VALU_DEP_2)
	v_lshlrev_b32_e32 v2, 4, v4
	v_lshlrev_b32_e32 v3, 2, v15
	v_add_co_u32 v0, s0, v0, v2
	s_delay_alu instid0(VALU_DEP_1) | instskip(NEXT) | instid1(VALU_DEP_3)
	v_add_co_ci_u32_e64 v1, s0, 0, v1, s0
	v_add3_u32 v2, v3, v12, 0
	v_mov_b32_e32 v3, v19
	s_delay_alu instid0(VALU_DEP_4) | instskip(NEXT) | instid1(VALU_DEP_1)
	v_add_co_u32 v0, s0, s8, v0
	v_add_co_ci_u32_e64 v1, s0, s9, v1, s0
	s_mov_b32 s8, 0
	.p2align	6
.LBB23_6:                               ; =>This Inner Loop Header: Depth=1
	global_load_b128 v[4:7], v[0:1], off
	v_add_nc_u32_e32 v3, 32, v3
	v_add_co_u32 v0, s0, 0x200, v0
	s_delay_alu instid0(VALU_DEP_1) | instskip(NEXT) | instid1(VALU_DEP_3)
	v_add_co_ci_u32_e64 v1, s0, 0, v1, s0
	v_cmp_le_i32_e64 s1, s2, v3
	s_delay_alu instid0(VALU_DEP_1)
	s_or_b32 s8, s1, s8
	s_waitcnt vmcnt(0)
	ds_store_b128 v2, v[4:7]
	v_add_nc_u32_e32 v2, 0x200, v2
	s_and_not1_b32 exec_lo, exec_lo, s8
	s_cbranch_execnz .LBB23_6
.LBB23_7:
	s_or_b32 exec_lo, exec_lo, s20
	s_delay_alu instid0(SALU_CYCLE_1)
	s_and_b32 exec_lo, exec_lo, vcc_lo
	s_cbranch_execz .LBB23_12
; %bb.8:
	s_waitcnt lgkmcnt(0)
	s_clause 0x1
	global_load_b128 v[0:3], v12, s[4:5]
	global_load_b128 v[4:7], v12, s[6:7]
	s_abs_i32 s2, s3
	v_add_nc_u32_e32 v43, s15, v14
	v_cvt_f32_u32_e32 v14, s2
	v_lshl_add_u32 v9, v15, 2, 0
	v_mbcnt_lo_u32_b32 v15, -1, 0
	s_lshr_b32 s0, s3, 31
	s_ashr_i32 s1, s3, 31
	v_rcp_iflag_f32_e32 v14, v14
	s_add_i32 s0, s3, s0
	s_lshr_b32 s6, s1, 29
	s_lshr_b32 s1, s1, 28
	v_xor_b32_e32 v16, 16, v15
	s_lshl_b32 s0, s0, 1
	s_add_i32 s1, s3, s1
	s_sub_i32 s7, 0, s2
	s_and_b32 s0, s0, -4
	s_ashr_i32 s1, s1, 4
	s_waitcnt_depctr 0xfff
	v_mul_f32_e32 v14, 0x4f7ffffe, v14
	v_xor_b32_e32 v17, 8, v15
	v_add_nc_u32_e32 v34, s0, v9
	v_cmp_gt_i32_e64 s0, s1, v19
	s_add_i32 s4, s18, s17
	v_cvt_u32_f32_e32 v29, v14
	v_xor_b32_e32 v14, s1, v15
	v_cmp_gt_i32_e64 s1, 32, v16
	s_lshl_b32 s5, s14, 3
	s_add_i32 s4, s4, s16
	v_mul_lo_u32 v30, s7, v29
	s_add_i32 s6, s3, s6
	s_sub_i32 s3, s4, s5
	v_xor_b32_e32 v18, 4, v15
	v_cndmask_b32_e64 v16, v15, v16, s1
	v_cmp_gt_i32_e64 s1, 32, v17
	v_mul_lo_u32 v8, s3, v8
	v_xor_b32_e32 v27, 2, v15
	v_mul_hi_u32 v30, v29, v30
	v_xor_b32_e32 v28, 1, v15
	v_cndmask_b32_e64 v17, v15, v17, s1
	v_cmp_gt_i32_e64 s1, 32, v18
	s_ashr_i32 s4, s6, 3
	v_or_b32_e32 v20, 2, v12
	v_lshl_add_u32 v8, v8, 8, v13
	v_lshlrev_b32_e32 v13, 2, v16
	v_cndmask_b32_e64 v18, v15, v18, s1
	v_cmp_gt_i32_e64 s1, 32, v27
	v_add_nc_u32_e32 v29, v29, v30
	v_cmp_gt_i32_e32 vcc_lo, s4, v19
	v_lshl_or_b32 v8, v19, 3, v8
	v_or_b32_e32 v21, 4, v12
	v_cndmask_b32_e64 v27, v15, v27, s1
	v_cmp_gt_i32_e64 s1, 32, v28
	v_mul_hi_u32 v19, v12, v29
	v_or_b32_e32 v22, 6, v12
	v_or_b32_e32 v23, 8, v12
	v_lshlrev_b32_e32 v16, 2, v27
	v_cndmask_b32_e64 v28, v15, v28, s1
	v_cmp_gt_i32_e64 s1, 32, v14
	v_mul_hi_u32 v27, v20, v29
	v_or_b32_e32 v24, 10, v12
	v_mul_lo_u32 v19, v19, s2
	v_or_b32_e32 v25, 12, v12
	v_or_b32_e32 v26, 14, v12
	v_cndmask_b32_e64 v31, v15, v14, s1
	v_lshlrev_b32_e32 v14, 2, v17
	v_lshlrev_b32_e32 v17, 2, v28
	v_mul_hi_u32 v28, v21, v29
	v_mul_lo_u32 v27, v27, s2
	v_lshlrev_b32_e32 v15, 2, v18
	v_lshlrev_b32_e32 v18, 2, v31
	v_mul_hi_u32 v30, v22, v29
	v_mul_hi_u32 v31, v23, v29
	;; [unrolled: 1-line block ×5, first 2 shown]
	v_sub_nc_u32_e32 v19, v12, v19
	v_mul_lo_u32 v28, v28, s2
	v_sub_nc_u32_e32 v20, v20, v27
	v_mul_lo_u32 v30, v30, s2
	v_mul_lo_u32 v31, v31, s2
	v_subrev_nc_u32_e32 v27, s2, v19
	v_cmp_le_u32_e64 s1, s2, v19
	v_mul_lo_u32 v29, v29, s2
	v_mul_lo_u32 v32, v32, s2
	v_sub_nc_u32_e32 v21, v21, v28
	v_subrev_nc_u32_e32 v28, s2, v20
	v_cndmask_b32_e64 v19, v19, v27, s1
	v_cmp_le_u32_e64 s1, s2, v20
	v_sub_nc_u32_e32 v22, v22, v30
	v_sub_nc_u32_e32 v23, v23, v31
	;; [unrolled: 1-line block ×3, first 2 shown]
	v_subrev_nc_u32_e32 v29, s2, v21
	v_cndmask_b32_e64 v20, v20, v28, s1
	v_cmp_le_u32_e64 s1, s2, v21
	v_subrev_nc_u32_e32 v30, s2, v22
	v_mul_lo_u32 v33, v33, s2
	v_sub_nc_u32_e32 v24, v24, v32
	v_subrev_nc_u32_e32 v31, s2, v23
	v_cndmask_b32_e64 v21, v21, v29, s1
	v_cmp_le_u32_e64 s1, s2, v22
	v_subrev_nc_u32_e32 v35, s2, v26
	v_subrev_nc_u32_e32 v32, s2, v24
	;; [unrolled: 1-line block ×3, first 2 shown]
	v_sub_nc_u32_e32 v25, v25, v33
	v_cndmask_b32_e64 v22, v22, v30, s1
	v_cmp_le_u32_e64 s1, s2, v23
	v_subrev_nc_u32_e32 v28, s2, v20
	v_subrev_nc_u32_e32 v29, s2, v21
	;; [unrolled: 1-line block ×4, first 2 shown]
	v_cndmask_b32_e64 v23, v23, v31, s1
	v_cmp_le_u32_e64 s1, s2, v24
	v_add3_u32 v12, v43, v12, 0
	s_mov_b32 s3, 0
	s_mov_b32 s4, 0
	v_subrev_nc_u32_e32 v31, s2, v23
	v_cndmask_b32_e64 v24, v24, v32, s1
	v_cmp_le_u32_e64 s1, s2, v25
	s_delay_alu instid0(VALU_DEP_2) | instskip(NEXT) | instid1(VALU_DEP_2)
	v_subrev_nc_u32_e32 v32, s2, v24
	v_cndmask_b32_e64 v25, v25, v33, s1
	v_cmp_le_u32_e64 s1, s2, v26
	s_delay_alu instid0(VALU_DEP_2) | instskip(NEXT) | instid1(VALU_DEP_2)
	;; [unrolled: 4-line block ×4, first 2 shown]
	v_lshlrev_b32_e32 v19, 1, v19
	v_cndmask_b32_e64 v20, v20, v28, s1
	v_cmp_le_u32_e64 s1, s2, v21
	s_delay_alu instid0(VALU_DEP_3) | instskip(NEXT) | instid1(VALU_DEP_3)
	v_and_b32_e32 v27, -4, v19
	v_lshlrev_b32_e32 v20, 1, v20
	s_delay_alu instid0(VALU_DEP_3) | instskip(SKIP_1) | instid1(VALU_DEP_4)
	v_cndmask_b32_e64 v21, v21, v29, s1
	v_cmp_le_u32_e64 s1, s2, v22
	v_add_nc_u32_e32 v19, v9, v27
	s_delay_alu instid0(VALU_DEP_4) | instskip(NEXT) | instid1(VALU_DEP_4)
	v_and_b32_e32 v28, -4, v20
	v_lshlrev_b32_e32 v21, 1, v21
	s_delay_alu instid0(VALU_DEP_4) | instskip(SKIP_2) | instid1(VALU_DEP_4)
	v_cndmask_b32_e64 v22, v22, v30, s1
	v_cmp_le_u32_e64 s1, s2, v23
	v_add_nc_u32_e32 v20, v34, v27
	v_and_b32_e32 v29, -4, v21
	s_delay_alu instid0(VALU_DEP_4) | instskip(NEXT) | instid1(VALU_DEP_4)
	v_lshlrev_b32_e32 v22, 1, v22
	v_cndmask_b32_e64 v23, v23, v31, s1
	v_cmp_le_u32_e64 s1, s2, v24
	v_add_nc_u32_e32 v21, v9, v28
	s_delay_alu instid0(VALU_DEP_4) | instskip(NEXT) | instid1(VALU_DEP_4)
	v_and_b32_e32 v30, -4, v22
	v_lshlrev_b32_e32 v23, 1, v23
	s_delay_alu instid0(VALU_DEP_4) | instskip(SKIP_2) | instid1(VALU_DEP_4)
	v_cndmask_b32_e64 v24, v24, v32, s1
	v_cmp_le_u32_e64 s1, s2, v25
	v_add_nc_u32_e32 v22, v34, v28
	v_and_b32_e32 v31, -4, v23
	s_delay_alu instid0(VALU_DEP_4) | instskip(NEXT) | instid1(VALU_DEP_4)
	v_lshlrev_b32_e32 v24, 1, v24
	v_cndmask_b32_e64 v25, v25, v33, s1
	v_cmp_le_u32_e64 s1, s2, v26
	v_add_nc_u32_e32 v23, v9, v29
	v_add_nc_u32_e32 v27, v9, v31
	v_and_b32_e32 v32, -4, v24
	v_lshlrev_b32_e32 v25, 1, v25
	v_cndmask_b32_e64 v26, v26, v35, s1
	v_add_nc_u32_e32 v24, v34, v29
	v_add_nc_u32_e32 v28, v34, v31
	;; [unrolled: 1-line block ×3, first 2 shown]
	v_and_b32_e32 v33, -4, v25
	v_lshlrev_b32_e32 v26, 1, v26
	v_add_nc_u32_e32 v25, v9, v30
	s_delay_alu instid0(VALU_DEP_3) | instskip(NEXT) | instid1(VALU_DEP_3)
	v_add_nc_u32_e32 v31, v9, v33
	v_and_b32_e32 v35, -4, v26
	v_add_nc_u32_e32 v26, v34, v30
	v_add_nc_u32_e32 v30, v34, v32
	;; [unrolled: 1-line block ×3, first 2 shown]
	s_delay_alu instid0(VALU_DEP_4)
	v_add_nc_u32_e32 v33, v9, v35
	v_add_nc_u32_e32 v34, v34, v35
	s_waitcnt vmcnt(1)
	v_lshrrev_b32_e32 v35, 16, v0
	v_lshrrev_b32_e32 v36, 16, v1
	;; [unrolled: 1-line block ×4, first 2 shown]
	s_waitcnt vmcnt(0)
	v_lshrrev_b32_e32 v39, 16, v4
	v_lshrrev_b32_e32 v40, 16, v5
	;; [unrolled: 1-line block ×4, first 2 shown]
	s_branch .LBB23_10
.LBB23_9:                               ;   in Loop: Header=BB23_10 Depth=1
	s_or_b32 exec_lo, exec_lo, s1
	v_ashrrev_i32_e32 v9, 31, v8
	v_cvt_f16_f32_e32 v51, v48
	v_cvt_f16_f32_e32 v52, v47
	;; [unrolled: 1-line block ×4, first 2 shown]
	v_lshlrev_b64 v[47:48], 1, v[8:9]
	v_cvt_f16_f32_e32 v9, v44
	v_cvt_f16_f32_e32 v44, v45
	;; [unrolled: 1-line block ×4, first 2 shown]
	s_add_i32 s4, s4, 1
	v_add_co_u32 v47, s1, s12, v47
	s_delay_alu instid0(VALU_DEP_1)
	v_add_co_ci_u32_e64 v48, s1, s13, v48, s1
	v_cmp_ge_i32_e64 s1, s4, v11
	v_pack_b32_f16 v46, v45, v43
	v_pack_b32_f16 v45, v9, v44
	;; [unrolled: 1-line block ×4, first 2 shown]
	v_add_nc_u32_e32 v8, 0x100, v8
	v_add_nc_u32_e32 v12, 0x200, v12
	s_or_b32 s3, s1, s3
	global_store_b128 v[47:48], v[43:46], off
	s_and_not1_b32 exec_lo, exec_lo, s3
	s_cbranch_execz .LBB23_12
.LBB23_10:                              ; =>This Inner Loop Header: Depth=1
	ds_load_b128 v[43:46], v12
	v_add_nc_u32_e32 v49, s4, v10
	s_delay_alu instid0(VALU_DEP_1) | instskip(NEXT) | instid1(VALU_DEP_1)
	v_cmp_gt_i32_e64 s1, s16, v49
	v_cndmask_b32_e64 v50, v39, v35, s1
	v_cndmask_b32_e64 v52, v40, v36, s1
	;; [unrolled: 1-line block ×5, first 2 shown]
	v_cvt_f32_f16_e32 v50, v50
	v_cndmask_b32_e64 v55, v42, v38, s1
	v_cvt_f32_f16_e32 v52, v52
	v_cvt_f32_f16_e32 v51, v51
	s_waitcnt lgkmcnt(0)
	v_lshrrev_b32_e32 v9, 16, v43
	v_lshrrev_b32_e32 v59, 16, v46
	v_cvt_f32_f16_e32 v53, v53
	v_cvt_f32_f16_e32 v54, v54
	v_cvt_f32_f16_e32 v55, v55
	v_cvt_f32_f16_e32 v9, v9
	v_cvt_f32_f16_e32 v56, v44
	v_cvt_f32_f16_e32 v58, v45
	s_delay_alu instid0(VALU_DEP_3) | instskip(NEXT) | instid1(VALU_DEP_1)
	v_mul_f32_e32 v47, v9, v9
	v_fma_mix_f32 v47, v43, v43, v47 op_sel_hi:[1,1,0]
	v_cvt_f32_f16_e32 v43, v43
	s_delay_alu instid0(VALU_DEP_2) | instskip(NEXT) | instid1(VALU_DEP_1)
	v_fma_mix_f32 v47, v44, v44, v47 op_sel_hi:[1,1,0]
	v_fma_mix_f32 v47, v44, v44, v47 op_sel:[1,1,0] op_sel_hi:[1,1,0]
	v_lshrrev_b32_e32 v44, 16, v44
	s_delay_alu instid0(VALU_DEP_2) | instskip(NEXT) | instid1(VALU_DEP_2)
	v_fma_mix_f32 v47, v45, v45, v47 op_sel_hi:[1,1,0]
	v_cvt_f32_f16_e32 v44, v44
	s_delay_alu instid0(VALU_DEP_2) | instskip(SKIP_1) | instid1(VALU_DEP_2)
	v_fma_mix_f32 v47, v45, v45, v47 op_sel:[1,1,0] op_sel_hi:[1,1,0]
	v_lshrrev_b32_e32 v45, 16, v45
	v_fma_mix_f32 v47, v46, v46, v47 op_sel_hi:[1,1,0]
	s_delay_alu instid0(VALU_DEP_2) | instskip(NEXT) | instid1(VALU_DEP_2)
	v_cvt_f32_f16_e32 v45, v45
	v_fma_mix_f32 v47, v46, v46, v47 op_sel:[1,1,0] op_sel_hi:[1,1,0]
	v_cvt_f32_f16_e32 v46, v46
	ds_bpermute_b32 v48, v13, v47
	s_waitcnt lgkmcnt(0)
	v_add_f32_e32 v47, v47, v48
	ds_bpermute_b32 v48, v14, v47
	s_waitcnt lgkmcnt(0)
	v_add_f32_e32 v47, v47, v48
	;; [unrolled: 3-line block ×5, first 2 shown]
	v_cndmask_b32_e64 v48, v4, v0, s1
	s_delay_alu instid0(VALU_DEP_2) | instskip(NEXT) | instid1(VALU_DEP_2)
	v_fma_f32 v47, 0x3b800000, v47, s19
	v_cvt_f32_f16_e32 v48, v48
	s_delay_alu instid0(VALU_DEP_2) | instskip(SKIP_1) | instid1(VALU_DEP_1)
	v_mul_f32_e32 v49, 0x4b800000, v47
	v_cmp_gt_f32_e64 s2, 0x800000, v47
	v_cndmask_b32_e64 v47, v47, v49, s2
	v_cndmask_b32_e64 v49, v6, v2, s1
	s_delay_alu instid0(VALU_DEP_2) | instskip(NEXT) | instid1(VALU_DEP_1)
	v_rsq_f32_e32 v47, v47
	v_cvt_f32_f16_e32 v49, v49
	s_waitcnt_depctr 0xfff
	v_mul_f32_e32 v57, 0x45800000, v47
	s_delay_alu instid0(VALU_DEP_1) | instskip(SKIP_1) | instid1(VALU_DEP_2)
	v_cndmask_b32_e64 v47, v47, v57, s2
	v_cvt_f32_f16_e32 v57, v59
	v_mul_f32_e32 v52, v47, v52
	v_mul_f32_e32 v48, v47, v48
	;; [unrolled: 1-line block ×6, first 2 shown]
	s_delay_alu instid0(VALU_DEP_4) | instskip(SKIP_2) | instid1(VALU_DEP_4)
	v_dual_mul_f32 v54, v47, v54 :: v_dual_mul_f32 v49, v50, v9
	v_mul_f32_e32 v55, v47, v55
	v_mul_f32_e32 v48, v48, v43
	v_dual_mul_f32 v50, v51, v56 :: v_dual_mul_f32 v45, v53, v45
	v_dual_mul_f32 v47, v52, v44 :: v_dual_mul_f32 v44, v59, v58
	s_delay_alu instid0(VALU_DEP_4)
	v_dual_mul_f32 v46, v54, v46 :: v_dual_mul_f32 v43, v55, v57
	s_and_saveexec_b32 s1, vcc_lo
	s_cbranch_execz .LBB23_9
; %bb.11:                               ;   in Loop: Header=BB23_10 Depth=1
	ds_bpermute_b32 v9, v18, v48
	ds_bpermute_b32 v51, v18, v49
	;; [unrolled: 1-line block ×3, first 2 shown]
	; wave barrier
	ds_load_b32 v54, v19
	ds_load_b32 v55, v20
	;; [unrolled: 1-line block ×8, first 2 shown]
	ds_bpermute_b32 v53, v18, v47
	ds_bpermute_b32 v62, v18, v44
	;; [unrolled: 1-line block ×5, first 2 shown]
	ds_load_b32 v66, v27
	ds_load_b32 v67, v28
	;; [unrolled: 1-line block ×8, first 2 shown]
	; wave barrier
	s_waitcnt lgkmcnt(23)
	v_cndmask_b32_e64 v9, v9, -v9, s0
	s_waitcnt lgkmcnt(22)
	v_cndmask_b32_e64 v51, v51, -v51, s0
	s_waitcnt lgkmcnt(21)
	v_cndmask_b32_e64 v52, v52, -v52, s0
	s_waitcnt lgkmcnt(15)
	s_delay_alu instid0(VALU_DEP_1) | instskip(SKIP_1) | instid1(VALU_DEP_2)
	v_dual_mul_f32 v51, v51, v57 :: v_dual_mul_f32 v52, v52, v59
	v_mul_f32_e32 v9, v9, v55
	v_dual_fmac_f32 v51, v49, v56 :: v_dual_fmac_f32 v52, v50, v58
	s_waitcnt lgkmcnt(11)
	v_cndmask_b32_e64 v49, v62, -v62, s0
	s_delay_alu instid0(VALU_DEP_3)
	v_fmac_f32_e32 v9, v48, v54
	v_cndmask_b32_e64 v48, v53, -v53, s0
	s_waitcnt lgkmcnt(10)
	v_cndmask_b32_e64 v50, v63, -v63, s0
	s_waitcnt lgkmcnt(9)
	;; [unrolled: 2-line block ×3, first 2 shown]
	v_mul_f32_e32 v56, v49, v67
	v_cndmask_b32_e64 v54, v65, -v65, s0
	v_dual_mul_f32 v55, v48, v61 :: v_dual_mov_b32 v48, v9
	s_waitcnt lgkmcnt(4)
	s_delay_alu instid0(VALU_DEP_3) | instskip(SKIP_3) | instid1(VALU_DEP_3)
	v_dual_mul_f32 v57, v50, v69 :: v_dual_fmac_f32 v56, v44, v66
	s_waitcnt lgkmcnt(2)
	v_dual_mul_f32 v54, v54, v71 :: v_dual_mul_f32 v53, v53, v70
	v_dual_fmac_f32 v55, v47, v60 :: v_dual_mov_b32 v50, v52
	v_dual_fmac_f32 v57, v45, v68 :: v_dual_mov_b32 v44, v56
	s_waitcnt lgkmcnt(0)
	s_delay_alu instid0(VALU_DEP_3) | instskip(SKIP_3) | instid1(VALU_DEP_4)
	v_dual_fmac_f32 v54, v43, v73 :: v_dual_fmac_f32 v53, v46, v72
	v_mov_b32_e32 v49, v51
	v_mov_b32_e32 v47, v55
	v_mov_b32_e32 v45, v57
	v_dual_mov_b32 v43, v54 :: v_dual_mov_b32 v46, v53
	s_branch .LBB23_9
.LBB23_12:
	s_nop 0
	s_sendmsg sendmsg(MSG_DEALLOC_VGPRS)
	s_endpgm
	.section	.rodata,"a",@progbits
	.p2align	6, 0x0
	.amdhsa_kernel _ZN12tensorrt_llm7kernels32fusedQKNormRopeKernelNTokenHeadsIN3c104HalfEfLi256ELb0ELi8EEEvPviiifPKvS6_S6_PKlii
		.amdhsa_group_segment_fixed_size 0
		.amdhsa_private_segment_fixed_size 0
		.amdhsa_kernarg_size 320
		.amdhsa_user_sgpr_count 15
		.amdhsa_user_sgpr_dispatch_ptr 0
		.amdhsa_user_sgpr_queue_ptr 0
		.amdhsa_user_sgpr_kernarg_segment_ptr 1
		.amdhsa_user_sgpr_dispatch_id 0
		.amdhsa_user_sgpr_private_segment_size 0
		.amdhsa_wavefront_size32 1
		.amdhsa_uses_dynamic_stack 0
		.amdhsa_enable_private_segment 0
		.amdhsa_system_sgpr_workgroup_id_x 1
		.amdhsa_system_sgpr_workgroup_id_y 0
		.amdhsa_system_sgpr_workgroup_id_z 0
		.amdhsa_system_sgpr_workgroup_info 0
		.amdhsa_system_vgpr_workitem_id 0
		.amdhsa_next_free_vgpr 74
		.amdhsa_next_free_sgpr 21
		.amdhsa_reserve_vcc 1
		.amdhsa_float_round_mode_32 0
		.amdhsa_float_round_mode_16_64 0
		.amdhsa_float_denorm_mode_32 3
		.amdhsa_float_denorm_mode_16_64 3
		.amdhsa_dx10_clamp 1
		.amdhsa_ieee_mode 1
		.amdhsa_fp16_overflow 0
		.amdhsa_workgroup_processor_mode 1
		.amdhsa_memory_ordered 1
		.amdhsa_forward_progress 0
		.amdhsa_shared_vgpr_count 0
		.amdhsa_exception_fp_ieee_invalid_op 0
		.amdhsa_exception_fp_denorm_src 0
		.amdhsa_exception_fp_ieee_div_zero 0
		.amdhsa_exception_fp_ieee_overflow 0
		.amdhsa_exception_fp_ieee_underflow 0
		.amdhsa_exception_fp_ieee_inexact 0
		.amdhsa_exception_int_div_zero 0
	.end_amdhsa_kernel
	.section	.text._ZN12tensorrt_llm7kernels32fusedQKNormRopeKernelNTokenHeadsIN3c104HalfEfLi256ELb0ELi8EEEvPviiifPKvS6_S6_PKlii,"axG",@progbits,_ZN12tensorrt_llm7kernels32fusedQKNormRopeKernelNTokenHeadsIN3c104HalfEfLi256ELb0ELi8EEEvPviiifPKvS6_S6_PKlii,comdat
.Lfunc_end23:
	.size	_ZN12tensorrt_llm7kernels32fusedQKNormRopeKernelNTokenHeadsIN3c104HalfEfLi256ELb0ELi8EEEvPviiifPKvS6_S6_PKlii, .Lfunc_end23-_ZN12tensorrt_llm7kernels32fusedQKNormRopeKernelNTokenHeadsIN3c104HalfEfLi256ELb0ELi8EEEvPviiifPKvS6_S6_PKlii
                                        ; -- End function
	.section	.AMDGPU.csdata,"",@progbits
; Kernel info:
; codeLenInByte = 3020
; NumSgprs: 23
; NumVgprs: 74
; ScratchSize: 0
; MemoryBound: 0
; FloatMode: 240
; IeeeMode: 1
; LDSByteSize: 0 bytes/workgroup (compile time only)
; SGPRBlocks: 2
; VGPRBlocks: 9
; NumSGPRsForWavesPerEU: 23
; NumVGPRsForWavesPerEU: 74
; Occupancy: 16
; WaveLimiterHint : 0
; COMPUTE_PGM_RSRC2:SCRATCH_EN: 0
; COMPUTE_PGM_RSRC2:USER_SGPR: 15
; COMPUTE_PGM_RSRC2:TRAP_HANDLER: 0
; COMPUTE_PGM_RSRC2:TGID_X_EN: 1
; COMPUTE_PGM_RSRC2:TGID_Y_EN: 0
; COMPUTE_PGM_RSRC2:TGID_Z_EN: 0
; COMPUTE_PGM_RSRC2:TIDIG_COMP_CNT: 0
	.section	.text._ZN12tensorrt_llm7kernels21fusedQKNormRopeKernelIN3c104HalfES3_Li64ELb1EEEvPviiifPKvS6_S6_PKlii,"axG",@progbits,_ZN12tensorrt_llm7kernels21fusedQKNormRopeKernelIN3c104HalfES3_Li64ELb1EEEvPviiifPKvS6_S6_PKlii,comdat
	.protected	_ZN12tensorrt_llm7kernels21fusedQKNormRopeKernelIN3c104HalfES3_Li64ELb1EEEvPviiifPKvS6_S6_PKlii ; -- Begin function _ZN12tensorrt_llm7kernels21fusedQKNormRopeKernelIN3c104HalfES3_Li64ELb1EEEvPviiifPKvS6_S6_PKlii
	.globl	_ZN12tensorrt_llm7kernels21fusedQKNormRopeKernelIN3c104HalfES3_Li64ELb1EEEvPviiifPKvS6_S6_PKlii
	.p2align	8
	.type	_ZN12tensorrt_llm7kernels21fusedQKNormRopeKernelIN3c104HalfES3_Li64ELb1EEEvPviiifPKvS6_S6_PKlii,@function
_ZN12tensorrt_llm7kernels21fusedQKNormRopeKernelIN3c104HalfES3_Li64ELb1EEEvPviiifPKvS6_S6_PKlii: ; @_ZN12tensorrt_llm7kernels21fusedQKNormRopeKernelIN3c104HalfES3_Li64ELb1EEEvPviiifPKvS6_S6_PKlii
; %bb.0:
	s_clause 0x2
	s_load_b128 s[8:11], s[0:1], 0x8
	s_load_b64 s[12:13], s[0:1], 0x38
	s_load_b32 s4, s[0:1], 0x4c
	v_lshrrev_b32_e32 v3, 5, v0
	s_waitcnt lgkmcnt(0)
	s_add_i32 s2, s9, s8
	s_bfe_u32 s4, s4, 0xb0005
	s_abs_i32 s3, s2
	s_delay_alu instid0(SALU_CYCLE_1) | instskip(SKIP_1) | instid1(VALU_DEP_1)
	v_cvt_f32_u32_e32 v1, s3
	s_sub_i32 s5, 0, s3
	v_rcp_iflag_f32_e32 v1, v1
	s_waitcnt_depctr 0xfff
	v_mul_f32_e32 v1, 0x4f7ffffe, v1
	s_delay_alu instid0(VALU_DEP_1) | instskip(NEXT) | instid1(VALU_DEP_1)
	v_cvt_u32_f32_e32 v4, v1
	v_mul_lo_u32 v5, s5, v4
	v_mad_u64_u32 v[1:2], null, s15, s4, v[3:4]
	s_delay_alu instid0(VALU_DEP_2) | instskip(NEXT) | instid1(VALU_DEP_2)
	v_mul_hi_u32 v2, v4, v5
	v_sub_nc_u32_e32 v3, 0, v1
	s_delay_alu instid0(VALU_DEP_1) | instskip(NEXT) | instid1(VALU_DEP_3)
	v_max_i32_e32 v3, v1, v3
	v_add_nc_u32_e32 v2, v4, v2
	s_delay_alu instid0(VALU_DEP_1) | instskip(NEXT) | instid1(VALU_DEP_1)
	v_mul_hi_u32 v2, v3, v2
	v_mul_lo_u32 v4, v2, s3
	s_delay_alu instid0(VALU_DEP_1) | instskip(NEXT) | instid1(VALU_DEP_1)
	v_sub_nc_u32_e32 v3, v3, v4
	v_subrev_nc_u32_e32 v5, s3, v3
	v_cmp_le_u32_e32 vcc_lo, s3, v3
	s_delay_alu instid0(VALU_DEP_2) | instskip(NEXT) | instid1(VALU_DEP_1)
	v_dual_cndmask_b32 v3, v3, v5 :: v_dual_add_nc_u32 v4, 1, v2
	v_cndmask_b32_e32 v2, v2, v4, vcc_lo
	v_xor_b32_e32 v4, s2, v1
	s_delay_alu instid0(VALU_DEP_3) | instskip(NEXT) | instid1(VALU_DEP_3)
	v_cmp_le_u32_e32 vcc_lo, s3, v3
	v_add_nc_u32_e32 v5, 1, v2
	s_delay_alu instid0(VALU_DEP_3) | instskip(SKIP_1) | instid1(VALU_DEP_2)
	v_ashrrev_i32_e32 v4, 31, v4
	s_mov_b32 s3, exec_lo
	v_cndmask_b32_e32 v2, v2, v5, vcc_lo
	s_delay_alu instid0(VALU_DEP_1) | instskip(NEXT) | instid1(VALU_DEP_1)
	v_xor_b32_e32 v2, v2, v4
	v_sub_nc_u32_e32 v2, v2, v4
	s_delay_alu instid0(VALU_DEP_1)
	v_cmpx_gt_i32_e64 s12, v2
	s_cbranch_execz .LBB24_4
; %bb.1:
	v_mul_lo_u32 v3, v2, s2
	s_add_i32 s2, s2, s10
	v_and_b32_e32 v7, 31, v0
	v_mul_lo_u32 v5, v2, s2
	s_load_b64 s[2:3], s[0:1], 0x0
	s_delay_alu instid0(VALU_DEP_2) | instskip(NEXT) | instid1(VALU_DEP_4)
	v_lshlrev_b32_e32 v4, 1, v7
	v_sub_nc_u32_e32 v1, v1, v3
	s_delay_alu instid0(VALU_DEP_1) | instskip(SKIP_1) | instid1(VALU_DEP_1)
	v_cmp_gt_i32_e32 vcc_lo, s8, v1
	v_cndmask_b32_e64 v3, s8, 0, vcc_lo
	v_sub_nc_u32_e32 v0, v1, v3
	s_delay_alu instid0(VALU_DEP_1) | instskip(NEXT) | instid1(VALU_DEP_1)
	v_add3_u32 v0, v5, v3, v0
	v_lshl_or_b32 v0, v0, 6, v4
	s_delay_alu instid0(VALU_DEP_1) | instskip(NEXT) | instid1(VALU_DEP_1)
	v_ashrrev_i32_e32 v1, 31, v0
	v_lshlrev_b64 v[0:1], 1, v[0:1]
	s_waitcnt lgkmcnt(0)
	s_delay_alu instid0(VALU_DEP_1) | instskip(NEXT) | instid1(VALU_DEP_1)
	v_add_co_u32 v0, s2, s2, v0
	v_add_co_ci_u32_e64 v1, s2, s3, v1, s2
	s_load_b256 s[0:7], s[0:1], 0x18
	global_load_b32 v3, v[0:1], off
	s_waitcnt lgkmcnt(0)
	v_dual_mov_b32 v5, s0 :: v_dual_mov_b32 v6, s1
	v_lshlrev_b32_e32 v8, 2, v7
	s_lshr_b32 s0, s13, 31
	s_delay_alu instid0(VALU_DEP_2) | instskip(NEXT) | instid1(VALU_DEP_3)
	v_cndmask_b32_e32 v5, s2, v5, vcc_lo
	v_cndmask_b32_e32 v6, s3, v6, vcc_lo
	s_add_i32 s0, s13, s0
	s_mov_b32 s2, exec_lo
	s_ashr_i32 s0, s0, 1
	v_add_co_u32 v5, vcc_lo, v5, v8
	v_add_co_ci_u32_e32 v6, vcc_lo, 0, v6, vcc_lo
	global_load_b32 v5, v[5:6], off
	v_mbcnt_lo_u32_b32 v6, -1, 0
	s_delay_alu instid0(VALU_DEP_1) | instskip(SKIP_1) | instid1(VALU_DEP_2)
	v_xor_b32_e32 v8, 16, v6
	v_xor_b32_e32 v11, 8, v6
	v_cmp_gt_i32_e32 vcc_lo, 32, v8
	v_cndmask_b32_e32 v8, v6, v8, vcc_lo
	s_delay_alu instid0(VALU_DEP_3) | instskip(NEXT) | instid1(VALU_DEP_2)
	v_cmp_gt_i32_e32 vcc_lo, 32, v11
	v_dual_cndmask_b32 v11, v6, v11 :: v_dual_lshlrev_b32 v8, 2, v8
	s_delay_alu instid0(VALU_DEP_1) | instskip(SKIP_2) | instid1(VALU_DEP_1)
	v_lshlrev_b32_e32 v11, 2, v11
	s_waitcnt vmcnt(1)
	v_cvt_f32_f16_e32 v9, v3
	v_mul_f32_e32 v10, v9, v9
	s_delay_alu instid0(VALU_DEP_1)
	v_fma_mix_f32 v10, v3, v3, v10 op_sel:[1,1,0] op_sel_hi:[1,1,0]
	v_lshrrev_b32_e32 v3, 16, v3
	ds_bpermute_b32 v8, v8, v10
	v_cvt_f32_f16_e32 v3, v3
	s_waitcnt lgkmcnt(0)
	v_add_f32_e32 v8, v10, v8
	ds_bpermute_b32 v10, v11, v8
	v_xor_b32_e32 v11, 4, v6
	s_delay_alu instid0(VALU_DEP_1) | instskip(SKIP_2) | instid1(VALU_DEP_1)
	v_cmp_gt_i32_e32 vcc_lo, 32, v11
	v_cndmask_b32_e32 v11, v6, v11, vcc_lo
	s_waitcnt lgkmcnt(0)
	v_dual_add_f32 v8, v8, v10 :: v_dual_lshlrev_b32 v11, 2, v11
	ds_bpermute_b32 v10, v11, v8
	v_xor_b32_e32 v11, 2, v6
	s_delay_alu instid0(VALU_DEP_1) | instskip(SKIP_2) | instid1(VALU_DEP_1)
	v_cmp_gt_i32_e32 vcc_lo, 32, v11
	v_cndmask_b32_e32 v11, v6, v11, vcc_lo
	s_waitcnt lgkmcnt(0)
	v_dual_add_f32 v8, v8, v10 :: v_dual_lshlrev_b32 v11, 2, v11
	ds_bpermute_b32 v10, v11, v8
	v_xor_b32_e32 v11, 1, v6
	s_delay_alu instid0(VALU_DEP_1) | instskip(SKIP_1) | instid1(VALU_DEP_1)
	v_cmp_gt_i32_e32 vcc_lo, 32, v11
	v_cndmask_b32_e32 v6, v6, v11, vcc_lo
	v_lshlrev_b32_e32 v6, 2, v6
	s_waitcnt lgkmcnt(0)
	v_add_f32_e32 v8, v8, v10
	v_mov_b32_e32 v10, s11
	ds_bpermute_b32 v6, v6, v8
	s_waitcnt lgkmcnt(0)
	v_add_f32_e32 v6, v8, v6
	s_delay_alu instid0(VALU_DEP_1) | instskip(NEXT) | instid1(VALU_DEP_1)
	v_fmamk_f32 v6, v6, 0x3c800000, v10
	v_mul_f32_e32 v8, 0x4b800000, v6
	v_cmp_gt_f32_e32 vcc_lo, 0x800000, v6
	s_delay_alu instid0(VALU_DEP_2) | instskip(SKIP_3) | instid1(VALU_DEP_3)
	v_cndmask_b32_e32 v6, v6, v8, vcc_lo
	s_waitcnt vmcnt(0)
	v_lshrrev_b32_e32 v8, 16, v5
	v_cvt_f32_f16_e32 v5, v5
	v_rsq_f32_e32 v6, v6
	s_delay_alu instid0(VALU_DEP_2) | instskip(SKIP_2) | instid1(VALU_DEP_1)
	v_cvt_f32_f16_e32 v8, v8
	s_waitcnt_depctr 0xfff
	v_mul_f32_e32 v10, 0x45800000, v6
	v_cndmask_b32_e32 v6, v6, v10, vcc_lo
	s_delay_alu instid0(VALU_DEP_1) | instskip(NEXT) | instid1(VALU_DEP_1)
	v_mul_f32_e32 v8, v6, v8
	v_dual_mul_f32 v6, v6, v5 :: v_dual_mul_f32 v5, v8, v3
	s_delay_alu instid0(VALU_DEP_1)
	v_mul_f32_e32 v6, v6, v9
	v_cmpx_gt_i32_e64 s0, v7
	s_cbranch_execz .LBB24_3
; %bb.2:
	v_ashrrev_i32_e32 v3, 31, v2
	s_ashr_i32 s1, s13, 31
	s_delay_alu instid0(VALU_DEP_1) | instskip(NEXT) | instid1(VALU_DEP_1)
	v_lshlrev_b64 v[2:3], 3, v[2:3]
	v_add_co_u32 v2, vcc_lo, s6, v2
	s_delay_alu instid0(VALU_DEP_2)
	v_add_co_ci_u32_e32 v3, vcc_lo, s7, v3, vcc_lo
	global_load_b64 v[2:3], v[2:3], off
	s_waitcnt vmcnt(0)
	v_mul_lo_u32 v3, v3, s13
	v_mul_lo_u32 v9, v2, s1
	v_mad_u64_u32 v[7:8], null, v2, s13, 0
	s_mov_b32 s1, 0
	s_delay_alu instid0(SALU_CYCLE_1) | instskip(NEXT) | instid1(VALU_DEP_1)
	s_lshl_b64 s[0:1], s[0:1], 1
	v_add3_u32 v8, v8, v9, v3
	s_delay_alu instid0(VALU_DEP_1) | instskip(NEXT) | instid1(VALU_DEP_1)
	v_lshlrev_b64 v[2:3], 1, v[7:8]
	v_add_co_u32 v2, vcc_lo, s4, v2
	s_delay_alu instid0(VALU_DEP_2) | instskip(NEXT) | instid1(VALU_DEP_2)
	v_add_co_ci_u32_e32 v3, vcc_lo, s5, v3, vcc_lo
	v_add_co_u32 v2, vcc_lo, v2, v4
	s_delay_alu instid0(VALU_DEP_2) | instskip(NEXT) | instid1(VALU_DEP_2)
	v_add_co_ci_u32_e32 v3, vcc_lo, 0, v3, vcc_lo
	v_add_co_u32 v7, vcc_lo, v2, s0
	s_delay_alu instid0(VALU_DEP_2)
	v_add_co_ci_u32_e32 v8, vcc_lo, s1, v3, vcc_lo
	s_clause 0x1
	global_load_u16 v4, v[7:8], off
	global_load_u16 v2, v[2:3], off
	s_waitcnt vmcnt(1)
	v_cvt_f32_f16_e32 v3, v4
	s_waitcnt vmcnt(0)
	v_cvt_f32_f16_e32 v7, v2
	s_delay_alu instid0(VALU_DEP_2) | instskip(NEXT) | instid1(VALU_DEP_2)
	v_mul_f32_e32 v3, v5, v3
	v_mul_f32_e32 v5, v5, v7
	s_delay_alu instid0(VALU_DEP_2) | instskip(NEXT) | instid1(VALU_DEP_2)
	v_fma_mix_f32 v2, v6, v2, -v3 op_sel_hi:[0,1,0]
	v_fma_mix_f32 v5, v6, v4, v5 op_sel_hi:[0,1,0]
	s_delay_alu instid0(VALU_DEP_2)
	v_mov_b32_e32 v6, v2
.LBB24_3:
	s_or_b32 exec_lo, exec_lo, s2
	s_delay_alu instid0(VALU_DEP_1) | instskip(NEXT) | instid1(VALU_DEP_3)
	v_cvt_f16_f32_e32 v2, v6
	v_cvt_f16_f32_e32 v3, v5
	s_delay_alu instid0(VALU_DEP_1)
	v_pack_b32_f16 v2, v2, v3
	global_store_b32 v[0:1], v2, off
.LBB24_4:
	s_nop 0
	s_sendmsg sendmsg(MSG_DEALLOC_VGPRS)
	s_endpgm
	.section	.rodata,"a",@progbits
	.p2align	6, 0x0
	.amdhsa_kernel _ZN12tensorrt_llm7kernels21fusedQKNormRopeKernelIN3c104HalfES3_Li64ELb1EEEvPviiifPKvS6_S6_PKlii
		.amdhsa_group_segment_fixed_size 0
		.amdhsa_private_segment_fixed_size 0
		.amdhsa_kernarg_size 320
		.amdhsa_user_sgpr_count 15
		.amdhsa_user_sgpr_dispatch_ptr 0
		.amdhsa_user_sgpr_queue_ptr 0
		.amdhsa_user_sgpr_kernarg_segment_ptr 1
		.amdhsa_user_sgpr_dispatch_id 0
		.amdhsa_user_sgpr_private_segment_size 0
		.amdhsa_wavefront_size32 1
		.amdhsa_uses_dynamic_stack 0
		.amdhsa_enable_private_segment 0
		.amdhsa_system_sgpr_workgroup_id_x 1
		.amdhsa_system_sgpr_workgroup_id_y 0
		.amdhsa_system_sgpr_workgroup_id_z 0
		.amdhsa_system_sgpr_workgroup_info 0
		.amdhsa_system_vgpr_workitem_id 0
		.amdhsa_next_free_vgpr 12
		.amdhsa_next_free_sgpr 16
		.amdhsa_reserve_vcc 1
		.amdhsa_float_round_mode_32 0
		.amdhsa_float_round_mode_16_64 0
		.amdhsa_float_denorm_mode_32 3
		.amdhsa_float_denorm_mode_16_64 3
		.amdhsa_dx10_clamp 1
		.amdhsa_ieee_mode 1
		.amdhsa_fp16_overflow 0
		.amdhsa_workgroup_processor_mode 1
		.amdhsa_memory_ordered 1
		.amdhsa_forward_progress 0
		.amdhsa_shared_vgpr_count 0
		.amdhsa_exception_fp_ieee_invalid_op 0
		.amdhsa_exception_fp_denorm_src 0
		.amdhsa_exception_fp_ieee_div_zero 0
		.amdhsa_exception_fp_ieee_overflow 0
		.amdhsa_exception_fp_ieee_underflow 0
		.amdhsa_exception_fp_ieee_inexact 0
		.amdhsa_exception_int_div_zero 0
	.end_amdhsa_kernel
	.section	.text._ZN12tensorrt_llm7kernels21fusedQKNormRopeKernelIN3c104HalfES3_Li64ELb1EEEvPviiifPKvS6_S6_PKlii,"axG",@progbits,_ZN12tensorrt_llm7kernels21fusedQKNormRopeKernelIN3c104HalfES3_Li64ELb1EEEvPviiifPKvS6_S6_PKlii,comdat
.Lfunc_end24:
	.size	_ZN12tensorrt_llm7kernels21fusedQKNormRopeKernelIN3c104HalfES3_Li64ELb1EEEvPviiifPKvS6_S6_PKlii, .Lfunc_end24-_ZN12tensorrt_llm7kernels21fusedQKNormRopeKernelIN3c104HalfES3_Li64ELb1EEEvPviiifPKvS6_S6_PKlii
                                        ; -- End function
	.section	.AMDGPU.csdata,"",@progbits
; Kernel info:
; codeLenInByte = 1064
; NumSgprs: 18
; NumVgprs: 12
; ScratchSize: 0
; MemoryBound: 0
; FloatMode: 240
; IeeeMode: 1
; LDSByteSize: 0 bytes/workgroup (compile time only)
; SGPRBlocks: 2
; VGPRBlocks: 1
; NumSGPRsForWavesPerEU: 18
; NumVGPRsForWavesPerEU: 12
; Occupancy: 16
; WaveLimiterHint : 1
; COMPUTE_PGM_RSRC2:SCRATCH_EN: 0
; COMPUTE_PGM_RSRC2:USER_SGPR: 15
; COMPUTE_PGM_RSRC2:TRAP_HANDLER: 0
; COMPUTE_PGM_RSRC2:TGID_X_EN: 1
; COMPUTE_PGM_RSRC2:TGID_Y_EN: 0
; COMPUTE_PGM_RSRC2:TGID_Z_EN: 0
; COMPUTE_PGM_RSRC2:TIDIG_COMP_CNT: 0
	.section	.text._ZN12tensorrt_llm7kernels21fusedQKNormRopeKernelIN3c104HalfES3_Li64ELb0EEEvPviiifPKvS6_S6_PKlii,"axG",@progbits,_ZN12tensorrt_llm7kernels21fusedQKNormRopeKernelIN3c104HalfES3_Li64ELb0EEEvPviiifPKvS6_S6_PKlii,comdat
	.protected	_ZN12tensorrt_llm7kernels21fusedQKNormRopeKernelIN3c104HalfES3_Li64ELb0EEEvPviiifPKvS6_S6_PKlii ; -- Begin function _ZN12tensorrt_llm7kernels21fusedQKNormRopeKernelIN3c104HalfES3_Li64ELb0EEEvPviiifPKvS6_S6_PKlii
	.globl	_ZN12tensorrt_llm7kernels21fusedQKNormRopeKernelIN3c104HalfES3_Li64ELb0EEEvPviiifPKvS6_S6_PKlii
	.p2align	8
	.type	_ZN12tensorrt_llm7kernels21fusedQKNormRopeKernelIN3c104HalfES3_Li64ELb0EEEvPviiifPKvS6_S6_PKlii,@function
_ZN12tensorrt_llm7kernels21fusedQKNormRopeKernelIN3c104HalfES3_Li64ELb0EEEvPviiifPKvS6_S6_PKlii: ; @_ZN12tensorrt_llm7kernels21fusedQKNormRopeKernelIN3c104HalfES3_Li64ELb0EEEvPviiifPKvS6_S6_PKlii
; %bb.0:
	s_clause 0x2
	s_load_b128 s[8:11], s[0:1], 0x8
	s_load_b64 s[12:13], s[0:1], 0x38
	s_load_b32 s4, s[0:1], 0x4c
	v_lshrrev_b32_e32 v3, 5, v0
	s_waitcnt lgkmcnt(0)
	s_add_i32 s2, s9, s8
	s_bfe_u32 s4, s4, 0xb0005
	s_abs_i32 s3, s2
	s_delay_alu instid0(SALU_CYCLE_1) | instskip(SKIP_1) | instid1(VALU_DEP_1)
	v_cvt_f32_u32_e32 v1, s3
	s_sub_i32 s5, 0, s3
	v_rcp_iflag_f32_e32 v1, v1
	s_waitcnt_depctr 0xfff
	v_mul_f32_e32 v1, 0x4f7ffffe, v1
	s_delay_alu instid0(VALU_DEP_1) | instskip(NEXT) | instid1(VALU_DEP_1)
	v_cvt_u32_f32_e32 v4, v1
	v_mul_lo_u32 v5, s5, v4
	v_mad_u64_u32 v[1:2], null, s15, s4, v[3:4]
	s_delay_alu instid0(VALU_DEP_2) | instskip(NEXT) | instid1(VALU_DEP_2)
	v_mul_hi_u32 v2, v4, v5
	v_sub_nc_u32_e32 v3, 0, v1
	s_delay_alu instid0(VALU_DEP_1) | instskip(NEXT) | instid1(VALU_DEP_3)
	v_max_i32_e32 v3, v1, v3
	v_add_nc_u32_e32 v2, v4, v2
	s_delay_alu instid0(VALU_DEP_1) | instskip(NEXT) | instid1(VALU_DEP_1)
	v_mul_hi_u32 v2, v3, v2
	v_mul_lo_u32 v4, v2, s3
	s_delay_alu instid0(VALU_DEP_1) | instskip(NEXT) | instid1(VALU_DEP_1)
	v_sub_nc_u32_e32 v3, v3, v4
	v_subrev_nc_u32_e32 v5, s3, v3
	v_cmp_le_u32_e32 vcc_lo, s3, v3
	s_delay_alu instid0(VALU_DEP_2) | instskip(NEXT) | instid1(VALU_DEP_1)
	v_dual_cndmask_b32 v3, v3, v5 :: v_dual_add_nc_u32 v4, 1, v2
	v_cndmask_b32_e32 v2, v2, v4, vcc_lo
	v_xor_b32_e32 v4, s2, v1
	s_delay_alu instid0(VALU_DEP_3) | instskip(NEXT) | instid1(VALU_DEP_3)
	v_cmp_le_u32_e32 vcc_lo, s3, v3
	v_add_nc_u32_e32 v5, 1, v2
	s_delay_alu instid0(VALU_DEP_3) | instskip(SKIP_1) | instid1(VALU_DEP_2)
	v_ashrrev_i32_e32 v4, 31, v4
	s_mov_b32 s3, exec_lo
	v_cndmask_b32_e32 v2, v2, v5, vcc_lo
	s_delay_alu instid0(VALU_DEP_1) | instskip(NEXT) | instid1(VALU_DEP_1)
	v_xor_b32_e32 v2, v2, v4
	v_sub_nc_u32_e32 v2, v2, v4
	s_delay_alu instid0(VALU_DEP_1)
	v_cmpx_gt_i32_e64 s12, v2
	s_cbranch_execz .LBB25_4
; %bb.1:
	v_mul_lo_u32 v3, v2, s2
	s_add_i32 s2, s2, s10
	v_and_b32_e32 v4, 31, v0
	v_mul_lo_u32 v5, v2, s2
	s_load_b64 s[2:3], s[0:1], 0x0
	s_delay_alu instid0(VALU_DEP_3) | instskip(NEXT) | instid1(VALU_DEP_1)
	v_sub_nc_u32_e32 v1, v1, v3
	v_cmp_gt_i32_e32 vcc_lo, s8, v1
	v_cndmask_b32_e64 v3, s8, 0, vcc_lo
	s_delay_alu instid0(VALU_DEP_1) | instskip(SKIP_1) | instid1(VALU_DEP_2)
	v_sub_nc_u32_e32 v0, v1, v3
	v_lshlrev_b32_e32 v1, 1, v4
	v_add3_u32 v0, v5, v3, v0
	s_delay_alu instid0(VALU_DEP_1) | instskip(NEXT) | instid1(VALU_DEP_1)
	v_lshl_or_b32 v0, v0, 6, v1
	v_ashrrev_i32_e32 v1, 31, v0
	s_delay_alu instid0(VALU_DEP_1) | instskip(SKIP_1) | instid1(VALU_DEP_1)
	v_lshlrev_b64 v[0:1], 1, v[0:1]
	s_waitcnt lgkmcnt(0)
	v_add_co_u32 v0, s2, s2, v0
	s_delay_alu instid0(VALU_DEP_1)
	v_add_co_ci_u32_e64 v1, s2, s3, v1, s2
	s_load_b256 s[0:7], s[0:1], 0x18
	global_load_b32 v3, v[0:1], off
	s_waitcnt lgkmcnt(0)
	v_dual_mov_b32 v6, s1 :: v_dual_mov_b32 v5, s0
	v_lshlrev_b32_e32 v8, 2, v4
	s_lshr_b32 s0, s13, 31
	s_delay_alu instid0(VALU_DEP_2) | instskip(NEXT) | instid1(VALU_DEP_3)
	v_cndmask_b32_e32 v6, s3, v6, vcc_lo
	v_cndmask_b32_e32 v5, s2, v5, vcc_lo
	s_add_i32 s0, s13, s0
	s_mov_b32 s2, exec_lo
	s_ashr_i32 s0, s0, 1
	s_delay_alu instid0(VALU_DEP_1) | instskip(SKIP_3) | instid1(VALU_DEP_1)
	v_add_co_u32 v5, vcc_lo, v5, v8
	v_add_co_ci_u32_e32 v6, vcc_lo, 0, v6, vcc_lo
	global_load_b32 v6, v[5:6], off
	v_mbcnt_lo_u32_b32 v5, -1, 0
	v_xor_b32_e32 v7, 16, v5
	v_xor_b32_e32 v11, 8, v5
	s_delay_alu instid0(VALU_DEP_2) | instskip(SKIP_4) | instid1(VALU_DEP_2)
	v_cmp_gt_i32_e32 vcc_lo, 32, v7
	s_waitcnt vmcnt(1)
	v_cvt_f32_f16_e32 v9, v3
	v_cndmask_b32_e32 v7, v5, v7, vcc_lo
	v_cmp_gt_i32_e32 vcc_lo, 32, v11
	v_lshlrev_b32_e32 v7, 2, v7
	v_cndmask_b32_e32 v11, v5, v11, vcc_lo
	s_delay_alu instid0(VALU_DEP_1) | instskip(NEXT) | instid1(VALU_DEP_1)
	v_dual_mul_f32 v10, v9, v9 :: v_dual_lshlrev_b32 v11, 2, v11
	v_fma_mix_f32 v10, v3, v3, v10 op_sel:[1,1,0] op_sel_hi:[1,1,0]
	v_lshrrev_b32_e32 v3, 16, v3
	ds_bpermute_b32 v7, v7, v10
	v_cvt_f32_f16_e32 v3, v3
	s_waitcnt lgkmcnt(0)
	v_add_f32_e32 v7, v10, v7
	ds_bpermute_b32 v10, v11, v7
	v_xor_b32_e32 v11, 4, v5
	s_delay_alu instid0(VALU_DEP_1) | instskip(SKIP_1) | instid1(VALU_DEP_1)
	v_cmp_gt_i32_e32 vcc_lo, 32, v11
	v_cndmask_b32_e32 v11, v5, v11, vcc_lo
	v_lshlrev_b32_e32 v11, 2, v11
	s_waitcnt lgkmcnt(0)
	v_add_f32_e32 v7, v7, v10
	ds_bpermute_b32 v10, v11, v7
	v_xor_b32_e32 v11, 2, v5
	s_delay_alu instid0(VALU_DEP_1) | instskip(SKIP_1) | instid1(VALU_DEP_1)
	v_cmp_gt_i32_e32 vcc_lo, 32, v11
	v_cndmask_b32_e32 v11, v5, v11, vcc_lo
	v_lshlrev_b32_e32 v11, 2, v11
	;; [unrolled: 8-line block ×3, first 2 shown]
	s_waitcnt lgkmcnt(0)
	v_add_f32_e32 v7, v7, v10
	ds_bpermute_b32 v10, v11, v7
	v_mov_b32_e32 v11, s11
	s_waitcnt lgkmcnt(0)
	v_add_f32_e32 v7, v7, v10
	s_delay_alu instid0(VALU_DEP_1) | instskip(SKIP_3) | instid1(VALU_DEP_3)
	v_fmamk_f32 v7, v7, 0x3c800000, v11
	s_waitcnt vmcnt(0)
	v_lshrrev_b32_e32 v11, 16, v6
	v_cvt_f32_f16_e32 v6, v6
	v_mul_f32_e32 v10, 0x4b800000, v7
	v_cmp_gt_f32_e32 vcc_lo, 0x800000, v7
	s_delay_alu instid0(VALU_DEP_2) | instskip(NEXT) | instid1(VALU_DEP_1)
	v_cndmask_b32_e32 v7, v7, v10, vcc_lo
	v_rsq_f32_e32 v7, v7
	s_waitcnt_depctr 0xfff
	v_mul_f32_e32 v10, 0x45800000, v7
	s_delay_alu instid0(VALU_DEP_1) | instskip(SKIP_1) | instid1(VALU_DEP_2)
	v_cndmask_b32_e32 v7, v7, v10, vcc_lo
	v_cvt_f32_f16_e32 v10, v11
	v_mul_f32_e32 v6, v7, v6
	s_delay_alu instid0(VALU_DEP_1) | instskip(NEXT) | instid1(VALU_DEP_1)
	v_dual_mul_f32 v7, v7, v10 :: v_dual_mul_f32 v6, v6, v9
	v_mul_f32_e32 v7, v7, v3
	v_cmpx_gt_i32_e64 s0, v4
	s_cbranch_execz .LBB25_3
; %bb.2:
	v_ashrrev_i32_e32 v3, 31, v2
	s_abs_i32 s3, s13
	s_delay_alu instid0(SALU_CYCLE_1) | instskip(SKIP_1) | instid1(VALU_DEP_2)
	v_cvt_f32_u32_e32 v9, s3
	s_sub_i32 s1, 0, s3
	v_lshlrev_b64 v[2:3], 3, v[2:3]
	s_delay_alu instid0(VALU_DEP_2) | instskip(NEXT) | instid1(VALU_DEP_1)
	v_rcp_iflag_f32_e32 v9, v9
	v_add_co_u32 v2, vcc_lo, s6, v2
	s_delay_alu instid0(VALU_DEP_2) | instskip(SKIP_4) | instid1(VALU_DEP_1)
	v_add_co_ci_u32_e32 v3, vcc_lo, s7, v3, vcc_lo
	s_waitcnt_depctr 0xfff
	v_mul_f32_e32 v9, 0x4f7ffffe, v9
	global_load_b64 v[2:3], v[2:3], off
	; wave barrier
	v_cvt_u32_f32_e32 v9, v9
	v_mul_lo_u32 v10, s1, v9
	s_ashr_i32 s1, s13, 31
	s_delay_alu instid0(VALU_DEP_1) | instskip(NEXT) | instid1(VALU_DEP_1)
	v_mul_hi_u32 v10, v9, v10
	v_add_nc_u32_e32 v9, v9, v10
	v_or_b32_e32 v10, 2, v8
	s_delay_alu instid0(VALU_DEP_2) | instskip(NEXT) | instid1(VALU_DEP_2)
	v_mul_hi_u32 v11, v8, v9
	v_mul_hi_u32 v9, v10, v9
	s_delay_alu instid0(VALU_DEP_2) | instskip(NEXT) | instid1(VALU_DEP_2)
	v_mul_lo_u32 v11, v11, s3
	v_mul_lo_u32 v9, v9, s3
	s_delay_alu instid0(VALU_DEP_2) | instskip(NEXT) | instid1(VALU_DEP_2)
	v_sub_nc_u32_e32 v11, v8, v11
	v_sub_nc_u32_e32 v10, v10, v9
	s_delay_alu instid0(VALU_DEP_2) | instskip(SKIP_1) | instid1(VALU_DEP_2)
	v_subrev_nc_u32_e32 v12, s3, v11
	v_cmp_le_u32_e32 vcc_lo, s3, v11
	v_cndmask_b32_e32 v11, v11, v12, vcc_lo
	s_delay_alu instid0(VALU_DEP_4) | instskip(NEXT) | instid1(VALU_DEP_2)
	v_cmp_le_u32_e32 vcc_lo, s3, v10
	v_subrev_nc_u32_e32 v12, s3, v11
	s_waitcnt vmcnt(0)
	v_mul_lo_u32 v3, v3, s13
	v_mul_lo_u32 v13, v2, s1
	v_mad_u64_u32 v[8:9], null, v2, s13, 0
	v_subrev_nc_u32_e32 v2, s3, v10
	s_mov_b32 s1, 0
	s_delay_alu instid0(SALU_CYCLE_1) | instskip(SKIP_1) | instid1(VALU_DEP_1)
	s_lshl_b64 s[6:7], s[0:1], 1
	s_lshr_b32 s0, s0, 1
	v_cndmask_b32_e32 v10, v10, v2, vcc_lo
	s_delay_alu instid0(VALU_DEP_3) | instskip(SKIP_1) | instid1(VALU_DEP_3)
	v_add3_u32 v9, v9, v13, v3
	v_cmp_le_u32_e32 vcc_lo, s3, v11
	v_subrev_nc_u32_e32 v13, s3, v10
	s_delay_alu instid0(VALU_DEP_3) | instskip(SKIP_2) | instid1(VALU_DEP_2)
	v_lshlrev_b64 v[2:3], 1, v[8:9]
	v_cndmask_b32_e32 v8, v11, v12, vcc_lo
	v_cmp_le_u32_e32 vcc_lo, s3, v10
	v_dual_cndmask_b32 v9, v10, v13 :: v_dual_and_b32 v12, -2, v8
	s_delay_alu instid0(VALU_DEP_4) | instskip(SKIP_1) | instid1(VALU_DEP_3)
	v_add_co_u32 v10, vcc_lo, s4, v2
	v_add_co_ci_u32_e32 v11, vcc_lo, s5, v3, vcc_lo
	v_and_b32_e32 v14, -2, v9
	s_delay_alu instid0(VALU_DEP_3) | instskip(NEXT) | instid1(VALU_DEP_3)
	v_add_co_u32 v8, vcc_lo, v10, s6
	v_add_co_ci_u32_e32 v13, vcc_lo, s7, v11, vcc_lo
	s_delay_alu instid0(VALU_DEP_2) | instskip(NEXT) | instid1(VALU_DEP_2)
	v_add_co_u32 v2, vcc_lo, v8, v12
	v_add_co_ci_u32_e32 v3, vcc_lo, 0, v13, vcc_lo
	v_add_co_u32 v8, vcc_lo, v8, v14
	v_add_co_ci_u32_e32 v9, vcc_lo, 0, v13, vcc_lo
	s_clause 0x1
	global_load_u16 v13, v[2:3], off
	global_load_u16 v15, v[8:9], off
	v_add_co_u32 v2, vcc_lo, v10, v12
	v_add_co_ci_u32_e32 v3, vcc_lo, 0, v11, vcc_lo
	v_add_co_u32 v8, vcc_lo, v10, v14
	v_add_co_ci_u32_e32 v9, vcc_lo, 0, v11, vcc_lo
	s_clause 0x1
	global_load_u16 v2, v[2:3], off
	global_load_u16 v3, v[8:9], off
	v_xor_b32_e32 v8, s0, v5
	; wave barrier
	s_delay_alu instid0(VALU_DEP_1) | instskip(SKIP_2) | instid1(VALU_DEP_2)
	v_cmp_gt_i32_e32 vcc_lo, 32, v8
	v_cndmask_b32_e32 v5, v5, v8, vcc_lo
	v_cmp_gt_u32_e32 vcc_lo, s0, v4
	v_lshlrev_b32_e32 v5, 2, v5
	ds_bpermute_b32 v8, v5, v6
	s_waitcnt lgkmcnt(0)
	v_cndmask_b32_e64 v4, v8, -v8, vcc_lo
	s_waitcnt vmcnt(3)
	v_cvt_f32_f16_e32 v8, v13
	s_waitcnt vmcnt(2)
	v_cvt_f32_f16_e32 v9, v15
	s_delay_alu instid0(VALU_DEP_2)
	v_mul_f32_e32 v4, v4, v8
	ds_bpermute_b32 v5, v5, v7
	s_waitcnt vmcnt(1)
	v_fma_mix_f32 v6, v6, v2, v4 op_sel_hi:[0,1,0]
	s_waitcnt lgkmcnt(0)
	v_cndmask_b32_e64 v5, v5, -v5, vcc_lo
	s_delay_alu instid0(VALU_DEP_1) | instskip(SKIP_1) | instid1(VALU_DEP_1)
	v_mul_f32_e32 v5, v5, v9
	s_waitcnt vmcnt(0)
	v_fma_mix_f32 v7, v7, v3, v5 op_sel_hi:[0,1,0]
.LBB25_3:
	s_or_b32 exec_lo, exec_lo, s2
	v_cvt_f16_f32_e32 v2, v6
	s_delay_alu instid0(VALU_DEP_2) | instskip(NEXT) | instid1(VALU_DEP_1)
	v_cvt_f16_f32_e32 v3, v7
	v_pack_b32_f16 v2, v2, v3
	global_store_b32 v[0:1], v2, off
.LBB25_4:
	s_nop 0
	s_sendmsg sendmsg(MSG_DEALLOC_VGPRS)
	s_endpgm
	.section	.rodata,"a",@progbits
	.p2align	6, 0x0
	.amdhsa_kernel _ZN12tensorrt_llm7kernels21fusedQKNormRopeKernelIN3c104HalfES3_Li64ELb0EEEvPviiifPKvS6_S6_PKlii
		.amdhsa_group_segment_fixed_size 0
		.amdhsa_private_segment_fixed_size 0
		.amdhsa_kernarg_size 320
		.amdhsa_user_sgpr_count 15
		.amdhsa_user_sgpr_dispatch_ptr 0
		.amdhsa_user_sgpr_queue_ptr 0
		.amdhsa_user_sgpr_kernarg_segment_ptr 1
		.amdhsa_user_sgpr_dispatch_id 0
		.amdhsa_user_sgpr_private_segment_size 0
		.amdhsa_wavefront_size32 1
		.amdhsa_uses_dynamic_stack 0
		.amdhsa_enable_private_segment 0
		.amdhsa_system_sgpr_workgroup_id_x 1
		.amdhsa_system_sgpr_workgroup_id_y 0
		.amdhsa_system_sgpr_workgroup_id_z 0
		.amdhsa_system_sgpr_workgroup_info 0
		.amdhsa_system_vgpr_workitem_id 0
		.amdhsa_next_free_vgpr 16
		.amdhsa_next_free_sgpr 16
		.amdhsa_reserve_vcc 1
		.amdhsa_float_round_mode_32 0
		.amdhsa_float_round_mode_16_64 0
		.amdhsa_float_denorm_mode_32 3
		.amdhsa_float_denorm_mode_16_64 3
		.amdhsa_dx10_clamp 1
		.amdhsa_ieee_mode 1
		.amdhsa_fp16_overflow 0
		.amdhsa_workgroup_processor_mode 1
		.amdhsa_memory_ordered 1
		.amdhsa_forward_progress 0
		.amdhsa_shared_vgpr_count 0
		.amdhsa_exception_fp_ieee_invalid_op 0
		.amdhsa_exception_fp_denorm_src 0
		.amdhsa_exception_fp_ieee_div_zero 0
		.amdhsa_exception_fp_ieee_overflow 0
		.amdhsa_exception_fp_ieee_underflow 0
		.amdhsa_exception_fp_ieee_inexact 0
		.amdhsa_exception_int_div_zero 0
	.end_amdhsa_kernel
	.section	.text._ZN12tensorrt_llm7kernels21fusedQKNormRopeKernelIN3c104HalfES3_Li64ELb0EEEvPviiifPKvS6_S6_PKlii,"axG",@progbits,_ZN12tensorrt_llm7kernels21fusedQKNormRopeKernelIN3c104HalfES3_Li64ELb0EEEvPviiifPKvS6_S6_PKlii,comdat
.Lfunc_end25:
	.size	_ZN12tensorrt_llm7kernels21fusedQKNormRopeKernelIN3c104HalfES3_Li64ELb0EEEvPviiifPKvS6_S6_PKlii, .Lfunc_end25-_ZN12tensorrt_llm7kernels21fusedQKNormRopeKernelIN3c104HalfES3_Li64ELb0EEEvPviiifPKvS6_S6_PKlii
                                        ; -- End function
	.section	.AMDGPU.csdata,"",@progbits
; Kernel info:
; codeLenInByte = 1360
; NumSgprs: 18
; NumVgprs: 16
; ScratchSize: 0
; MemoryBound: 0
; FloatMode: 240
; IeeeMode: 1
; LDSByteSize: 0 bytes/workgroup (compile time only)
; SGPRBlocks: 2
; VGPRBlocks: 1
; NumSGPRsForWavesPerEU: 18
; NumVGPRsForWavesPerEU: 16
; Occupancy: 16
; WaveLimiterHint : 1
; COMPUTE_PGM_RSRC2:SCRATCH_EN: 0
; COMPUTE_PGM_RSRC2:USER_SGPR: 15
; COMPUTE_PGM_RSRC2:TRAP_HANDLER: 0
; COMPUTE_PGM_RSRC2:TGID_X_EN: 1
; COMPUTE_PGM_RSRC2:TGID_Y_EN: 0
; COMPUTE_PGM_RSRC2:TGID_Z_EN: 0
; COMPUTE_PGM_RSRC2:TIDIG_COMP_CNT: 0
	.section	.text._ZN12tensorrt_llm7kernels21fusedQKNormRopeKernelIN3c104HalfES3_Li128ELb1EEEvPviiifPKvS6_S6_PKlii,"axG",@progbits,_ZN12tensorrt_llm7kernels21fusedQKNormRopeKernelIN3c104HalfES3_Li128ELb1EEEvPviiifPKvS6_S6_PKlii,comdat
	.protected	_ZN12tensorrt_llm7kernels21fusedQKNormRopeKernelIN3c104HalfES3_Li128ELb1EEEvPviiifPKvS6_S6_PKlii ; -- Begin function _ZN12tensorrt_llm7kernels21fusedQKNormRopeKernelIN3c104HalfES3_Li128ELb1EEEvPviiifPKvS6_S6_PKlii
	.globl	_ZN12tensorrt_llm7kernels21fusedQKNormRopeKernelIN3c104HalfES3_Li128ELb1EEEvPviiifPKvS6_S6_PKlii
	.p2align	8
	.type	_ZN12tensorrt_llm7kernels21fusedQKNormRopeKernelIN3c104HalfES3_Li128ELb1EEEvPviiifPKvS6_S6_PKlii,@function
_ZN12tensorrt_llm7kernels21fusedQKNormRopeKernelIN3c104HalfES3_Li128ELb1EEEvPviiifPKvS6_S6_PKlii: ; @_ZN12tensorrt_llm7kernels21fusedQKNormRopeKernelIN3c104HalfES3_Li128ELb1EEEvPviiifPKvS6_S6_PKlii
; %bb.0:
	s_clause 0x2
	s_load_b128 s[8:11], s[0:1], 0x8
	s_load_b64 s[12:13], s[0:1], 0x38
	s_load_b32 s4, s[0:1], 0x4c
	v_lshrrev_b32_e32 v3, 5, v0
	s_waitcnt lgkmcnt(0)
	s_add_i32 s2, s9, s8
	s_bfe_u32 s4, s4, 0xb0005
	s_abs_i32 s3, s2
	s_delay_alu instid0(SALU_CYCLE_1) | instskip(SKIP_1) | instid1(VALU_DEP_1)
	v_cvt_f32_u32_e32 v1, s3
	s_sub_i32 s5, 0, s3
	v_rcp_iflag_f32_e32 v1, v1
	s_waitcnt_depctr 0xfff
	v_mul_f32_e32 v1, 0x4f7ffffe, v1
	s_delay_alu instid0(VALU_DEP_1) | instskip(NEXT) | instid1(VALU_DEP_1)
	v_cvt_u32_f32_e32 v4, v1
	v_mul_lo_u32 v5, s5, v4
	v_mad_u64_u32 v[1:2], null, s15, s4, v[3:4]
	s_delay_alu instid0(VALU_DEP_2) | instskip(NEXT) | instid1(VALU_DEP_2)
	v_mul_hi_u32 v2, v4, v5
	v_sub_nc_u32_e32 v3, 0, v1
	s_delay_alu instid0(VALU_DEP_1) | instskip(NEXT) | instid1(VALU_DEP_3)
	v_max_i32_e32 v3, v1, v3
	v_add_nc_u32_e32 v2, v4, v2
	s_delay_alu instid0(VALU_DEP_1) | instskip(NEXT) | instid1(VALU_DEP_1)
	v_mul_hi_u32 v2, v3, v2
	v_mul_lo_u32 v4, v2, s3
	s_delay_alu instid0(VALU_DEP_1) | instskip(NEXT) | instid1(VALU_DEP_1)
	v_sub_nc_u32_e32 v3, v3, v4
	v_subrev_nc_u32_e32 v5, s3, v3
	v_cmp_le_u32_e32 vcc_lo, s3, v3
	s_delay_alu instid0(VALU_DEP_2) | instskip(NEXT) | instid1(VALU_DEP_1)
	v_dual_cndmask_b32 v3, v3, v5 :: v_dual_add_nc_u32 v4, 1, v2
	v_cndmask_b32_e32 v2, v2, v4, vcc_lo
	v_xor_b32_e32 v4, s2, v1
	s_delay_alu instid0(VALU_DEP_3) | instskip(NEXT) | instid1(VALU_DEP_3)
	v_cmp_le_u32_e32 vcc_lo, s3, v3
	v_add_nc_u32_e32 v5, 1, v2
	s_delay_alu instid0(VALU_DEP_3) | instskip(SKIP_1) | instid1(VALU_DEP_2)
	v_ashrrev_i32_e32 v4, 31, v4
	s_mov_b32 s3, exec_lo
	v_cndmask_b32_e32 v2, v2, v5, vcc_lo
	s_delay_alu instid0(VALU_DEP_1) | instskip(NEXT) | instid1(VALU_DEP_1)
	v_xor_b32_e32 v2, v2, v4
	v_sub_nc_u32_e32 v2, v2, v4
	s_delay_alu instid0(VALU_DEP_1)
	v_cmpx_gt_i32_e64 s12, v2
	s_cbranch_execz .LBB26_4
; %bb.1:
	v_mul_lo_u32 v3, v2, s2
	s_add_i32 s2, s2, s10
	s_delay_alu instid0(SALU_CYCLE_1) | instskip(SKIP_1) | instid1(VALU_DEP_2)
	v_mul_lo_u32 v5, v2, s2
	s_load_b64 s[2:3], s[0:1], 0x0
	v_sub_nc_u32_e32 v1, v1, v3
	s_delay_alu instid0(VALU_DEP_1) | instskip(SKIP_2) | instid1(VALU_DEP_2)
	v_cmp_gt_i32_e32 vcc_lo, s8, v1
	v_and_b32_e32 v9, 31, v0
	v_cndmask_b32_e64 v3, s8, 0, vcc_lo
	v_lshlrev_b32_e32 v4, 2, v9
	s_delay_alu instid0(VALU_DEP_2) | instskip(NEXT) | instid1(VALU_DEP_1)
	v_sub_nc_u32_e32 v0, v1, v3
	v_add3_u32 v0, v5, v3, v0
	s_delay_alu instid0(VALU_DEP_1) | instskip(NEXT) | instid1(VALU_DEP_1)
	v_lshl_or_b32 v0, v0, 7, v4
	v_ashrrev_i32_e32 v1, 31, v0
	s_delay_alu instid0(VALU_DEP_1) | instskip(SKIP_1) | instid1(VALU_DEP_1)
	v_lshlrev_b64 v[0:1], 1, v[0:1]
	s_waitcnt lgkmcnt(0)
	v_add_co_u32 v0, s2, s2, v0
	s_delay_alu instid0(VALU_DEP_1)
	v_add_co_ci_u32_e64 v1, s2, s3, v1, s2
	s_load_b256 s[0:7], s[0:1], 0x18
	global_load_b64 v[5:6], v[0:1], off
	s_waitcnt lgkmcnt(0)
	v_mov_b32_e32 v3, s0
	v_mov_b32_e32 v7, s1
	s_ashr_i32 s1, s13, 31
	s_delay_alu instid0(SALU_CYCLE_1) | instskip(NEXT) | instid1(VALU_DEP_2)
	s_lshr_b32 s0, s1, 30
	v_cndmask_b32_e32 v3, s2, v3, vcc_lo
	s_delay_alu instid0(VALU_DEP_2) | instskip(SKIP_2) | instid1(SALU_CYCLE_1)
	v_cndmask_b32_e32 v10, s3, v7, vcc_lo
	v_lshlrev_b32_e32 v8, 3, v9
	s_add_i32 s0, s13, s0
	s_ashr_i32 s0, s0, 2
	s_delay_alu instid0(VALU_DEP_1)
	v_add_co_u32 v7, vcc_lo, v3, v8
	v_add_co_ci_u32_e32 v8, vcc_lo, 0, v10, vcc_lo
	v_mbcnt_lo_u32_b32 v10, -1, 0
	global_load_b64 v[7:8], v[7:8], off
	v_xor_b32_e32 v12, 16, v10
	v_xor_b32_e32 v13, 8, v10
	s_delay_alu instid0(VALU_DEP_2) | instskip(SKIP_1) | instid1(VALU_DEP_3)
	v_cmp_gt_i32_e32 vcc_lo, 32, v12
	v_cndmask_b32_e32 v12, v10, v12, vcc_lo
	v_cmp_gt_i32_e32 vcc_lo, 32, v13
	s_delay_alu instid0(VALU_DEP_2) | instskip(NEXT) | instid1(VALU_DEP_1)
	v_dual_cndmask_b32 v13, v10, v13 :: v_dual_lshlrev_b32 v12, 2, v12
	v_lshlrev_b32_e32 v13, 2, v13
	s_waitcnt vmcnt(1)
	v_lshrrev_b32_e32 v3, 16, v5
	v_lshrrev_b32_e32 v14, 16, v6
	s_delay_alu instid0(VALU_DEP_2) | instskip(NEXT) | instid1(VALU_DEP_2)
	v_cvt_f32_f16_e32 v3, v3
	v_cvt_f32_f16_e32 v14, v14
	s_delay_alu instid0(VALU_DEP_2) | instskip(NEXT) | instid1(VALU_DEP_1)
	v_mul_f32_e32 v11, v3, v3
	v_fma_mix_f32 v11, v5, v5, v11 op_sel_hi:[1,1,0]
	s_delay_alu instid0(VALU_DEP_1) | instskip(NEXT) | instid1(VALU_DEP_1)
	v_fma_mix_f32 v11, v6, v6, v11 op_sel_hi:[1,1,0]
	v_fma_mix_f32 v11, v6, v6, v11 op_sel:[1,1,0] op_sel_hi:[1,1,0]
	ds_bpermute_b32 v12, v12, v11
	s_waitcnt lgkmcnt(0)
	v_add_f32_e32 v11, v11, v12
	ds_bpermute_b32 v12, v13, v11
	v_xor_b32_e32 v13, 4, v10
	s_delay_alu instid0(VALU_DEP_1) | instskip(SKIP_1) | instid1(VALU_DEP_1)
	v_cmp_gt_i32_e32 vcc_lo, 32, v13
	v_cndmask_b32_e32 v13, v10, v13, vcc_lo
	v_lshlrev_b32_e32 v13, 2, v13
	s_waitcnt lgkmcnt(0)
	v_add_f32_e32 v11, v11, v12
	ds_bpermute_b32 v12, v13, v11
	v_xor_b32_e32 v13, 2, v10
	s_delay_alu instid0(VALU_DEP_1) | instskip(SKIP_1) | instid1(VALU_DEP_1)
	v_cmp_gt_i32_e32 vcc_lo, 32, v13
	v_cndmask_b32_e32 v13, v10, v13, vcc_lo
	v_lshlrev_b32_e32 v13, 2, v13
	s_waitcnt lgkmcnt(0)
	v_add_f32_e32 v11, v11, v12
	ds_bpermute_b32 v12, v13, v11
	v_xor_b32_e32 v13, 1, v10
	s_delay_alu instid0(VALU_DEP_1)
	v_cmp_gt_i32_e32 vcc_lo, 32, v13
	v_cndmask_b32_e32 v10, v10, v13, vcc_lo
	s_waitcnt vmcnt(0)
	v_lshrrev_b32_e32 v13, 16, v8
	v_cvt_f32_f16_e32 v8, v8
	s_waitcnt lgkmcnt(0)
	v_dual_add_f32 v11, v11, v12 :: v_dual_lshlrev_b32 v10, 2, v10
	v_mov_b32_e32 v12, s11
	ds_bpermute_b32 v10, v10, v11
	s_waitcnt lgkmcnt(0)
	v_add_f32_e32 v10, v11, v10
	s_delay_alu instid0(VALU_DEP_1) | instskip(NEXT) | instid1(VALU_DEP_1)
	v_fmamk_f32 v10, v10, 0x3c000000, v12
	v_cmp_gt_f32_e32 vcc_lo, 0x800000, v10
	v_mul_f32_e32 v11, 0x4b800000, v10
	s_delay_alu instid0(VALU_DEP_1) | instskip(SKIP_2) | instid1(VALU_DEP_3)
	v_cndmask_b32_e32 v10, v10, v11, vcc_lo
	v_lshrrev_b32_e32 v11, 16, v7
	v_cvt_f32_f16_e32 v7, v7
	v_rsq_f32_e32 v10, v10
	s_delay_alu instid0(VALU_DEP_2) | instskip(SKIP_2) | instid1(VALU_DEP_1)
	v_cvt_f32_f16_e32 v11, v11
	s_waitcnt_depctr 0xfff
	v_mul_f32_e32 v12, 0x45800000, v10
	v_cndmask_b32_e32 v10, v10, v12, vcc_lo
	v_cvt_f32_f16_e32 v12, v13
	v_cvt_f32_f16_e32 v13, v6
	;; [unrolled: 1-line block ×3, first 2 shown]
	v_cmp_gt_i32_e32 vcc_lo, s0, v9
	v_mul_f32_e32 v5, v10, v11
	v_mul_f32_e32 v7, v10, v7
	;; [unrolled: 1-line block ×3, first 2 shown]
	s_delay_alu instid0(VALU_DEP_3) | instskip(NEXT) | instid1(VALU_DEP_3)
	v_dual_mul_f32 v8, v10, v8 :: v_dual_mul_f32 v5, v5, v3
	v_mul_f32_e32 v7, v7, v6
	s_delay_alu instid0(VALU_DEP_3) | instskip(NEXT) | instid1(VALU_DEP_3)
	v_mul_f32_e32 v6, v11, v14
	v_mul_f32_e32 v8, v8, v13
	s_and_saveexec_b32 s0, vcc_lo
	s_cbranch_execz .LBB26_3
; %bb.2:
	v_ashrrev_i32_e32 v3, 31, v2
	s_delay_alu instid0(VALU_DEP_1) | instskip(NEXT) | instid1(VALU_DEP_1)
	v_lshlrev_b64 v[2:3], 3, v[2:3]
	v_add_co_u32 v2, vcc_lo, s6, v2
	s_delay_alu instid0(VALU_DEP_2)
	v_add_co_ci_u32_e32 v3, vcc_lo, s7, v3, vcc_lo
	global_load_b64 v[2:3], v[2:3], off
	s_waitcnt vmcnt(0)
	v_mul_lo_u32 v3, v3, s13
	v_mul_lo_u32 v11, v2, s1
	v_mad_u64_u32 v[9:10], null, v2, s13, 0
	s_lshr_b32 s1, s13, 31
	s_delay_alu instid0(SALU_CYCLE_1) | instskip(NEXT) | instid1(SALU_CYCLE_1)
	s_add_i32 s1, s13, s1
	s_ashr_i32 s2, s1, 1
	s_delay_alu instid0(VALU_DEP_1) | instskip(SKIP_1) | instid1(SALU_CYCLE_1)
	v_add3_u32 v10, v10, v11, v3
	s_ashr_i32 s3, s2, 31
	s_lshl_b64 s[2:3], s[2:3], 1
	s_delay_alu instid0(VALU_DEP_1) | instskip(NEXT) | instid1(VALU_DEP_1)
	v_lshlrev_b64 v[2:3], 1, v[9:10]
	v_add_co_u32 v2, vcc_lo, s4, v2
	s_delay_alu instid0(VALU_DEP_2) | instskip(NEXT) | instid1(VALU_DEP_2)
	v_add_co_ci_u32_e32 v3, vcc_lo, s5, v3, vcc_lo
	v_add_co_u32 v2, vcc_lo, v2, v4
	s_delay_alu instid0(VALU_DEP_2) | instskip(NEXT) | instid1(VALU_DEP_2)
	v_add_co_ci_u32_e32 v3, vcc_lo, 0, v3, vcc_lo
	v_add_co_u32 v9, vcc_lo, v2, s2
	s_delay_alu instid0(VALU_DEP_2)
	v_add_co_ci_u32_e32 v10, vcc_lo, s3, v3, vcc_lo
	s_clause 0x1
	global_load_b32 v4, v[9:10], off
	global_load_b32 v2, v[2:3], off
	s_waitcnt vmcnt(1)
	v_lshrrev_b32_e32 v3, 16, v4
	s_waitcnt vmcnt(0)
	v_lshrrev_b32_e32 v9, 16, v2
	v_cvt_f32_f16_e32 v10, v2
	s_delay_alu instid0(VALU_DEP_3) | instskip(NEXT) | instid1(VALU_DEP_3)
	v_cvt_f32_f16_e32 v3, v3
	v_cvt_f32_f16_e32 v9, v9
	s_delay_alu instid0(VALU_DEP_3) | instskip(NEXT) | instid1(VALU_DEP_3)
	v_mul_f32_e32 v11, v5, v10
	v_mul_f32_e32 v3, v6, v3
	s_delay_alu instid0(VALU_DEP_3) | instskip(NEXT) | instid1(VALU_DEP_2)
	v_mul_f32_e32 v6, v6, v9
	v_fma_mix_f32 v2, v8, v2, -v3 op_sel:[0,1,0] op_sel_hi:[0,1,0]
	v_mul_f32_e32 v9, v7, v10
	v_fma_mix_f32 v10, v7, v4, v11 op_sel_hi:[0,1,0]
	s_delay_alu instid0(VALU_DEP_4) | instskip(NEXT) | instid1(VALU_DEP_4)
	v_fma_mix_f32 v6, v8, v4, v6 op_sel:[0,1,0] op_sel_hi:[0,1,0]
	v_mov_b32_e32 v8, v2
	s_delay_alu instid0(VALU_DEP_4) | instskip(NEXT) | instid1(VALU_DEP_4)
	v_fma_mix_f32 v7, -v5, v4, v9 op_sel_hi:[0,1,0]
	v_mov_b32_e32 v5, v10
.LBB26_3:
	s_or_b32 exec_lo, exec_lo, s0
	s_delay_alu instid0(VALU_DEP_2) | instskip(SKIP_3) | instid1(VALU_DEP_2)
	v_cvt_f16_f32_e32 v2, v7
	v_cvt_f16_f32_e32 v3, v8
	;; [unrolled: 1-line block ×4, first 2 shown]
	v_pack_b32_f16 v3, v3, v4
	s_delay_alu instid0(VALU_DEP_2)
	v_pack_b32_f16 v2, v2, v5
	global_store_b64 v[0:1], v[2:3], off
.LBB26_4:
	s_nop 0
	s_sendmsg sendmsg(MSG_DEALLOC_VGPRS)
	s_endpgm
	.section	.rodata,"a",@progbits
	.p2align	6, 0x0
	.amdhsa_kernel _ZN12tensorrt_llm7kernels21fusedQKNormRopeKernelIN3c104HalfES3_Li128ELb1EEEvPviiifPKvS6_S6_PKlii
		.amdhsa_group_segment_fixed_size 0
		.amdhsa_private_segment_fixed_size 0
		.amdhsa_kernarg_size 320
		.amdhsa_user_sgpr_count 15
		.amdhsa_user_sgpr_dispatch_ptr 0
		.amdhsa_user_sgpr_queue_ptr 0
		.amdhsa_user_sgpr_kernarg_segment_ptr 1
		.amdhsa_user_sgpr_dispatch_id 0
		.amdhsa_user_sgpr_private_segment_size 0
		.amdhsa_wavefront_size32 1
		.amdhsa_uses_dynamic_stack 0
		.amdhsa_enable_private_segment 0
		.amdhsa_system_sgpr_workgroup_id_x 1
		.amdhsa_system_sgpr_workgroup_id_y 0
		.amdhsa_system_sgpr_workgroup_id_z 0
		.amdhsa_system_sgpr_workgroup_info 0
		.amdhsa_system_vgpr_workitem_id 0
		.amdhsa_next_free_vgpr 15
		.amdhsa_next_free_sgpr 16
		.amdhsa_reserve_vcc 1
		.amdhsa_float_round_mode_32 0
		.amdhsa_float_round_mode_16_64 0
		.amdhsa_float_denorm_mode_32 3
		.amdhsa_float_denorm_mode_16_64 3
		.amdhsa_dx10_clamp 1
		.amdhsa_ieee_mode 1
		.amdhsa_fp16_overflow 0
		.amdhsa_workgroup_processor_mode 1
		.amdhsa_memory_ordered 1
		.amdhsa_forward_progress 0
		.amdhsa_shared_vgpr_count 0
		.amdhsa_exception_fp_ieee_invalid_op 0
		.amdhsa_exception_fp_denorm_src 0
		.amdhsa_exception_fp_ieee_div_zero 0
		.amdhsa_exception_fp_ieee_overflow 0
		.amdhsa_exception_fp_ieee_underflow 0
		.amdhsa_exception_fp_ieee_inexact 0
		.amdhsa_exception_int_div_zero 0
	.end_amdhsa_kernel
	.section	.text._ZN12tensorrt_llm7kernels21fusedQKNormRopeKernelIN3c104HalfES3_Li128ELb1EEEvPviiifPKvS6_S6_PKlii,"axG",@progbits,_ZN12tensorrt_llm7kernels21fusedQKNormRopeKernelIN3c104HalfES3_Li128ELb1EEEvPviiifPKvS6_S6_PKlii,comdat
.Lfunc_end26:
	.size	_ZN12tensorrt_llm7kernels21fusedQKNormRopeKernelIN3c104HalfES3_Li128ELb1EEEvPviiifPKvS6_S6_PKlii, .Lfunc_end26-_ZN12tensorrt_llm7kernels21fusedQKNormRopeKernelIN3c104HalfES3_Li128ELb1EEEvPviiifPKvS6_S6_PKlii
                                        ; -- End function
	.section	.AMDGPU.csdata,"",@progbits
; Kernel info:
; codeLenInByte = 1212
; NumSgprs: 18
; NumVgprs: 15
; ScratchSize: 0
; MemoryBound: 0
; FloatMode: 240
; IeeeMode: 1
; LDSByteSize: 0 bytes/workgroup (compile time only)
; SGPRBlocks: 2
; VGPRBlocks: 1
; NumSGPRsForWavesPerEU: 18
; NumVGPRsForWavesPerEU: 15
; Occupancy: 16
; WaveLimiterHint : 1
; COMPUTE_PGM_RSRC2:SCRATCH_EN: 0
; COMPUTE_PGM_RSRC2:USER_SGPR: 15
; COMPUTE_PGM_RSRC2:TRAP_HANDLER: 0
; COMPUTE_PGM_RSRC2:TGID_X_EN: 1
; COMPUTE_PGM_RSRC2:TGID_Y_EN: 0
; COMPUTE_PGM_RSRC2:TGID_Z_EN: 0
; COMPUTE_PGM_RSRC2:TIDIG_COMP_CNT: 0
	.section	.text._ZN12tensorrt_llm7kernels21fusedQKNormRopeKernelIN3c104HalfES3_Li128ELb0EEEvPviiifPKvS6_S6_PKlii,"axG",@progbits,_ZN12tensorrt_llm7kernels21fusedQKNormRopeKernelIN3c104HalfES3_Li128ELb0EEEvPviiifPKvS6_S6_PKlii,comdat
	.protected	_ZN12tensorrt_llm7kernels21fusedQKNormRopeKernelIN3c104HalfES3_Li128ELb0EEEvPviiifPKvS6_S6_PKlii ; -- Begin function _ZN12tensorrt_llm7kernels21fusedQKNormRopeKernelIN3c104HalfES3_Li128ELb0EEEvPviiifPKvS6_S6_PKlii
	.globl	_ZN12tensorrt_llm7kernels21fusedQKNormRopeKernelIN3c104HalfES3_Li128ELb0EEEvPviiifPKvS6_S6_PKlii
	.p2align	8
	.type	_ZN12tensorrt_llm7kernels21fusedQKNormRopeKernelIN3c104HalfES3_Li128ELb0EEEvPviiifPKvS6_S6_PKlii,@function
_ZN12tensorrt_llm7kernels21fusedQKNormRopeKernelIN3c104HalfES3_Li128ELb0EEEvPviiifPKvS6_S6_PKlii: ; @_ZN12tensorrt_llm7kernels21fusedQKNormRopeKernelIN3c104HalfES3_Li128ELb0EEEvPviiifPKvS6_S6_PKlii
; %bb.0:
	s_clause 0x2
	s_load_b128 s[8:11], s[0:1], 0x8
	s_load_b64 s[12:13], s[0:1], 0x38
	s_load_b32 s4, s[0:1], 0x4c
	v_lshrrev_b32_e32 v3, 5, v0
	s_waitcnt lgkmcnt(0)
	s_add_i32 s2, s9, s8
	s_bfe_u32 s4, s4, 0xb0005
	s_abs_i32 s3, s2
	s_delay_alu instid0(SALU_CYCLE_1) | instskip(SKIP_1) | instid1(VALU_DEP_1)
	v_cvt_f32_u32_e32 v1, s3
	s_sub_i32 s5, 0, s3
	v_rcp_iflag_f32_e32 v1, v1
	s_waitcnt_depctr 0xfff
	v_mul_f32_e32 v1, 0x4f7ffffe, v1
	s_delay_alu instid0(VALU_DEP_1) | instskip(NEXT) | instid1(VALU_DEP_1)
	v_cvt_u32_f32_e32 v4, v1
	v_mul_lo_u32 v5, s5, v4
	v_mad_u64_u32 v[1:2], null, s15, s4, v[3:4]
	s_delay_alu instid0(VALU_DEP_2) | instskip(NEXT) | instid1(VALU_DEP_2)
	v_mul_hi_u32 v2, v4, v5
	v_sub_nc_u32_e32 v3, 0, v1
	s_delay_alu instid0(VALU_DEP_1) | instskip(NEXT) | instid1(VALU_DEP_3)
	v_max_i32_e32 v3, v1, v3
	v_add_nc_u32_e32 v2, v4, v2
	s_delay_alu instid0(VALU_DEP_1) | instskip(NEXT) | instid1(VALU_DEP_1)
	v_mul_hi_u32 v2, v3, v2
	v_mul_lo_u32 v4, v2, s3
	s_delay_alu instid0(VALU_DEP_1) | instskip(NEXT) | instid1(VALU_DEP_1)
	v_sub_nc_u32_e32 v3, v3, v4
	v_subrev_nc_u32_e32 v5, s3, v3
	v_cmp_le_u32_e32 vcc_lo, s3, v3
	s_delay_alu instid0(VALU_DEP_2) | instskip(NEXT) | instid1(VALU_DEP_1)
	v_dual_cndmask_b32 v3, v3, v5 :: v_dual_add_nc_u32 v4, 1, v2
	v_cndmask_b32_e32 v2, v2, v4, vcc_lo
	v_xor_b32_e32 v4, s2, v1
	s_delay_alu instid0(VALU_DEP_3) | instskip(NEXT) | instid1(VALU_DEP_3)
	v_cmp_le_u32_e32 vcc_lo, s3, v3
	v_add_nc_u32_e32 v5, 1, v2
	s_delay_alu instid0(VALU_DEP_3) | instskip(SKIP_1) | instid1(VALU_DEP_2)
	v_ashrrev_i32_e32 v4, 31, v4
	s_mov_b32 s3, exec_lo
	v_cndmask_b32_e32 v2, v2, v5, vcc_lo
	s_delay_alu instid0(VALU_DEP_1) | instskip(NEXT) | instid1(VALU_DEP_1)
	v_xor_b32_e32 v2, v2, v4
	v_sub_nc_u32_e32 v2, v2, v4
	s_delay_alu instid0(VALU_DEP_1)
	v_cmpx_gt_i32_e64 s12, v2
	s_cbranch_execz .LBB27_4
; %bb.1:
	v_mul_lo_u32 v3, v2, s2
	s_add_i32 s2, s2, s10
	v_and_b32_e32 v4, 31, v0
	v_mul_lo_u32 v5, v2, s2
	s_load_b64 s[2:3], s[0:1], 0x0
	s_delay_alu instid0(VALU_DEP_3) | instskip(NEXT) | instid1(VALU_DEP_1)
	v_sub_nc_u32_e32 v1, v1, v3
	v_cmp_gt_i32_e32 vcc_lo, s8, v1
	v_cndmask_b32_e64 v3, s8, 0, vcc_lo
	s_delay_alu instid0(VALU_DEP_1) | instskip(SKIP_1) | instid1(VALU_DEP_2)
	v_sub_nc_u32_e32 v0, v1, v3
	v_lshlrev_b32_e32 v1, 2, v4
	v_add3_u32 v0, v5, v3, v0
	s_delay_alu instid0(VALU_DEP_1) | instskip(NEXT) | instid1(VALU_DEP_1)
	v_lshl_or_b32 v0, v0, 7, v1
	v_ashrrev_i32_e32 v1, 31, v0
	s_delay_alu instid0(VALU_DEP_1) | instskip(SKIP_1) | instid1(VALU_DEP_1)
	v_lshlrev_b64 v[0:1], 1, v[0:1]
	s_waitcnt lgkmcnt(0)
	v_add_co_u32 v0, s2, s2, v0
	s_delay_alu instid0(VALU_DEP_1)
	v_add_co_ci_u32_e64 v1, s2, s3, v1, s2
	s_load_b256 s[0:7], s[0:1], 0x18
	global_load_b64 v[6:7], v[0:1], off
	s_waitcnt lgkmcnt(0)
	v_mov_b32_e32 v3, s0
	v_dual_mov_b32 v5, s1 :: v_dual_lshlrev_b32 v10, 3, v4
	s_ashr_i32 s1, s13, 31
	s_delay_alu instid0(VALU_DEP_2) | instskip(NEXT) | instid1(VALU_DEP_2)
	v_cndmask_b32_e32 v3, s2, v3, vcc_lo
	v_cndmask_b32_e32 v5, s3, v5, vcc_lo
	s_lshr_b32 s0, s1, 30
	s_delay_alu instid0(SALU_CYCLE_1) | instskip(NEXT) | instid1(VALU_DEP_2)
	s_add_i32 s0, s13, s0
	v_add_co_u32 v8, vcc_lo, v3, v10
	s_delay_alu instid0(VALU_DEP_2)
	v_add_co_ci_u32_e32 v9, vcc_lo, 0, v5, vcc_lo
	v_mbcnt_lo_u32_b32 v5, -1, 0
	s_ashr_i32 s0, s0, 2
	global_load_b64 v[8:9], v[8:9], off
	v_xor_b32_e32 v12, 16, v5
	v_xor_b32_e32 v13, 8, v5
	s_delay_alu instid0(VALU_DEP_2) | instskip(SKIP_1) | instid1(VALU_DEP_3)
	v_cmp_gt_i32_e32 vcc_lo, 32, v12
	v_cndmask_b32_e32 v12, v5, v12, vcc_lo
	v_cmp_gt_i32_e32 vcc_lo, 32, v13
	s_delay_alu instid0(VALU_DEP_2) | instskip(SKIP_3) | instid1(VALU_DEP_2)
	v_dual_cndmask_b32 v13, v5, v13 :: v_dual_lshlrev_b32 v12, 2, v12
	s_waitcnt vmcnt(1)
	v_lshrrev_b32_e32 v3, 16, v6
	v_lshrrev_b32_e32 v15, 16, v7
	v_cvt_f32_f16_e32 v3, v3
	s_delay_alu instid0(VALU_DEP_2) | instskip(SKIP_1) | instid1(VALU_DEP_3)
	v_cvt_f32_f16_e32 v15, v15
	v_lshlrev_b32_e32 v13, 2, v13
	v_mul_f32_e32 v11, v3, v3
	s_delay_alu instid0(VALU_DEP_1) | instskip(SKIP_1) | instid1(VALU_DEP_2)
	v_fma_mix_f32 v11, v6, v6, v11 op_sel_hi:[1,1,0]
	v_cvt_f32_f16_e32 v6, v6
	v_fma_mix_f32 v11, v7, v7, v11 op_sel_hi:[1,1,0]
	s_delay_alu instid0(VALU_DEP_1)
	v_fma_mix_f32 v11, v7, v7, v11 op_sel:[1,1,0] op_sel_hi:[1,1,0]
	ds_bpermute_b32 v12, v12, v11
	s_waitcnt lgkmcnt(0)
	v_add_f32_e32 v11, v11, v12
	ds_bpermute_b32 v12, v13, v11
	v_xor_b32_e32 v13, 4, v5
	s_delay_alu instid0(VALU_DEP_1) | instskip(SKIP_1) | instid1(VALU_DEP_1)
	v_cmp_gt_i32_e32 vcc_lo, 32, v13
	v_cndmask_b32_e32 v13, v5, v13, vcc_lo
	v_lshlrev_b32_e32 v13, 2, v13
	s_waitcnt lgkmcnt(0)
	v_add_f32_e32 v11, v11, v12
	ds_bpermute_b32 v12, v13, v11
	v_xor_b32_e32 v13, 2, v5
	s_delay_alu instid0(VALU_DEP_1) | instskip(SKIP_1) | instid1(VALU_DEP_1)
	v_cmp_gt_i32_e32 vcc_lo, 32, v13
	v_cndmask_b32_e32 v13, v5, v13, vcc_lo
	v_lshlrev_b32_e32 v13, 2, v13
	;; [unrolled: 8-line block ×3, first 2 shown]
	s_waitcnt lgkmcnt(0)
	v_add_f32_e32 v11, v11, v12
	ds_bpermute_b32 v12, v13, v11
	v_mov_b32_e32 v13, s11
	s_waitcnt lgkmcnt(0)
	v_add_f32_e32 v11, v11, v12
	s_delay_alu instid0(VALU_DEP_1) | instskip(SKIP_3) | instid1(VALU_DEP_3)
	v_fmamk_f32 v11, v11, 0x3c000000, v13
	s_waitcnt vmcnt(0)
	v_lshrrev_b32_e32 v13, 16, v9
	v_cvt_f32_f16_e32 v9, v9
	v_mul_f32_e32 v12, 0x4b800000, v11
	v_cmp_gt_f32_e32 vcc_lo, 0x800000, v11
	s_delay_alu instid0(VALU_DEP_4) | instskip(NEXT) | instid1(VALU_DEP_3)
	v_cvt_f32_f16_e32 v13, v13
	v_cndmask_b32_e32 v11, v11, v12, vcc_lo
	v_lshrrev_b32_e32 v12, 16, v8
	v_cvt_f32_f16_e32 v8, v8
	s_delay_alu instid0(VALU_DEP_3) | instskip(NEXT) | instid1(VALU_DEP_2)
	v_rsq_f32_e32 v11, v11
	v_cvt_f32_f16_e32 v12, v12
	s_waitcnt_depctr 0xfff
	v_mul_f32_e32 v14, 0x45800000, v11
	s_delay_alu instid0(VALU_DEP_1) | instskip(SKIP_2) | instid1(VALU_DEP_3)
	v_cndmask_b32_e32 v11, v11, v14, vcc_lo
	v_cvt_f32_f16_e32 v14, v7
	v_cmp_gt_i32_e32 vcc_lo, s0, v4
	v_mul_f32_e32 v7, v11, v8
	v_mul_f32_e32 v8, v11, v12
	;; [unrolled: 1-line block ×4, first 2 shown]
	s_delay_alu instid0(VALU_DEP_3) | instskip(NEXT) | instid1(VALU_DEP_2)
	v_dual_mul_f32 v7, v7, v6 :: v_dual_mul_f32 v6, v8, v3
	v_dual_mul_f32 v8, v9, v14 :: v_dual_mul_f32 v9, v11, v15
	s_and_saveexec_b32 s0, vcc_lo
	s_cbranch_execz .LBB27_3
; %bb.2:
	v_ashrrev_i32_e32 v3, 31, v2
	v_or_b32_e32 v13, 4, v10
	v_or_b32_e32 v14, 6, v10
	s_delay_alu instid0(VALU_DEP_3) | instskip(NEXT) | instid1(VALU_DEP_1)
	v_lshlrev_b64 v[2:3], 3, v[2:3]
	v_add_co_u32 v2, vcc_lo, s6, v2
	s_delay_alu instid0(VALU_DEP_2) | instskip(SKIP_1) | instid1(SALU_CYCLE_1)
	v_add_co_ci_u32_e32 v3, vcc_lo, s7, v3, vcc_lo
	s_abs_i32 s6, s13
	v_cvt_f32_u32_e32 v11, s6
	global_load_b64 v[2:3], v[2:3], off
	s_sub_i32 s2, 0, s6
	; wave barrier
	v_rcp_iflag_f32_e32 v11, v11
	s_waitcnt_depctr 0xfff
	v_mul_f32_e32 v11, 0x4f7ffffe, v11
	s_delay_alu instid0(VALU_DEP_1) | instskip(NEXT) | instid1(VALU_DEP_1)
	v_cvt_u32_f32_e32 v11, v11
	v_mul_lo_u32 v12, s2, v11
	s_lshr_b32 s2, s13, 31
	s_delay_alu instid0(SALU_CYCLE_1) | instskip(NEXT) | instid1(SALU_CYCLE_1)
	s_add_i32 s2, s13, s2
	s_ashr_i32 s2, s2, 1
	s_delay_alu instid0(SALU_CYCLE_1) | instskip(NEXT) | instid1(VALU_DEP_1)
	s_ashr_i32 s3, s2, 31
	v_mul_hi_u32 v12, v11, v12
	s_lshl_b64 s[2:3], s[2:3], 1
	s_delay_alu instid0(VALU_DEP_1) | instskip(SKIP_1) | instid1(VALU_DEP_2)
	v_add_nc_u32_e32 v11, v11, v12
	v_or_b32_e32 v12, 2, v10
	v_mul_hi_u32 v15, v10, v11
	s_delay_alu instid0(VALU_DEP_2) | instskip(SKIP_2) | instid1(VALU_DEP_4)
	v_mul_hi_u32 v16, v12, v11
	v_mul_hi_u32 v17, v13, v11
	;; [unrolled: 1-line block ×3, first 2 shown]
	v_mul_lo_u32 v15, v15, s6
	s_delay_alu instid0(VALU_DEP_4) | instskip(NEXT) | instid1(VALU_DEP_4)
	v_mul_lo_u32 v16, v16, s6
	v_mul_lo_u32 v17, v17, s6
	s_delay_alu instid0(VALU_DEP_4) | instskip(NEXT) | instid1(VALU_DEP_4)
	v_mul_lo_u32 v11, v11, s6
	v_sub_nc_u32_e32 v10, v10, v15
	s_delay_alu instid0(VALU_DEP_4) | instskip(NEXT) | instid1(VALU_DEP_4)
	v_sub_nc_u32_e32 v12, v12, v16
	v_sub_nc_u32_e32 v13, v13, v17
	s_delay_alu instid0(VALU_DEP_4) | instskip(NEXT) | instid1(VALU_DEP_4)
	v_sub_nc_u32_e32 v11, v14, v11
	v_subrev_nc_u32_e32 v14, s6, v10
	v_cmp_le_u32_e32 vcc_lo, s6, v10
	v_subrev_nc_u32_e32 v15, s6, v12
	v_subrev_nc_u32_e32 v16, s6, v13
	;; [unrolled: 1-line block ×3, first 2 shown]
	v_cndmask_b32_e32 v14, v10, v14, vcc_lo
	v_cmp_le_u32_e32 vcc_lo, s6, v12
	v_cndmask_b32_e32 v12, v12, v15, vcc_lo
	v_cmp_le_u32_e32 vcc_lo, s6, v13
	;; [unrolled: 2-line block ×4, first 2 shown]
	v_subrev_nc_u32_e32 v17, s6, v12
	s_waitcnt vmcnt(0)
	v_mul_lo_u32 v16, v2, s1
	v_mad_u64_u32 v[10:11], null, v2, s13, 0
	v_subrev_nc_u32_e32 v2, s6, v14
	v_mul_lo_u32 v3, v3, s13
	s_lshr_b32 s1, s1, 29
	s_delay_alu instid0(SALU_CYCLE_1) | instskip(NEXT) | instid1(VALU_DEP_2)
	s_add_i32 s1, s13, s1
	v_cndmask_b32_e32 v14, v14, v2, vcc_lo
	v_cmp_le_u32_e32 vcc_lo, s6, v12
	v_subrev_nc_u32_e32 v18, s6, v13
	s_ashr_i32 s1, s1, 3
	s_delay_alu instid0(VALU_DEP_4) | instskip(SKIP_2) | instid1(VALU_DEP_3)
	v_add3_u32 v11, v11, v16, v3
	v_cndmask_b32_e32 v12, v12, v17, vcc_lo
	v_cmp_le_u32_e32 vcc_lo, s6, v13
	v_lshlrev_b64 v[2:3], 1, v[10:11]
	v_and_b32_e32 v11, -2, v14
	s_delay_alu instid0(VALU_DEP_4) | instskip(SKIP_2) | instid1(VALU_DEP_3)
	v_dual_cndmask_b32 v13, v13, v18 :: v_dual_and_b32 v18, -2, v12
	v_subrev_nc_u32_e32 v19, s6, v15
	v_cmp_le_u32_e32 vcc_lo, s6, v15
	v_and_b32_e32 v20, -2, v13
	s_delay_alu instid0(VALU_DEP_3) | instskip(SKIP_2) | instid1(VALU_DEP_3)
	v_cndmask_b32_e32 v10, v15, v19, vcc_lo
	v_add_co_u32 v21, vcc_lo, s4, v2
	v_add_co_ci_u32_e32 v22, vcc_lo, s5, v3, vcc_lo
	v_and_b32_e32 v23, -2, v10
	s_delay_alu instid0(VALU_DEP_3) | instskip(NEXT) | instid1(VALU_DEP_3)
	v_add_co_u32 v16, vcc_lo, v21, s2
	v_add_co_ci_u32_e32 v17, vcc_lo, s3, v22, vcc_lo
	v_add_co_u32 v2, vcc_lo, v21, v11
	v_add_co_ci_u32_e32 v3, vcc_lo, 0, v22, vcc_lo
	s_delay_alu instid0(VALU_DEP_4) | instskip(NEXT) | instid1(VALU_DEP_4)
	v_add_co_u32 v10, vcc_lo, v16, v11
	v_add_co_ci_u32_e32 v11, vcc_lo, 0, v17, vcc_lo
	v_add_co_u32 v12, vcc_lo, v16, v18
	v_add_co_ci_u32_e32 v13, vcc_lo, 0, v17, vcc_lo
	;; [unrolled: 2-line block ×4, first 2 shown]
	v_add_co_u32 v18, vcc_lo, v21, v18
	s_clause 0x3
	global_load_u16 v24, v[10:11], off
	global_load_u16 v25, v[12:13], off
	;; [unrolled: 1-line block ×4, first 2 shown]
	v_add_co_ci_u32_e32 v19, vcc_lo, 0, v22, vcc_lo
	v_add_co_u32 v10, vcc_lo, v21, v20
	v_add_co_ci_u32_e32 v11, vcc_lo, 0, v22, vcc_lo
	v_add_co_u32 v12, vcc_lo, v21, v23
	v_add_co_ci_u32_e32 v13, vcc_lo, 0, v22, vcc_lo
	s_clause 0x3
	global_load_u16 v2, v[2:3], off
	global_load_u16 v3, v[18:19], off
	;; [unrolled: 1-line block ×4, first 2 shown]
	v_xor_b32_e32 v12, s1, v5
	; wave barrier
	s_delay_alu instid0(VALU_DEP_1) | instskip(SKIP_2) | instid1(VALU_DEP_2)
	v_cmp_gt_i32_e32 vcc_lo, 32, v12
	v_cndmask_b32_e32 v5, v5, v12, vcc_lo
	v_cmp_gt_i32_e32 vcc_lo, s1, v4
	v_lshlrev_b32_e32 v5, 2, v5
	ds_bpermute_b32 v12, v5, v7
	ds_bpermute_b32 v13, v5, v6
	;; [unrolled: 1-line block ×4, first 2 shown]
	s_waitcnt lgkmcnt(3)
	v_cndmask_b32_e64 v4, v12, -v12, vcc_lo
	s_waitcnt lgkmcnt(2)
	v_cndmask_b32_e64 v12, v13, -v13, vcc_lo
	;; [unrolled: 2-line block ×4, first 2 shown]
	s_waitcnt vmcnt(7)
	v_cvt_f32_f16_e32 v16, v24
	s_waitcnt vmcnt(6)
	v_cvt_f32_f16_e32 v17, v25
	;; [unrolled: 2-line block ×4, first 2 shown]
	v_mul_f32_e32 v4, v4, v16
	s_delay_alu instid0(VALU_DEP_3) | instskip(NEXT) | instid1(VALU_DEP_3)
	v_dual_mul_f32 v12, v12, v17 :: v_dual_mul_f32 v13, v13, v14
	v_mul_f32_e32 v5, v5, v15
	s_waitcnt vmcnt(3)
	s_delay_alu instid0(VALU_DEP_3)
	v_fma_mix_f32 v7, v7, v2, v4 op_sel_hi:[0,1,0]
	s_waitcnt vmcnt(2)
	v_fma_mix_f32 v6, v6, v3, v12 op_sel_hi:[0,1,0]
	s_waitcnt vmcnt(1)
	v_fma_mix_f32 v8, v8, v10, v13 op_sel_hi:[0,1,0]
	s_waitcnt vmcnt(0)
	v_fma_mix_f32 v9, v9, v11, v5 op_sel_hi:[0,1,0]
.LBB27_3:
	s_or_b32 exec_lo, exec_lo, s0
	v_cvt_f16_f32_e32 v2, v7
	v_cvt_f16_f32_e32 v3, v8
	s_delay_alu instid0(VALU_DEP_3) | instskip(SKIP_1) | instid1(VALU_DEP_2)
	v_cvt_f16_f32_e32 v4, v9
	v_cvt_f16_f32_e32 v5, v6
	v_pack_b32_f16 v3, v3, v4
	s_delay_alu instid0(VALU_DEP_2)
	v_pack_b32_f16 v2, v2, v5
	global_store_b64 v[0:1], v[2:3], off
.LBB27_4:
	s_nop 0
	s_sendmsg sendmsg(MSG_DEALLOC_VGPRS)
	s_endpgm
	.section	.rodata,"a",@progbits
	.p2align	6, 0x0
	.amdhsa_kernel _ZN12tensorrt_llm7kernels21fusedQKNormRopeKernelIN3c104HalfES3_Li128ELb0EEEvPviiifPKvS6_S6_PKlii
		.amdhsa_group_segment_fixed_size 0
		.amdhsa_private_segment_fixed_size 0
		.amdhsa_kernarg_size 320
		.amdhsa_user_sgpr_count 15
		.amdhsa_user_sgpr_dispatch_ptr 0
		.amdhsa_user_sgpr_queue_ptr 0
		.amdhsa_user_sgpr_kernarg_segment_ptr 1
		.amdhsa_user_sgpr_dispatch_id 0
		.amdhsa_user_sgpr_private_segment_size 0
		.amdhsa_wavefront_size32 1
		.amdhsa_uses_dynamic_stack 0
		.amdhsa_enable_private_segment 0
		.amdhsa_system_sgpr_workgroup_id_x 1
		.amdhsa_system_sgpr_workgroup_id_y 0
		.amdhsa_system_sgpr_workgroup_id_z 0
		.amdhsa_system_sgpr_workgroup_info 0
		.amdhsa_system_vgpr_workitem_id 0
		.amdhsa_next_free_vgpr 26
		.amdhsa_next_free_sgpr 16
		.amdhsa_reserve_vcc 1
		.amdhsa_float_round_mode_32 0
		.amdhsa_float_round_mode_16_64 0
		.amdhsa_float_denorm_mode_32 3
		.amdhsa_float_denorm_mode_16_64 3
		.amdhsa_dx10_clamp 1
		.amdhsa_ieee_mode 1
		.amdhsa_fp16_overflow 0
		.amdhsa_workgroup_processor_mode 1
		.amdhsa_memory_ordered 1
		.amdhsa_forward_progress 0
		.amdhsa_shared_vgpr_count 0
		.amdhsa_exception_fp_ieee_invalid_op 0
		.amdhsa_exception_fp_denorm_src 0
		.amdhsa_exception_fp_ieee_div_zero 0
		.amdhsa_exception_fp_ieee_overflow 0
		.amdhsa_exception_fp_ieee_underflow 0
		.amdhsa_exception_fp_ieee_inexact 0
		.amdhsa_exception_int_div_zero 0
	.end_amdhsa_kernel
	.section	.text._ZN12tensorrt_llm7kernels21fusedQKNormRopeKernelIN3c104HalfES3_Li128ELb0EEEvPviiifPKvS6_S6_PKlii,"axG",@progbits,_ZN12tensorrt_llm7kernels21fusedQKNormRopeKernelIN3c104HalfES3_Li128ELb0EEEvPviiifPKvS6_S6_PKlii,comdat
.Lfunc_end27:
	.size	_ZN12tensorrt_llm7kernels21fusedQKNormRopeKernelIN3c104HalfES3_Li128ELb0EEEvPviiifPKvS6_S6_PKlii, .Lfunc_end27-_ZN12tensorrt_llm7kernels21fusedQKNormRopeKernelIN3c104HalfES3_Li128ELb0EEEvPviiifPKvS6_S6_PKlii
                                        ; -- End function
	.section	.AMDGPU.csdata,"",@progbits
; Kernel info:
; codeLenInByte = 1752
; NumSgprs: 18
; NumVgprs: 26
; ScratchSize: 0
; MemoryBound: 0
; FloatMode: 240
; IeeeMode: 1
; LDSByteSize: 0 bytes/workgroup (compile time only)
; SGPRBlocks: 2
; VGPRBlocks: 3
; NumSGPRsForWavesPerEU: 18
; NumVGPRsForWavesPerEU: 26
; Occupancy: 16
; WaveLimiterHint : 1
; COMPUTE_PGM_RSRC2:SCRATCH_EN: 0
; COMPUTE_PGM_RSRC2:USER_SGPR: 15
; COMPUTE_PGM_RSRC2:TRAP_HANDLER: 0
; COMPUTE_PGM_RSRC2:TGID_X_EN: 1
; COMPUTE_PGM_RSRC2:TGID_Y_EN: 0
; COMPUTE_PGM_RSRC2:TGID_Z_EN: 0
; COMPUTE_PGM_RSRC2:TIDIG_COMP_CNT: 0
	.section	.text._ZN12tensorrt_llm7kernels21fusedQKNormRopeKernelIN3c104HalfES3_Li256ELb1EEEvPviiifPKvS6_S6_PKlii,"axG",@progbits,_ZN12tensorrt_llm7kernels21fusedQKNormRopeKernelIN3c104HalfES3_Li256ELb1EEEvPviiifPKvS6_S6_PKlii,comdat
	.protected	_ZN12tensorrt_llm7kernels21fusedQKNormRopeKernelIN3c104HalfES3_Li256ELb1EEEvPviiifPKvS6_S6_PKlii ; -- Begin function _ZN12tensorrt_llm7kernels21fusedQKNormRopeKernelIN3c104HalfES3_Li256ELb1EEEvPviiifPKvS6_S6_PKlii
	.globl	_ZN12tensorrt_llm7kernels21fusedQKNormRopeKernelIN3c104HalfES3_Li256ELb1EEEvPviiifPKvS6_S6_PKlii
	.p2align	8
	.type	_ZN12tensorrt_llm7kernels21fusedQKNormRopeKernelIN3c104HalfES3_Li256ELb1EEEvPviiifPKvS6_S6_PKlii,@function
_ZN12tensorrt_llm7kernels21fusedQKNormRopeKernelIN3c104HalfES3_Li256ELb1EEEvPviiifPKvS6_S6_PKlii: ; @_ZN12tensorrt_llm7kernels21fusedQKNormRopeKernelIN3c104HalfES3_Li256ELb1EEEvPviiifPKvS6_S6_PKlii
; %bb.0:
	s_clause 0x2
	s_load_b128 s[8:11], s[0:1], 0x8
	s_load_b64 s[12:13], s[0:1], 0x38
	s_load_b32 s4, s[0:1], 0x4c
	v_lshrrev_b32_e32 v3, 5, v0
	s_waitcnt lgkmcnt(0)
	s_add_i32 s2, s9, s8
	s_bfe_u32 s4, s4, 0xb0005
	s_abs_i32 s3, s2
	s_delay_alu instid0(SALU_CYCLE_1) | instskip(SKIP_1) | instid1(VALU_DEP_1)
	v_cvt_f32_u32_e32 v1, s3
	s_sub_i32 s5, 0, s3
	v_rcp_iflag_f32_e32 v1, v1
	s_waitcnt_depctr 0xfff
	v_mul_f32_e32 v1, 0x4f7ffffe, v1
	s_delay_alu instid0(VALU_DEP_1) | instskip(NEXT) | instid1(VALU_DEP_1)
	v_cvt_u32_f32_e32 v4, v1
	v_mul_lo_u32 v5, s5, v4
	v_mad_u64_u32 v[1:2], null, s15, s4, v[3:4]
	s_delay_alu instid0(VALU_DEP_2) | instskip(NEXT) | instid1(VALU_DEP_2)
	v_mul_hi_u32 v2, v4, v5
	v_sub_nc_u32_e32 v3, 0, v1
	s_delay_alu instid0(VALU_DEP_1) | instskip(NEXT) | instid1(VALU_DEP_3)
	v_max_i32_e32 v3, v1, v3
	v_add_nc_u32_e32 v2, v4, v2
	s_delay_alu instid0(VALU_DEP_1) | instskip(NEXT) | instid1(VALU_DEP_1)
	v_mul_hi_u32 v2, v3, v2
	v_mul_lo_u32 v4, v2, s3
	s_delay_alu instid0(VALU_DEP_1) | instskip(NEXT) | instid1(VALU_DEP_1)
	v_sub_nc_u32_e32 v3, v3, v4
	v_subrev_nc_u32_e32 v5, s3, v3
	v_cmp_le_u32_e32 vcc_lo, s3, v3
	s_delay_alu instid0(VALU_DEP_2) | instskip(NEXT) | instid1(VALU_DEP_1)
	v_dual_cndmask_b32 v3, v3, v5 :: v_dual_add_nc_u32 v4, 1, v2
	v_cndmask_b32_e32 v2, v2, v4, vcc_lo
	v_xor_b32_e32 v4, s2, v1
	s_delay_alu instid0(VALU_DEP_3) | instskip(NEXT) | instid1(VALU_DEP_3)
	v_cmp_le_u32_e32 vcc_lo, s3, v3
	v_add_nc_u32_e32 v5, 1, v2
	s_delay_alu instid0(VALU_DEP_3) | instskip(SKIP_1) | instid1(VALU_DEP_2)
	v_ashrrev_i32_e32 v4, 31, v4
	s_mov_b32 s3, exec_lo
	v_cndmask_b32_e32 v2, v2, v5, vcc_lo
	s_delay_alu instid0(VALU_DEP_1) | instskip(NEXT) | instid1(VALU_DEP_1)
	v_xor_b32_e32 v2, v2, v4
	v_sub_nc_u32_e32 v2, v2, v4
	s_delay_alu instid0(VALU_DEP_1)
	v_cmpx_gt_i32_e64 s12, v2
	s_cbranch_execz .LBB28_4
; %bb.1:
	v_mul_lo_u32 v3, v2, s2
	s_add_i32 s2, s2, s10
	v_and_b32_e32 v13, 31, v0
	v_mul_lo_u32 v5, v2, s2
	s_load_b64 s[2:3], s[0:1], 0x0
	v_mbcnt_lo_u32_b32 v15, -1, 0
	s_delay_alu instid0(VALU_DEP_3) | instskip(SKIP_2) | instid1(VALU_DEP_4)
	v_lshlrev_b32_e32 v4, 3, v13
	v_sub_nc_u32_e32 v1, v1, v3
	v_lshlrev_b32_e32 v10, 4, v13
	v_xor_b32_e32 v16, 16, v15
	v_xor_b32_e32 v17, 8, v15
	s_delay_alu instid0(VALU_DEP_4) | instskip(SKIP_1) | instid1(VALU_DEP_1)
	v_cmp_gt_i32_e32 vcc_lo, s8, v1
	v_cndmask_b32_e64 v3, s8, 0, vcc_lo
	v_sub_nc_u32_e32 v0, v1, v3
	s_delay_alu instid0(VALU_DEP_1) | instskip(NEXT) | instid1(VALU_DEP_1)
	v_add3_u32 v0, v5, v3, v0
	v_lshl_or_b32 v0, v0, 8, v4
	s_delay_alu instid0(VALU_DEP_1) | instskip(NEXT) | instid1(VALU_DEP_1)
	v_ashrrev_i32_e32 v1, 31, v0
	v_lshlrev_b64 v[0:1], 1, v[0:1]
	s_waitcnt lgkmcnt(0)
	s_delay_alu instid0(VALU_DEP_1) | instskip(NEXT) | instid1(VALU_DEP_1)
	v_add_co_u32 v0, s2, s2, v0
	v_add_co_ci_u32_e64 v1, s2, s3, v1, s2
	s_load_b256 s[0:7], s[0:1], 0x18
	global_load_b128 v[5:8], v[0:1], off
	s_waitcnt lgkmcnt(0)
	v_mov_b32_e32 v3, s0
	v_mov_b32_e32 v9, s1
	s_ashr_i32 s1, s13, 31
	s_delay_alu instid0(SALU_CYCLE_1) | instskip(NEXT) | instid1(VALU_DEP_2)
	s_lshr_b32 s0, s1, 29
	v_cndmask_b32_e32 v3, s2, v3, vcc_lo
	s_delay_alu instid0(VALU_DEP_2) | instskip(SKIP_1) | instid1(SALU_CYCLE_1)
	v_cndmask_b32_e32 v11, s3, v9, vcc_lo
	s_add_i32 s0, s13, s0
	s_ashr_i32 s0, s0, 3
	s_delay_alu instid0(VALU_DEP_2) | instskip(NEXT) | instid1(VALU_DEP_2)
	v_add_co_u32 v9, vcc_lo, v3, v10
	v_add_co_ci_u32_e32 v10, vcc_lo, 0, v11, vcc_lo
	v_cmp_gt_i32_e32 vcc_lo, 32, v16
	global_load_b128 v[9:12], v[9:10], off
	v_cndmask_b32_e32 v16, v15, v16, vcc_lo
	v_cmp_gt_i32_e32 vcc_lo, 32, v17
	v_cndmask_b32_e32 v17, v15, v17, vcc_lo
	s_delay_alu instid0(VALU_DEP_1) | instskip(NEXT) | instid1(VALU_DEP_4)
	v_lshlrev_b32_e32 v17, 2, v17
	v_lshlrev_b32_e32 v16, 2, v16
	s_waitcnt vmcnt(1)
	v_lshrrev_b32_e32 v3, 16, v5
	v_cvt_f32_f16_e32 v22, v6
	v_cvt_f32_f16_e32 v21, v5
	v_cvt_f32_f16_e32 v19, v8
	s_delay_alu instid0(VALU_DEP_4) | instskip(NEXT) | instid1(VALU_DEP_1)
	v_cvt_f32_f16_e32 v3, v3
	v_mul_f32_e32 v14, v3, v3
	s_delay_alu instid0(VALU_DEP_1) | instskip(SKIP_1) | instid1(VALU_DEP_2)
	v_fma_mix_f32 v14, v5, v5, v14 op_sel_hi:[1,1,0]
	v_lshrrev_b32_e32 v5, 16, v6
	v_fma_mix_f32 v14, v6, v6, v14 op_sel_hi:[1,1,0]
	s_delay_alu instid0(VALU_DEP_1) | instskip(SKIP_1) | instid1(VALU_DEP_2)
	v_fma_mix_f32 v14, v6, v6, v14 op_sel:[1,1,0] op_sel_hi:[1,1,0]
	v_lshrrev_b32_e32 v6, 16, v7
	v_fma_mix_f32 v14, v7, v7, v14 op_sel_hi:[1,1,0]
	s_delay_alu instid0(VALU_DEP_2) | instskip(SKIP_2) | instid1(VALU_DEP_3)
	v_cvt_f32_f16_e32 v23, v6
	s_waitcnt vmcnt(0)
	v_lshrrev_b32_e32 v18, 16, v12
	v_fma_mix_f32 v14, v7, v7, v14 op_sel:[1,1,0] op_sel_hi:[1,1,0]
	v_cvt_f32_f16_e32 v12, v12
	s_delay_alu instid0(VALU_DEP_3) | instskip(NEXT) | instid1(VALU_DEP_3)
	v_cvt_f32_f16_e32 v18, v18
	v_fma_mix_f32 v14, v8, v8, v14 op_sel_hi:[1,1,0]
	s_delay_alu instid0(VALU_DEP_1)
	v_fma_mix_f32 v14, v8, v8, v14 op_sel:[1,1,0] op_sel_hi:[1,1,0]
	v_lshrrev_b32_e32 v8, 16, v8
	ds_bpermute_b32 v16, v16, v14
	v_cvt_f32_f16_e32 v8, v8
	s_waitcnt lgkmcnt(0)
	v_add_f32_e32 v14, v14, v16
	ds_bpermute_b32 v16, v17, v14
	v_xor_b32_e32 v17, 4, v15
	s_delay_alu instid0(VALU_DEP_1) | instskip(SKIP_2) | instid1(VALU_DEP_1)
	v_cmp_gt_i32_e32 vcc_lo, 32, v17
	s_waitcnt lgkmcnt(0)
	v_dual_add_f32 v14, v14, v16 :: v_dual_cndmask_b32 v17, v15, v17
	v_lshlrev_b32_e32 v17, 2, v17
	ds_bpermute_b32 v16, v17, v14
	v_xor_b32_e32 v17, 2, v15
	s_delay_alu instid0(VALU_DEP_1) | instskip(SKIP_2) | instid1(VALU_DEP_1)
	v_cmp_gt_i32_e32 vcc_lo, 32, v17
	v_cndmask_b32_e32 v17, v15, v17, vcc_lo
	s_waitcnt lgkmcnt(0)
	v_dual_add_f32 v14, v14, v16 :: v_dual_lshlrev_b32 v17, 2, v17
	ds_bpermute_b32 v16, v17, v14
	v_xor_b32_e32 v17, 1, v15
	s_delay_alu instid0(VALU_DEP_1)
	v_cmp_gt_i32_e32 vcc_lo, 32, v17
	s_waitcnt lgkmcnt(0)
	v_add_f32_e32 v14, v14, v16
	v_dual_mov_b32 v16, s11 :: v_dual_cndmask_b32 v15, v15, v17
	v_lshrrev_b32_e32 v17, 16, v11
	v_cvt_f32_f16_e32 v11, v11
	s_delay_alu instid0(VALU_DEP_3) | instskip(NEXT) | instid1(VALU_DEP_3)
	v_lshlrev_b32_e32 v15, 2, v15
	v_cvt_f32_f16_e32 v17, v17
	ds_bpermute_b32 v15, v15, v14
	s_waitcnt lgkmcnt(0)
	v_add_f32_e32 v14, v14, v15
	s_delay_alu instid0(VALU_DEP_1) | instskip(SKIP_2) | instid1(VALU_DEP_3)
	v_fmamk_f32 v14, v14, 0x3b800000, v16
	v_lshrrev_b32_e32 v16, 16, v9
	v_cvt_f32_f16_e32 v9, v9
	v_cmp_gt_f32_e32 vcc_lo, 0x800000, v14
	v_mul_f32_e32 v15, 0x4b800000, v14
	s_delay_alu instid0(VALU_DEP_4) | instskip(NEXT) | instid1(VALU_DEP_2)
	v_cvt_f32_f16_e32 v16, v16
	v_cndmask_b32_e32 v14, v14, v15, vcc_lo
	v_lshrrev_b32_e32 v15, 16, v10
	v_cvt_f32_f16_e32 v10, v10
	s_delay_alu instid0(VALU_DEP_3) | instskip(NEXT) | instid1(VALU_DEP_2)
	v_rsq_f32_e32 v14, v14
	v_cvt_f32_f16_e32 v15, v15
	s_waitcnt_depctr 0xfff
	v_mul_f32_e32 v20, 0x45800000, v14
	s_delay_alu instid0(VALU_DEP_1) | instskip(SKIP_3) | instid1(VALU_DEP_4)
	v_cndmask_b32_e32 v14, v14, v20, vcc_lo
	v_cvt_f32_f16_e32 v20, v7
	v_cvt_f32_f16_e32 v7, v5
	v_cmp_gt_i32_e32 vcc_lo, s0, v13
	v_mul_f32_e32 v5, v14, v16
	v_mul_f32_e32 v6, v14, v9
	v_mul_f32_e32 v11, v14, v11
	v_mul_f32_e32 v9, v14, v10
	v_mul_f32_e32 v10, v14, v15
	v_mul_f32_e32 v15, v14, v17
	v_dual_mul_f32 v16, v14, v12 :: v_dual_mul_f32 v5, v5, v3
	v_mul_f32_e32 v12, v6, v21
	s_delay_alu instid0(VALU_DEP_4) | instskip(NEXT) | instid1(VALU_DEP_4)
	v_mul_f32_e32 v6, v10, v7
	v_dual_mul_f32 v7, v15, v23 :: v_dual_mul_f32 v14, v14, v18
	s_delay_alu instid0(VALU_DEP_4) | instskip(NEXT) | instid1(VALU_DEP_2)
	v_dual_mul_f32 v10, v11, v20 :: v_dual_mul_f32 v11, v16, v19
	v_dual_mul_f32 v9, v9, v22 :: v_dual_mul_f32 v8, v14, v8
	s_and_saveexec_b32 s0, vcc_lo
	s_cbranch_execz .LBB28_3
; %bb.2:
	v_ashrrev_i32_e32 v3, 31, v2
	s_delay_alu instid0(VALU_DEP_1) | instskip(NEXT) | instid1(VALU_DEP_1)
	v_lshlrev_b64 v[2:3], 3, v[2:3]
	v_add_co_u32 v2, vcc_lo, s6, v2
	s_delay_alu instid0(VALU_DEP_2)
	v_add_co_ci_u32_e32 v3, vcc_lo, s7, v3, vcc_lo
	global_load_b64 v[2:3], v[2:3], off
	s_waitcnt vmcnt(0)
	v_mul_lo_u32 v3, v3, s13
	v_mul_lo_u32 v15, v2, s1
	v_mad_u64_u32 v[13:14], null, v2, s13, 0
	s_lshr_b32 s1, s13, 31
	s_delay_alu instid0(SALU_CYCLE_1) | instskip(NEXT) | instid1(SALU_CYCLE_1)
	s_add_i32 s1, s13, s1
	s_ashr_i32 s2, s1, 1
	s_delay_alu instid0(VALU_DEP_1) | instskip(SKIP_1) | instid1(SALU_CYCLE_1)
	v_add3_u32 v14, v14, v15, v3
	s_ashr_i32 s3, s2, 31
	s_lshl_b64 s[2:3], s[2:3], 1
	s_delay_alu instid0(VALU_DEP_1) | instskip(NEXT) | instid1(VALU_DEP_1)
	v_lshlrev_b64 v[2:3], 1, v[13:14]
	v_add_co_u32 v2, vcc_lo, s4, v2
	s_delay_alu instid0(VALU_DEP_2) | instskip(NEXT) | instid1(VALU_DEP_2)
	v_add_co_ci_u32_e32 v3, vcc_lo, s5, v3, vcc_lo
	v_add_co_u32 v2, vcc_lo, v2, v4
	s_delay_alu instid0(VALU_DEP_2) | instskip(NEXT) | instid1(VALU_DEP_2)
	v_add_co_ci_u32_e32 v3, vcc_lo, 0, v3, vcc_lo
	v_add_co_u32 v13, vcc_lo, v2, s2
	s_delay_alu instid0(VALU_DEP_2)
	v_add_co_ci_u32_e32 v14, vcc_lo, s3, v3, vcc_lo
	s_clause 0x1
	global_load_b64 v[2:3], v[2:3], off
	global_load_b64 v[13:14], v[13:14], off
	s_waitcnt vmcnt(1)
	v_lshrrev_b32_e32 v4, 16, v2
	v_cvt_f32_f16_e32 v15, v2
	v_lshrrev_b32_e32 v16, 16, v3
	v_cvt_f32_f16_e32 v17, v3
	s_waitcnt vmcnt(0)
	v_lshrrev_b32_e32 v18, 16, v13
	v_lshrrev_b32_e32 v19, 16, v14
	v_mul_f32_e32 v20, v12, v15
	v_cvt_f32_f16_e32 v4, v4
	v_mul_f32_e32 v17, v7, v17
	v_mul_f32_e32 v15, v5, v15
	v_cvt_f32_f16_e32 v21, v14
	v_cvt_f32_f16_e32 v16, v16
	v_mul_f32_e32 v4, v6, v4
	s_delay_alu instid0(VALU_DEP_4) | instskip(SKIP_4) | instid1(VALU_DEP_3)
	v_fma_mix_f32 v15, v12, v13, v15 op_sel_hi:[0,1,0]
	v_cvt_f32_f16_e32 v12, v18
	v_cvt_f32_f16_e32 v18, v19
	v_dual_mul_f32 v19, v7, v21 :: v_dual_mul_f32 v16, v8, v16
	v_fma_mix_f32 v7, v10, v14, v17 op_sel_hi:[0,1,0]
	v_dual_mul_f32 v17, v6, v12 :: v_dual_mul_f32 v8, v8, v18
	v_fma_mix_f32 v6, v9, v13, v4 op_sel:[0,1,0] op_sel_hi:[0,1,0]
	v_fma_mix_f32 v12, -v5, v13, v20 op_sel_hi:[0,1,0]
	v_fma_mix_f32 v10, v10, v3, -v19 op_sel_hi:[0,1,0]
	s_delay_alu instid0(VALU_DEP_4) | instskip(SKIP_3) | instid1(VALU_DEP_3)
	v_fma_mix_f32 v9, v9, v2, -v17 op_sel:[0,1,0] op_sel_hi:[0,1,0]
	v_fma_mix_f32 v2, v11, v3, -v8 op_sel:[0,1,0] op_sel_hi:[0,1,0]
	v_fma_mix_f32 v8, v11, v14, v16 op_sel:[0,1,0] op_sel_hi:[0,1,0]
	v_mov_b32_e32 v5, v15
	v_mov_b32_e32 v11, v2
.LBB28_3:
	s_or_b32 exec_lo, exec_lo, s0
	v_cvt_f16_f32_e32 v2, v12
	v_cvt_f16_f32_e32 v3, v9
	;; [unrolled: 1-line block ×8, first 2 shown]
	s_delay_alu instid0(VALU_DEP_4) | instskip(NEXT) | instid1(VALU_DEP_4)
	v_pack_b32_f16 v5, v9, v8
	v_pack_b32_f16 v4, v4, v7
	s_delay_alu instid0(VALU_DEP_4) | instskip(NEXT) | instid1(VALU_DEP_4)
	v_pack_b32_f16 v3, v3, v6
	v_pack_b32_f16 v2, v2, v10
	global_store_b128 v[0:1], v[2:5], off
.LBB28_4:
	s_nop 0
	s_sendmsg sendmsg(MSG_DEALLOC_VGPRS)
	s_endpgm
	.section	.rodata,"a",@progbits
	.p2align	6, 0x0
	.amdhsa_kernel _ZN12tensorrt_llm7kernels21fusedQKNormRopeKernelIN3c104HalfES3_Li256ELb1EEEvPviiifPKvS6_S6_PKlii
		.amdhsa_group_segment_fixed_size 0
		.amdhsa_private_segment_fixed_size 0
		.amdhsa_kernarg_size 320
		.amdhsa_user_sgpr_count 15
		.amdhsa_user_sgpr_dispatch_ptr 0
		.amdhsa_user_sgpr_queue_ptr 0
		.amdhsa_user_sgpr_kernarg_segment_ptr 1
		.amdhsa_user_sgpr_dispatch_id 0
		.amdhsa_user_sgpr_private_segment_size 0
		.amdhsa_wavefront_size32 1
		.amdhsa_uses_dynamic_stack 0
		.amdhsa_enable_private_segment 0
		.amdhsa_system_sgpr_workgroup_id_x 1
		.amdhsa_system_sgpr_workgroup_id_y 0
		.amdhsa_system_sgpr_workgroup_id_z 0
		.amdhsa_system_sgpr_workgroup_info 0
		.amdhsa_system_vgpr_workitem_id 0
		.amdhsa_next_free_vgpr 24
		.amdhsa_next_free_sgpr 16
		.amdhsa_reserve_vcc 1
		.amdhsa_float_round_mode_32 0
		.amdhsa_float_round_mode_16_64 0
		.amdhsa_float_denorm_mode_32 3
		.amdhsa_float_denorm_mode_16_64 3
		.amdhsa_dx10_clamp 1
		.amdhsa_ieee_mode 1
		.amdhsa_fp16_overflow 0
		.amdhsa_workgroup_processor_mode 1
		.amdhsa_memory_ordered 1
		.amdhsa_forward_progress 0
		.amdhsa_shared_vgpr_count 0
		.amdhsa_exception_fp_ieee_invalid_op 0
		.amdhsa_exception_fp_denorm_src 0
		.amdhsa_exception_fp_ieee_div_zero 0
		.amdhsa_exception_fp_ieee_overflow 0
		.amdhsa_exception_fp_ieee_underflow 0
		.amdhsa_exception_fp_ieee_inexact 0
		.amdhsa_exception_int_div_zero 0
	.end_amdhsa_kernel
	.section	.text._ZN12tensorrt_llm7kernels21fusedQKNormRopeKernelIN3c104HalfES3_Li256ELb1EEEvPviiifPKvS6_S6_PKlii,"axG",@progbits,_ZN12tensorrt_llm7kernels21fusedQKNormRopeKernelIN3c104HalfES3_Li256ELb1EEEvPviiifPKvS6_S6_PKlii,comdat
.Lfunc_end28:
	.size	_ZN12tensorrt_llm7kernels21fusedQKNormRopeKernelIN3c104HalfES3_Li256ELb1EEEvPviiifPKvS6_S6_PKlii, .Lfunc_end28-_ZN12tensorrt_llm7kernels21fusedQKNormRopeKernelIN3c104HalfES3_Li256ELb1EEEvPviiifPKvS6_S6_PKlii
                                        ; -- End function
	.section	.AMDGPU.csdata,"",@progbits
; Kernel info:
; codeLenInByte = 1428
; NumSgprs: 18
; NumVgprs: 24
; ScratchSize: 0
; MemoryBound: 0
; FloatMode: 240
; IeeeMode: 1
; LDSByteSize: 0 bytes/workgroup (compile time only)
; SGPRBlocks: 2
; VGPRBlocks: 2
; NumSGPRsForWavesPerEU: 18
; NumVGPRsForWavesPerEU: 24
; Occupancy: 16
; WaveLimiterHint : 1
; COMPUTE_PGM_RSRC2:SCRATCH_EN: 0
; COMPUTE_PGM_RSRC2:USER_SGPR: 15
; COMPUTE_PGM_RSRC2:TRAP_HANDLER: 0
; COMPUTE_PGM_RSRC2:TGID_X_EN: 1
; COMPUTE_PGM_RSRC2:TGID_Y_EN: 0
; COMPUTE_PGM_RSRC2:TGID_Z_EN: 0
; COMPUTE_PGM_RSRC2:TIDIG_COMP_CNT: 0
	.section	.text._ZN12tensorrt_llm7kernels21fusedQKNormRopeKernelIN3c104HalfES3_Li256ELb0EEEvPviiifPKvS6_S6_PKlii,"axG",@progbits,_ZN12tensorrt_llm7kernels21fusedQKNormRopeKernelIN3c104HalfES3_Li256ELb0EEEvPviiifPKvS6_S6_PKlii,comdat
	.protected	_ZN12tensorrt_llm7kernels21fusedQKNormRopeKernelIN3c104HalfES3_Li256ELb0EEEvPviiifPKvS6_S6_PKlii ; -- Begin function _ZN12tensorrt_llm7kernels21fusedQKNormRopeKernelIN3c104HalfES3_Li256ELb0EEEvPviiifPKvS6_S6_PKlii
	.globl	_ZN12tensorrt_llm7kernels21fusedQKNormRopeKernelIN3c104HalfES3_Li256ELb0EEEvPviiifPKvS6_S6_PKlii
	.p2align	8
	.type	_ZN12tensorrt_llm7kernels21fusedQKNormRopeKernelIN3c104HalfES3_Li256ELb0EEEvPviiifPKvS6_S6_PKlii,@function
_ZN12tensorrt_llm7kernels21fusedQKNormRopeKernelIN3c104HalfES3_Li256ELb0EEEvPviiifPKvS6_S6_PKlii: ; @_ZN12tensorrt_llm7kernels21fusedQKNormRopeKernelIN3c104HalfES3_Li256ELb0EEEvPviiifPKvS6_S6_PKlii
; %bb.0:
	s_clause 0x2
	s_load_b128 s[8:11], s[0:1], 0x8
	s_load_b64 s[12:13], s[0:1], 0x38
	s_load_b32 s4, s[0:1], 0x4c
	v_lshrrev_b32_e32 v3, 5, v0
	s_waitcnt lgkmcnt(0)
	s_add_i32 s2, s9, s8
	s_bfe_u32 s4, s4, 0xb0005
	s_abs_i32 s3, s2
	s_delay_alu instid0(SALU_CYCLE_1) | instskip(SKIP_1) | instid1(VALU_DEP_1)
	v_cvt_f32_u32_e32 v1, s3
	s_sub_i32 s5, 0, s3
	v_rcp_iflag_f32_e32 v1, v1
	s_waitcnt_depctr 0xfff
	v_mul_f32_e32 v1, 0x4f7ffffe, v1
	s_delay_alu instid0(VALU_DEP_1) | instskip(NEXT) | instid1(VALU_DEP_1)
	v_cvt_u32_f32_e32 v4, v1
	v_mul_lo_u32 v5, s5, v4
	v_mad_u64_u32 v[1:2], null, s15, s4, v[3:4]
	s_delay_alu instid0(VALU_DEP_2) | instskip(NEXT) | instid1(VALU_DEP_2)
	v_mul_hi_u32 v2, v4, v5
	v_sub_nc_u32_e32 v3, 0, v1
	s_delay_alu instid0(VALU_DEP_1) | instskip(NEXT) | instid1(VALU_DEP_3)
	v_max_i32_e32 v3, v1, v3
	v_add_nc_u32_e32 v2, v4, v2
	s_delay_alu instid0(VALU_DEP_1) | instskip(NEXT) | instid1(VALU_DEP_1)
	v_mul_hi_u32 v2, v3, v2
	v_mul_lo_u32 v4, v2, s3
	s_delay_alu instid0(VALU_DEP_1) | instskip(NEXT) | instid1(VALU_DEP_1)
	v_sub_nc_u32_e32 v3, v3, v4
	v_subrev_nc_u32_e32 v5, s3, v3
	v_cmp_le_u32_e32 vcc_lo, s3, v3
	s_delay_alu instid0(VALU_DEP_2) | instskip(NEXT) | instid1(VALU_DEP_1)
	v_dual_cndmask_b32 v3, v3, v5 :: v_dual_add_nc_u32 v4, 1, v2
	v_cndmask_b32_e32 v2, v2, v4, vcc_lo
	v_xor_b32_e32 v4, s2, v1
	s_delay_alu instid0(VALU_DEP_3) | instskip(NEXT) | instid1(VALU_DEP_3)
	v_cmp_le_u32_e32 vcc_lo, s3, v3
	v_add_nc_u32_e32 v5, 1, v2
	s_delay_alu instid0(VALU_DEP_3) | instskip(SKIP_1) | instid1(VALU_DEP_2)
	v_ashrrev_i32_e32 v4, 31, v4
	s_mov_b32 s3, exec_lo
	v_cndmask_b32_e32 v2, v2, v5, vcc_lo
	s_delay_alu instid0(VALU_DEP_1) | instskip(NEXT) | instid1(VALU_DEP_1)
	v_xor_b32_e32 v2, v2, v4
	v_sub_nc_u32_e32 v2, v2, v4
	s_delay_alu instid0(VALU_DEP_1)
	v_cmpx_gt_i32_e64 s12, v2
	s_cbranch_execz .LBB29_4
; %bb.1:
	v_mul_lo_u32 v3, v2, s2
	s_add_i32 s2, s2, s10
	v_and_b32_e32 v4, 31, v0
	v_mul_lo_u32 v5, v2, s2
	s_load_b64 s[2:3], s[0:1], 0x0
	s_delay_alu instid0(VALU_DEP_3) | instskip(NEXT) | instid1(VALU_DEP_1)
	v_sub_nc_u32_e32 v1, v1, v3
	v_cmp_gt_i32_e32 vcc_lo, s8, v1
	v_cndmask_b32_e64 v3, s8, 0, vcc_lo
	s_delay_alu instid0(VALU_DEP_1) | instskip(SKIP_1) | instid1(VALU_DEP_2)
	v_sub_nc_u32_e32 v0, v1, v3
	v_lshlrev_b32_e32 v1, 3, v4
	v_add3_u32 v0, v5, v3, v0
	s_delay_alu instid0(VALU_DEP_1) | instskip(NEXT) | instid1(VALU_DEP_1)
	v_lshl_or_b32 v0, v0, 8, v1
	v_ashrrev_i32_e32 v1, 31, v0
	s_delay_alu instid0(VALU_DEP_1) | instskip(SKIP_1) | instid1(VALU_DEP_1)
	v_lshlrev_b64 v[0:1], 1, v[0:1]
	s_waitcnt lgkmcnt(0)
	v_add_co_u32 v0, s2, s2, v0
	s_delay_alu instid0(VALU_DEP_1)
	v_add_co_ci_u32_e64 v1, s2, s3, v1, s2
	s_load_b256 s[0:7], s[0:1], 0x18
	global_load_b128 v[6:9], v[0:1], off
	s_waitcnt lgkmcnt(0)
	v_mov_b32_e32 v3, s0
	v_dual_mov_b32 v5, s1 :: v_dual_lshlrev_b32 v14, 4, v4
	s_ashr_i32 s1, s13, 31
	s_delay_alu instid0(VALU_DEP_2) | instskip(NEXT) | instid1(VALU_DEP_2)
	v_cndmask_b32_e32 v3, s2, v3, vcc_lo
	v_cndmask_b32_e32 v5, s3, v5, vcc_lo
	s_lshr_b32 s0, s1, 29
	s_delay_alu instid0(SALU_CYCLE_1) | instskip(NEXT) | instid1(VALU_DEP_2)
	s_add_i32 s0, s13, s0
	v_add_co_u32 v10, vcc_lo, v3, v14
	s_delay_alu instid0(VALU_DEP_2)
	v_add_co_ci_u32_e32 v11, vcc_lo, 0, v5, vcc_lo
	s_ashr_i32 s0, s0, 3
	global_load_b128 v[10:13], v[10:11], off
	s_waitcnt vmcnt(1)
	v_lshrrev_b32_e32 v3, 16, v6
	v_cvt_f32_f16_e32 v20, v7
	v_cvt_f32_f16_e32 v22, v8
	v_lshrrev_b32_e32 v23, 16, v9
	s_delay_alu instid0(VALU_DEP_4) | instskip(NEXT) | instid1(VALU_DEP_2)
	v_cvt_f32_f16_e32 v3, v3
	v_cvt_f32_f16_e32 v23, v23
	s_delay_alu instid0(VALU_DEP_2) | instskip(NEXT) | instid1(VALU_DEP_1)
	v_mul_f32_e32 v5, v3, v3
	v_fma_mix_f32 v5, v6, v6, v5 op_sel_hi:[1,1,0]
	v_cvt_f32_f16_e32 v6, v6
	s_delay_alu instid0(VALU_DEP_2) | instskip(NEXT) | instid1(VALU_DEP_1)
	v_fma_mix_f32 v5, v7, v7, v5 op_sel_hi:[1,1,0]
	v_fma_mix_f32 v15, v7, v7, v5 op_sel:[1,1,0] op_sel_hi:[1,1,0]
	v_mbcnt_lo_u32_b32 v5, -1, 0
	v_lshrrev_b32_e32 v7, 16, v7
	s_delay_alu instid0(VALU_DEP_3) | instskip(NEXT) | instid1(VALU_DEP_3)
	v_fma_mix_f32 v15, v8, v8, v15 op_sel_hi:[1,1,0]
	v_xor_b32_e32 v16, 16, v5
	v_xor_b32_e32 v17, 8, v5
	s_delay_alu instid0(VALU_DEP_4)
	v_cvt_f32_f16_e32 v7, v7
	s_waitcnt vmcnt(0)
	v_lshrrev_b32_e32 v18, 16, v12
	v_fma_mix_f32 v15, v8, v8, v15 op_sel:[1,1,0] op_sel_hi:[1,1,0]
	v_cmp_gt_i32_e32 vcc_lo, 32, v16
	v_cvt_f32_f16_e32 v12, v12
	v_lshrrev_b32_e32 v19, 16, v13
	v_cvt_f32_f16_e32 v13, v13
	v_fma_mix_f32 v15, v9, v9, v15 op_sel_hi:[1,1,0]
	v_cndmask_b32_e32 v16, v5, v16, vcc_lo
	v_cmp_gt_i32_e32 vcc_lo, 32, v17
	v_cvt_f32_f16_e32 v18, v18
	v_cvt_f32_f16_e32 v19, v19
	v_fma_mix_f32 v15, v9, v9, v15 op_sel:[1,1,0] op_sel_hi:[1,1,0]
	v_lshrrev_b32_e32 v8, 16, v8
	v_cndmask_b32_e32 v17, v5, v17, vcc_lo
	s_delay_alu instid0(VALU_DEP_2) | instskip(NEXT) | instid1(VALU_DEP_2)
	v_cvt_f32_f16_e32 v8, v8
	v_lshlrev_b32_e32 v17, 2, v17
	v_lshlrev_b32_e32 v16, 2, v16
	ds_bpermute_b32 v16, v16, v15
	s_waitcnt lgkmcnt(0)
	v_add_f32_e32 v15, v15, v16
	ds_bpermute_b32 v16, v17, v15
	v_xor_b32_e32 v17, 4, v5
	s_delay_alu instid0(VALU_DEP_1) | instskip(SKIP_1) | instid1(VALU_DEP_1)
	v_cmp_gt_i32_e32 vcc_lo, 32, v17
	v_cndmask_b32_e32 v17, v5, v17, vcc_lo
	v_lshlrev_b32_e32 v17, 2, v17
	s_waitcnt lgkmcnt(0)
	v_add_f32_e32 v15, v15, v16
	ds_bpermute_b32 v16, v17, v15
	v_xor_b32_e32 v17, 2, v5
	s_delay_alu instid0(VALU_DEP_1) | instskip(SKIP_1) | instid1(VALU_DEP_1)
	v_cmp_gt_i32_e32 vcc_lo, 32, v17
	v_cndmask_b32_e32 v17, v5, v17, vcc_lo
	v_lshlrev_b32_e32 v17, 2, v17
	;; [unrolled: 8-line block ×3, first 2 shown]
	s_waitcnt lgkmcnt(0)
	v_add_f32_e32 v15, v15, v16
	ds_bpermute_b32 v16, v17, v15
	v_mov_b32_e32 v17, s11
	s_waitcnt lgkmcnt(0)
	v_add_f32_e32 v15, v15, v16
	s_delay_alu instid0(VALU_DEP_1) | instskip(SKIP_2) | instid1(VALU_DEP_3)
	v_fmamk_f32 v15, v15, 0x3b800000, v17
	v_lshrrev_b32_e32 v17, 16, v10
	v_cvt_f32_f16_e32 v10, v10
	v_mul_f32_e32 v16, 0x4b800000, v15
	v_cmp_gt_f32_e32 vcc_lo, 0x800000, v15
	s_delay_alu instid0(VALU_DEP_4) | instskip(NEXT) | instid1(VALU_DEP_3)
	v_cvt_f32_f16_e32 v17, v17
	v_cndmask_b32_e32 v15, v15, v16, vcc_lo
	v_lshrrev_b32_e32 v16, 16, v11
	v_cvt_f32_f16_e32 v11, v11
	s_delay_alu instid0(VALU_DEP_3) | instskip(NEXT) | instid1(VALU_DEP_2)
	v_rsq_f32_e32 v15, v15
	v_cvt_f32_f16_e32 v16, v16
	s_waitcnt_depctr 0xfff
	v_mul_f32_e32 v21, 0x45800000, v15
	s_delay_alu instid0(VALU_DEP_1) | instskip(SKIP_2) | instid1(VALU_DEP_3)
	v_cndmask_b32_e32 v15, v15, v21, vcc_lo
	v_cvt_f32_f16_e32 v21, v9
	v_cmp_gt_i32_e32 vcc_lo, s0, v4
	v_mul_f32_e32 v9, v15, v10
	v_mul_f32_e32 v10, v15, v17
	v_mul_f32_e32 v11, v15, v11
	v_mul_f32_e32 v16, v15, v16
	v_mul_f32_e32 v12, v15, v12
	v_mul_f32_e32 v17, v15, v18
	v_mul_f32_e32 v13, v15, v13
	v_mul_f32_e32 v15, v15, v19
	v_dual_mul_f32 v9, v9, v6 :: v_dual_mul_f32 v6, v10, v3
	v_dual_mul_f32 v10, v11, v20 :: v_dual_mul_f32 v7, v16, v7
	;; [unrolled: 1-line block ×3, first 2 shown]
	s_delay_alu instid0(VALU_DEP_4)
	v_dual_mul_f32 v12, v13, v21 :: v_dual_mul_f32 v13, v15, v23
	s_and_saveexec_b32 s0, vcc_lo
	s_cbranch_execz .LBB29_3
; %bb.2:
	v_ashrrev_i32_e32 v3, 31, v2
	s_abs_i32 s2, s13
	v_or_b32_e32 v17, 2, v14
	v_cvt_f32_u32_e32 v15, s2
	s_sub_i32 s3, 0, s2
	v_lshlrev_b64 v[2:3], 3, v[2:3]
	v_or_b32_e32 v18, 4, v14
	v_or_b32_e32 v19, 6, v14
	v_rcp_iflag_f32_e32 v15, v15
	v_or_b32_e32 v20, 8, v14
	v_or_b32_e32 v21, 10, v14
	v_add_co_u32 v2, vcc_lo, s6, v2
	v_add_co_ci_u32_e32 v3, vcc_lo, s7, v3, vcc_lo
	v_or_b32_e32 v22, 12, v14
	s_waitcnt_depctr 0xfff
	v_mul_f32_e32 v15, 0x4f7ffffe, v15
	global_load_b64 v[2:3], v[2:3], off
	; wave barrier
	v_cvt_u32_f32_e32 v15, v15
	s_delay_alu instid0(VALU_DEP_1) | instskip(SKIP_1) | instid1(SALU_CYCLE_1)
	v_mul_lo_u32 v16, s3, v15
	s_lshr_b32 s3, s13, 31
	s_add_i32 s3, s13, s3
	s_delay_alu instid0(SALU_CYCLE_1) | instskip(NEXT) | instid1(SALU_CYCLE_1)
	s_ashr_i32 s6, s3, 1
	s_ashr_i32 s7, s6, 31
	s_delay_alu instid0(VALU_DEP_1) | instskip(SKIP_1) | instid1(VALU_DEP_1)
	v_mul_hi_u32 v16, v15, v16
	s_lshl_b64 s[6:7], s[6:7], 1
	v_add_nc_u32_e32 v15, v15, v16
	v_or_b32_e32 v16, 14, v14
	s_delay_alu instid0(VALU_DEP_2)
	v_mul_hi_u32 v23, v14, v15
	v_mul_hi_u32 v24, v17, v15
	;; [unrolled: 1-line block ×8, first 2 shown]
	v_mul_lo_u32 v23, v23, s2
	v_mul_lo_u32 v24, v24, s2
	v_mul_lo_u32 v25, v25, s2
	v_mul_lo_u32 v26, v26, s2
	v_mul_lo_u32 v27, v27, s2
	v_mul_lo_u32 v28, v28, s2
	v_mul_lo_u32 v29, v29, s2
	v_mul_lo_u32 v15, v15, s2
	v_sub_nc_u32_e32 v14, v14, v23
	v_sub_nc_u32_e32 v17, v17, v24
	;; [unrolled: 1-line block ×5, first 2 shown]
	v_cmp_le_u32_e32 vcc_lo, s2, v14
	v_subrev_nc_u32_e32 v23, s2, v17
	v_sub_nc_u32_e32 v15, v16, v15
	v_subrev_nc_u32_e32 v16, s2, v14
	v_subrev_nc_u32_e32 v24, s2, v18
	;; [unrolled: 1-line block ×3, first 2 shown]
	v_sub_nc_u32_e32 v21, v21, v28
	v_subrev_nc_u32_e32 v26, s2, v20
	v_cndmask_b32_e32 v14, v14, v16, vcc_lo
	v_cmp_le_u32_e32 vcc_lo, s2, v17
	v_sub_nc_u32_e32 v22, v22, v29
	v_subrev_nc_u32_e32 v27, s2, v21
	v_subrev_nc_u32_e32 v29, s2, v15
	v_cndmask_b32_e32 v16, v17, v23, vcc_lo
	v_cmp_le_u32_e32 vcc_lo, s2, v18
	v_subrev_nc_u32_e32 v28, s2, v22
	s_delay_alu instid0(VALU_DEP_3) | instskip(SKIP_4) | instid1(VALU_DEP_4)
	v_subrev_nc_u32_e32 v23, s2, v16
	v_cndmask_b32_e32 v17, v18, v24, vcc_lo
	v_cmp_le_u32_e32 vcc_lo, s2, v19
	v_cndmask_b32_e32 v18, v19, v25, vcc_lo
	v_cmp_le_u32_e32 vcc_lo, s2, v20
	v_subrev_nc_u32_e32 v24, s2, v17
	s_delay_alu instid0(VALU_DEP_3) | instskip(SKIP_4) | instid1(VALU_DEP_4)
	v_subrev_nc_u32_e32 v25, s2, v18
	v_cndmask_b32_e32 v19, v20, v26, vcc_lo
	v_cmp_le_u32_e32 vcc_lo, s2, v21
	v_cndmask_b32_e32 v20, v21, v27, vcc_lo
	v_cmp_le_u32_e32 vcc_lo, s2, v22
	v_subrev_nc_u32_e32 v26, s2, v19
	s_delay_alu instid0(VALU_DEP_3)
	v_subrev_nc_u32_e32 v27, s2, v20
	v_cndmask_b32_e32 v21, v22, v28, vcc_lo
	v_cmp_le_u32_e32 vcc_lo, s2, v15
	v_cndmask_b32_e32 v22, v15, v29, vcc_lo
	v_subrev_nc_u32_e32 v15, s2, v14
	v_cmp_le_u32_e32 vcc_lo, s2, v14
	v_subrev_nc_u32_e32 v28, s2, v21
	s_delay_alu instid0(VALU_DEP_4) | instskip(NEXT) | instid1(VALU_DEP_4)
	v_subrev_nc_u32_e32 v29, s2, v22
	v_cndmask_b32_e32 v30, v14, v15, vcc_lo
	v_cmp_le_u32_e32 vcc_lo, s2, v16
	v_cndmask_b32_e32 v16, v16, v23, vcc_lo
	v_cmp_le_u32_e32 vcc_lo, s2, v17
	;; [unrolled: 2-line block ×5, first 2 shown]
	v_and_b32_e32 v24, -2, v16
	v_and_b32_e32 v26, -2, v17
	v_cndmask_b32_e32 v20, v20, v27, vcc_lo
	v_cmp_le_u32_e32 vcc_lo, s2, v21
	v_cndmask_b32_e32 v21, v21, v28, vcc_lo
	v_cmp_le_u32_e32 vcc_lo, s2, v22
	v_and_b32_e32 v28, -2, v18
	s_delay_alu instid0(VALU_DEP_3) | instskip(SKIP_1) | instid1(VALU_DEP_1)
	v_and_b32_e32 v39, -2, v21
	v_cndmask_b32_e32 v22, v22, v29, vcc_lo
	v_and_b32_e32 v42, -2, v22
	s_waitcnt vmcnt(0)
	v_mul_lo_u32 v3, v3, s13
	v_mul_lo_u32 v23, v2, s1
	v_mad_u64_u32 v[14:15], null, v2, s13, 0
	s_lshr_b32 s1, s1, 28
	s_delay_alu instid0(SALU_CYCLE_1) | instskip(NEXT) | instid1(SALU_CYCLE_1)
	s_add_i32 s1, s13, s1
	s_ashr_i32 s1, s1, 4
	s_delay_alu instid0(VALU_DEP_1) | instskip(SKIP_3) | instid1(VALU_DEP_4)
	v_add3_u32 v15, v15, v23, v3
	v_and_b32_e32 v23, -2, v30
	v_and_b32_e32 v30, -2, v19
	;; [unrolled: 1-line block ×3, first 2 shown]
	v_lshlrev_b64 v[2:3], 1, v[14:15]
	s_delay_alu instid0(VALU_DEP_1) | instskip(NEXT) | instid1(VALU_DEP_2)
	v_add_co_u32 v40, vcc_lo, s4, v2
	v_add_co_ci_u32_e32 v41, vcc_lo, s5, v3, vcc_lo
	s_delay_alu instid0(VALU_DEP_2) | instskip(NEXT) | instid1(VALU_DEP_2)
	v_add_co_u32 v36, vcc_lo, v40, s6
	v_add_co_ci_u32_e32 v37, vcc_lo, s7, v41, vcc_lo
	v_add_co_u32 v2, vcc_lo, v40, v23
	v_add_co_ci_u32_e32 v3, vcc_lo, 0, v41, vcc_lo
	;; [unrolled: 2-line block ×14, first 2 shown]
	s_clause 0xa
	global_load_u16 v43, v[2:3], off
	global_load_u16 v22, v[22:23], off
	;; [unrolled: 1-line block ×11, first 2 shown]
	v_add_co_u32 v2, vcc_lo, v40, v38
	v_add_co_ci_u32_e32 v3, vcc_lo, 0, v41, vcc_lo
	v_add_co_u32 v14, vcc_lo, v40, v39
	v_add_co_ci_u32_e32 v15, vcc_lo, 0, v41, vcc_lo
	;; [unrolled: 2-line block ×3, first 2 shown]
	s_clause 0x4
	global_load_u16 v18, v[18:19], off
	global_load_u16 v19, v[20:21], off
	;; [unrolled: 1-line block ×5, first 2 shown]
	v_xor_b32_e32 v15, s1, v5
	; wave barrier
	s_delay_alu instid0(VALU_DEP_1)
	v_cmp_gt_i32_e32 vcc_lo, 32, v15
	v_cndmask_b32_e32 v5, v5, v15, vcc_lo
	v_cmp_gt_i32_e32 vcc_lo, s1, v4
	s_waitcnt vmcnt(14)
	v_cvt_f32_f16_e32 v22, v22
	s_waitcnt vmcnt(12)
	v_cvt_f32_f16_e32 v24, v24
	;; [unrolled: 2-line block ×3, first 2 shown]
	v_lshlrev_b32_e32 v5, 2, v5
	s_waitcnt vmcnt(9)
	v_cvt_f32_f16_e32 v27, v27
	s_waitcnt vmcnt(8)
	v_cvt_f32_f16_e32 v28, v28
	;; [unrolled: 2-line block ×4, first 2 shown]
	ds_bpermute_b32 v15, v5, v9
	ds_bpermute_b32 v16, v5, v6
	;; [unrolled: 1-line block ×3, first 2 shown]
	s_waitcnt vmcnt(5)
	v_cvt_f32_f16_e32 v31, v31
	s_waitcnt lgkmcnt(2)
	v_cndmask_b32_e64 v4, v15, -v15, vcc_lo
	s_waitcnt lgkmcnt(1)
	v_cndmask_b32_e64 v15, v16, -v16, vcc_lo
	;; [unrolled: 2-line block ×3, first 2 shown]
	s_delay_alu instid0(VALU_DEP_2) | instskip(NEXT) | instid1(VALU_DEP_2)
	v_dual_mul_f32 v4, v4, v22 :: v_dual_mul_f32 v15, v15, v24
	v_mul_f32_e32 v16, v16, v26
	ds_bpermute_b32 v20, v5, v7
	ds_bpermute_b32 v21, v5, v11
	;; [unrolled: 1-line block ×5, first 2 shown]
	v_fma_mix_f32 v9, v9, v43, v4 op_sel_hi:[0,1,0]
	v_fma_mix_f32 v6, v6, v23, v15 op_sel_hi:[0,1,0]
	;; [unrolled: 1-line block ×3, first 2 shown]
	s_waitcnt lgkmcnt(4)
	v_cndmask_b32_e64 v17, v20, -v20, vcc_lo
	s_waitcnt lgkmcnt(3)
	v_cndmask_b32_e64 v20, v21, -v21, vcc_lo
	s_waitcnt lgkmcnt(2)
	v_cndmask_b32_e64 v21, v32, -v32, vcc_lo
	s_waitcnt lgkmcnt(1)
	v_cndmask_b32_e64 v32, v33, -v33, vcc_lo
	s_waitcnt lgkmcnt(0)
	v_cndmask_b32_e64 v5, v5, -v5, vcc_lo
	v_dual_mul_f32 v17, v17, v27 :: v_dual_mul_f32 v20, v20, v28
	s_delay_alu instid0(VALU_DEP_3) | instskip(NEXT) | instid1(VALU_DEP_3)
	v_dual_mul_f32 v21, v21, v29 :: v_dual_mul_f32 v22, v32, v30
	v_mul_f32_e32 v5, v5, v31
	s_waitcnt vmcnt(4)
	s_delay_alu instid0(VALU_DEP_3)
	v_fma_mix_f32 v7, v7, v18, v17 op_sel_hi:[0,1,0]
	s_waitcnt vmcnt(3)
	v_fma_mix_f32 v11, v11, v19, v20 op_sel_hi:[0,1,0]
	s_waitcnt vmcnt(2)
	;; [unrolled: 2-line block ×4, first 2 shown]
	v_fma_mix_f32 v13, v13, v14, v5 op_sel_hi:[0,1,0]
.LBB29_3:
	s_or_b32 exec_lo, exec_lo, s0
	v_cvt_f16_f32_e32 v2, v9
	v_cvt_f16_f32_e32 v3, v10
	;; [unrolled: 1-line block ×8, first 2 shown]
	s_delay_alu instid0(VALU_DEP_4) | instskip(NEXT) | instid1(VALU_DEP_4)
	v_pack_b32_f16 v5, v5, v9
	v_pack_b32_f16 v4, v4, v8
	s_delay_alu instid0(VALU_DEP_4) | instskip(NEXT) | instid1(VALU_DEP_4)
	v_pack_b32_f16 v3, v3, v7
	v_pack_b32_f16 v2, v2, v6
	global_store_b128 v[0:1], v[2:5], off
.LBB29_4:
	s_nop 0
	s_sendmsg sendmsg(MSG_DEALLOC_VGPRS)
	s_endpgm
	.section	.rodata,"a",@progbits
	.p2align	6, 0x0
	.amdhsa_kernel _ZN12tensorrt_llm7kernels21fusedQKNormRopeKernelIN3c104HalfES3_Li256ELb0EEEvPviiifPKvS6_S6_PKlii
		.amdhsa_group_segment_fixed_size 0
		.amdhsa_private_segment_fixed_size 0
		.amdhsa_kernarg_size 320
		.amdhsa_user_sgpr_count 15
		.amdhsa_user_sgpr_dispatch_ptr 0
		.amdhsa_user_sgpr_queue_ptr 0
		.amdhsa_user_sgpr_kernarg_segment_ptr 1
		.amdhsa_user_sgpr_dispatch_id 0
		.amdhsa_user_sgpr_private_segment_size 0
		.amdhsa_wavefront_size32 1
		.amdhsa_uses_dynamic_stack 0
		.amdhsa_enable_private_segment 0
		.amdhsa_system_sgpr_workgroup_id_x 1
		.amdhsa_system_sgpr_workgroup_id_y 0
		.amdhsa_system_sgpr_workgroup_id_z 0
		.amdhsa_system_sgpr_workgroup_info 0
		.amdhsa_system_vgpr_workitem_id 0
		.amdhsa_next_free_vgpr 44
		.amdhsa_next_free_sgpr 16
		.amdhsa_reserve_vcc 1
		.amdhsa_float_round_mode_32 0
		.amdhsa_float_round_mode_16_64 0
		.amdhsa_float_denorm_mode_32 3
		.amdhsa_float_denorm_mode_16_64 3
		.amdhsa_dx10_clamp 1
		.amdhsa_ieee_mode 1
		.amdhsa_fp16_overflow 0
		.amdhsa_workgroup_processor_mode 1
		.amdhsa_memory_ordered 1
		.amdhsa_forward_progress 0
		.amdhsa_shared_vgpr_count 0
		.amdhsa_exception_fp_ieee_invalid_op 0
		.amdhsa_exception_fp_denorm_src 0
		.amdhsa_exception_fp_ieee_div_zero 0
		.amdhsa_exception_fp_ieee_overflow 0
		.amdhsa_exception_fp_ieee_underflow 0
		.amdhsa_exception_fp_ieee_inexact 0
		.amdhsa_exception_int_div_zero 0
	.end_amdhsa_kernel
	.section	.text._ZN12tensorrt_llm7kernels21fusedQKNormRopeKernelIN3c104HalfES3_Li256ELb0EEEvPviiifPKvS6_S6_PKlii,"axG",@progbits,_ZN12tensorrt_llm7kernels21fusedQKNormRopeKernelIN3c104HalfES3_Li256ELb0EEEvPviiifPKvS6_S6_PKlii,comdat
.Lfunc_end29:
	.size	_ZN12tensorrt_llm7kernels21fusedQKNormRopeKernelIN3c104HalfES3_Li256ELb0EEEvPviiifPKvS6_S6_PKlii, .Lfunc_end29-_ZN12tensorrt_llm7kernels21fusedQKNormRopeKernelIN3c104HalfES3_Li256ELb0EEEvPviiifPKvS6_S6_PKlii
                                        ; -- End function
	.section	.AMDGPU.csdata,"",@progbits
; Kernel info:
; codeLenInByte = 2420
; NumSgprs: 18
; NumVgprs: 44
; ScratchSize: 0
; MemoryBound: 0
; FloatMode: 240
; IeeeMode: 1
; LDSByteSize: 0 bytes/workgroup (compile time only)
; SGPRBlocks: 2
; VGPRBlocks: 5
; NumSGPRsForWavesPerEU: 18
; NumVGPRsForWavesPerEU: 44
; Occupancy: 16
; WaveLimiterHint : 1
; COMPUTE_PGM_RSRC2:SCRATCH_EN: 0
; COMPUTE_PGM_RSRC2:USER_SGPR: 15
; COMPUTE_PGM_RSRC2:TRAP_HANDLER: 0
; COMPUTE_PGM_RSRC2:TGID_X_EN: 1
; COMPUTE_PGM_RSRC2:TGID_Y_EN: 0
; COMPUTE_PGM_RSRC2:TGID_Z_EN: 0
; COMPUTE_PGM_RSRC2:TIDIG_COMP_CNT: 0
	.section	.text._ZN12tensorrt_llm7kernels32fusedQKNormRopeKernelNTokenHeadsIN3c104HalfES3_Li64ELb1ELi2EEEvPviiifPKvS6_S6_PKlii,"axG",@progbits,_ZN12tensorrt_llm7kernels32fusedQKNormRopeKernelNTokenHeadsIN3c104HalfES3_Li64ELb1ELi2EEEvPviiifPKvS6_S6_PKlii,comdat
	.protected	_ZN12tensorrt_llm7kernels32fusedQKNormRopeKernelNTokenHeadsIN3c104HalfES3_Li64ELb1ELi2EEEvPviiifPKvS6_S6_PKlii ; -- Begin function _ZN12tensorrt_llm7kernels32fusedQKNormRopeKernelNTokenHeadsIN3c104HalfES3_Li64ELb1ELi2EEEvPviiifPKvS6_S6_PKlii
	.globl	_ZN12tensorrt_llm7kernels32fusedQKNormRopeKernelNTokenHeadsIN3c104HalfES3_Li64ELb1ELi2EEEvPviiifPKvS6_S6_PKlii
	.p2align	8
	.type	_ZN12tensorrt_llm7kernels32fusedQKNormRopeKernelNTokenHeadsIN3c104HalfES3_Li64ELb1ELi2EEEvPviiifPKvS6_S6_PKlii,@function
_ZN12tensorrt_llm7kernels32fusedQKNormRopeKernelNTokenHeadsIN3c104HalfES3_Li64ELb1ELi2EEEvPviiifPKvS6_S6_PKlii: ; @_ZN12tensorrt_llm7kernels32fusedQKNormRopeKernelNTokenHeadsIN3c104HalfES3_Li64ELb1ELi2EEEvPviiifPKvS6_S6_PKlii
; %bb.0:
	s_clause 0x1
	s_load_b128 s[16:19], s[0:1], 0x8
	s_load_b64 s[2:3], s[0:1], 0x38
	v_lshrrev_b32_e32 v2, 5, v0
	s_waitcnt lgkmcnt(0)
	s_add_i32 s4, s17, s16
	s_delay_alu instid0(SALU_CYCLE_1) | instskip(NEXT) | instid1(SALU_CYCLE_1)
	s_add_i32 s5, s4, 1
	s_lshr_b32 s6, s5, 31
	s_delay_alu instid0(SALU_CYCLE_1) | instskip(NEXT) | instid1(SALU_CYCLE_1)
	s_add_i32 s5, s5, s6
	s_ashr_i32 s14, s5, 1
	s_load_b32 s5, s[0:1], 0x4c
	s_abs_i32 s6, s14
	s_delay_alu instid0(SALU_CYCLE_1) | instskip(SKIP_1) | instid1(VALU_DEP_1)
	v_cvt_f32_u32_e32 v1, s6
	s_sub_i32 s7, 0, s6
	v_rcp_iflag_f32_e32 v1, v1
	s_waitcnt_depctr 0xfff
	v_mul_f32_e32 v1, 0x4f7ffffe, v1
	s_waitcnt lgkmcnt(0)
	s_bfe_u32 s5, s5, 0xb0005
	s_delay_alu instid0(SALU_CYCLE_1) | instskip(NEXT) | instid1(VALU_DEP_2)
	v_mad_u64_u32 v[3:4], null, s15, s5, v[2:3]
	v_cvt_u32_f32_e32 v1, v1
	s_delay_alu instid0(VALU_DEP_1) | instskip(NEXT) | instid1(VALU_DEP_1)
	v_mul_lo_u32 v5, s7, v1
	v_mul_hi_u32 v4, v1, v5
	s_delay_alu instid0(VALU_DEP_4) | instskip(NEXT) | instid1(VALU_DEP_1)
	v_sub_nc_u32_e32 v5, 0, v3
	v_max_i32_e32 v5, v3, v5
	s_delay_alu instid0(VALU_DEP_3) | instskip(NEXT) | instid1(VALU_DEP_1)
	v_add_nc_u32_e32 v1, v1, v4
	v_mul_hi_u32 v1, v5, v1
	s_delay_alu instid0(VALU_DEP_1) | instskip(NEXT) | instid1(VALU_DEP_1)
	v_mul_lo_u32 v4, v1, s6
	v_sub_nc_u32_e32 v4, v5, v4
	v_add_nc_u32_e32 v5, 1, v1
	s_delay_alu instid0(VALU_DEP_2) | instskip(SKIP_1) | instid1(VALU_DEP_2)
	v_subrev_nc_u32_e32 v6, s6, v4
	v_cmp_le_u32_e32 vcc_lo, s6, v4
	v_dual_cndmask_b32 v4, v4, v6 :: v_dual_cndmask_b32 v1, v1, v5
	v_xor_b32_e32 v5, s14, v3
	s_delay_alu instid0(VALU_DEP_2) | instskip(NEXT) | instid1(VALU_DEP_3)
	v_cmp_le_u32_e32 vcc_lo, s6, v4
	v_add_nc_u32_e32 v6, 1, v1
	s_delay_alu instid0(VALU_DEP_3) | instskip(NEXT) | instid1(VALU_DEP_2)
	v_ashrrev_i32_e32 v5, 31, v5
	v_cndmask_b32_e32 v1, v1, v6, vcc_lo
	s_delay_alu instid0(VALU_DEP_1) | instskip(NEXT) | instid1(VALU_DEP_1)
	v_xor_b32_e32 v1, v1, v5
	v_sub_nc_u32_e32 v1, v1, v5
	s_delay_alu instid0(VALU_DEP_1)
	v_cmp_gt_i32_e32 vcc_lo, s2, v1
	s_and_saveexec_b32 s2, vcc_lo
	s_cbranch_execz .LBB30_12
; %bb.1:
	v_mul_lo_u32 v4, v1, s14
	s_load_b64 s[12:13], s[0:1], 0x0
	v_and_b32_e32 v7, 31, v0
	v_lshlrev_b32_e32 v9, 8, v2
	v_lshlrev_b32_e32 v0, 7, v3
	s_lshl_b32 s20, s3, 1
	s_delay_alu instid0(VALU_DEP_3) | instskip(SKIP_2) | instid1(VALU_DEP_1)
	v_lshlrev_b32_e32 v8, 2, v7
	v_sub_nc_u32_e32 v4, v3, v4
	s_mul_i32 s15, s20, s5
	v_lshlrev_b32_e32 v5, 1, v4
	s_delay_alu instid0(VALU_DEP_1) | instskip(SKIP_1) | instid1(VALU_DEP_2)
	v_add_nc_u32_e32 v4, 2, v5
	v_sub_nc_u32_e32 v6, s4, v5
	v_cmp_lt_i32_e32 vcc_lo, s4, v4
	s_delay_alu instid0(VALU_DEP_2) | instskip(NEXT) | instid1(VALU_DEP_1)
	v_cndmask_b32_e32 v6, 2, v6, vcc_lo
	v_cmp_lt_i32_e32 vcc_lo, 0, v6
	s_and_saveexec_b32 s4, vcc_lo
	s_cbranch_execz .LBB30_4
; %bb.2:
	s_add_i32 s2, s18, s17
	s_lshl_b32 s5, s14, 1
	s_add_i32 s2, s2, s16
	s_mov_b32 s6, 0
	s_sub_i32 s2, s2, s5
	s_mov_b32 s5, 0
	v_mul_lo_u32 v3, s2, v1
	s_add_i32 s2, s15, 0
	s_delay_alu instid0(SALU_CYCLE_1) | instskip(NEXT) | instid1(VALU_DEP_2)
	v_add3_u32 v10, s2, v9, v8
	v_lshl_add_u32 v3, v3, 6, v0
	s_delay_alu instid0(VALU_DEP_1)
	v_lshl_or_b32 v3, v7, 1, v3
	.p2align	6
.LBB30_3:                               ; =>This Inner Loop Header: Depth=1
	s_delay_alu instid0(VALU_DEP_1) | instskip(SKIP_1) | instid1(VALU_DEP_1)
	v_ashrrev_i32_e32 v4, 31, v3
	s_add_i32 s6, s6, 1
	v_lshlrev_b64 v[11:12], 1, v[3:4]
	v_add_nc_u32_e32 v3, 64, v3
	s_waitcnt lgkmcnt(0)
	s_delay_alu instid0(VALU_DEP_2) | instskip(NEXT) | instid1(VALU_DEP_1)
	v_add_co_u32 v11, s2, s12, v11
	v_add_co_ci_u32_e64 v12, s2, s13, v12, s2
	v_cmp_ge_i32_e64 s2, s6, v6
	global_load_b32 v4, v[11:12], off
	s_or_b32 s5, s2, s5
	s_waitcnt vmcnt(0)
	ds_store_b32 v10, v4
	v_add_nc_u32_e32 v10, 0x80, v10
	s_and_not1_b32 exec_lo, exec_lo, s5
	s_cbranch_execnz .LBB30_3
.LBB30_4:
	s_or_b32 exec_lo, exec_lo, s4
	s_load_b256 s[4:11], s[0:1], 0x18
	v_mul_lo_u32 v2, v2, s3
	s_add_i32 s0, s20, 15
	s_mov_b32 s20, exec_lo
	s_ashr_i32 s1, s0, 31
	s_delay_alu instid0(SALU_CYCLE_1) | instskip(NEXT) | instid1(SALU_CYCLE_1)
	s_lshr_b32 s1, s1, 28
	s_add_i32 s0, s0, s1
	s_delay_alu instid0(VALU_DEP_1) | instskip(SKIP_1) | instid1(SALU_CYCLE_1)
	v_lshlrev_b32_e32 v4, 1, v2
	s_ashr_i32 s2, s0, 4
	v_cmpx_gt_i32_e64 s2, v7
	s_cbranch_execz .LBB30_7
; %bb.5:
	v_ashrrev_i32_e32 v2, 31, v1
	s_delay_alu instid0(VALU_DEP_1) | instskip(SKIP_1) | instid1(VALU_DEP_1)
	v_lshlrev_b64 v[2:3], 3, v[1:2]
	s_waitcnt lgkmcnt(0)
	v_add_co_u32 v2, s0, s10, v2
	s_delay_alu instid0(VALU_DEP_1)
	v_add_co_ci_u32_e64 v3, s0, s11, v3, s0
	s_ashr_i32 s0, s3, 31
	global_load_b64 v[2:3], v[2:3], off
	s_waitcnt vmcnt(0)
	v_mul_lo_u32 v3, v3, s3
	v_mul_lo_u32 v12, v2, s0
	v_mad_u64_u32 v[10:11], null, v2, s3, 0
	s_delay_alu instid0(VALU_DEP_1) | instskip(NEXT) | instid1(VALU_DEP_1)
	v_add3_u32 v11, v11, v12, v3
	v_lshlrev_b64 v[2:3], 1, v[10:11]
	v_dual_mov_b32 v11, v7 :: v_dual_lshlrev_b32 v10, 4, v7
	s_delay_alu instid0(VALU_DEP_1) | instskip(NEXT) | instid1(VALU_DEP_1)
	v_add_co_u32 v2, s0, v2, v10
	v_add_co_ci_u32_e64 v3, s0, 0, v3, s0
	v_add3_u32 v10, v4, v10, 0
	s_delay_alu instid0(VALU_DEP_3) | instskip(NEXT) | instid1(VALU_DEP_1)
	v_add_co_u32 v2, s0, s8, v2
	v_add_co_ci_u32_e64 v3, s0, s9, v3, s0
	s_mov_b32 s8, 0
	.p2align	6
.LBB30_6:                               ; =>This Inner Loop Header: Depth=1
	global_load_b128 v[12:15], v[2:3], off
	v_add_nc_u32_e32 v11, 32, v11
	v_add_co_u32 v2, s0, 0x200, v2
	s_delay_alu instid0(VALU_DEP_1) | instskip(NEXT) | instid1(VALU_DEP_3)
	v_add_co_ci_u32_e64 v3, s0, 0, v3, s0
	v_cmp_le_i32_e64 s1, s2, v11
	s_delay_alu instid0(VALU_DEP_1)
	s_or_b32 s8, s1, s8
	s_waitcnt vmcnt(0)
	ds_store_b128 v10, v[12:15]
	v_add_nc_u32_e32 v10, 0x200, v10
	s_and_not1_b32 exec_lo, exec_lo, s8
	s_cbranch_execnz .LBB30_6
.LBB30_7:
	s_or_b32 exec_lo, exec_lo, s20
	s_delay_alu instid0(SALU_CYCLE_1)
	s_and_b32 exec_lo, exec_lo, vcc_lo
	s_cbranch_execz .LBB30_12
; %bb.8:
	s_waitcnt lgkmcnt(0)
	s_clause 0x1
	global_load_b32 v2, v8, s[4:5]
	global_load_b32 v3, v8, s[6:7]
	v_mbcnt_lo_u32_b32 v10, -1, 0
	s_lshr_b32 s0, s3, 31
	s_add_i32 s1, s18, s17
	s_lshl_b32 s2, s14, 1
	s_add_i32 s0, s3, s0
	v_xor_b32_e32 v11, 16, v10
	s_add_i32 s1, s1, s16
	s_ashr_i32 s3, s0, 1
	s_and_b32 s4, s0, -2
	s_sub_i32 s0, s1, s2
	v_add_nc_u32_e32 v9, s15, v9
	v_xor_b32_e32 v12, 8, v10
	v_mul_lo_u32 v1, s0, v1
	v_cmp_gt_i32_e64 s0, 32, v11
	v_xor_b32_e32 v13, 4, v10
	v_add3_u32 v8, v9, v8, 0
	v_xor_b32_e32 v15, 2, v10
	v_xor_b32_e32 v16, 1, v10
	v_cndmask_b32_e64 v9, v10, v11, s0
	v_cmp_gt_i32_e64 s0, 32, v12
	v_lshlrev_b32_e32 v14, 1, v7
	v_lshl_add_u32 v0, v1, 6, v0
	v_cmp_gt_i32_e32 vcc_lo, s3, v7
	v_lshlrev_b32_e32 v9, 2, v9
	v_cndmask_b32_e64 v11, v10, v12, s0
	v_cmp_gt_i32_e64 s0, 32, v13
	v_add3_u32 v4, 0, v4, v14
	v_or_b32_e32 v0, v0, v14
	s_mov_b32 s2, 0
	s_mov_b32 s3, 0
	v_cndmask_b32_e64 v12, v10, v13, s0
	v_cmp_gt_i32_e64 s0, 32, v15
	v_add_nc_u32_e32 v7, s4, v4
	s_delay_alu instid0(VALU_DEP_2) | instskip(SKIP_1) | instid1(VALU_DEP_1)
	v_cndmask_b32_e64 v13, v10, v15, s0
	v_cmp_gt_i32_e64 s0, 32, v16
	v_cndmask_b32_e64 v15, v10, v16, s0
	v_lshlrev_b32_e32 v10, 2, v11
	v_lshlrev_b32_e32 v11, 2, v12
	;; [unrolled: 1-line block ×3, first 2 shown]
	s_delay_alu instid0(VALU_DEP_4)
	v_lshlrev_b32_e32 v13, 2, v15
	s_waitcnt vmcnt(1)
	v_lshrrev_b32_e32 v14, 16, v2
	s_waitcnt vmcnt(0)
	v_lshrrev_b32_e32 v15, 16, v3
	s_branch .LBB30_10
.LBB30_9:                               ;   in Loop: Header=BB30_10 Depth=1
	s_or_b32 exec_lo, exec_lo, s0
	v_ashrrev_i32_e32 v1, 31, v0
	s_delay_alu instid0(VALU_DEP_2)
	v_cvt_f16_f32_e32 v18, v17
	v_cvt_f16_f32_e32 v19, v16
	s_add_i32 s3, s3, 1
	v_add_nc_u32_e32 v8, 0x80, v8
	v_lshlrev_b64 v[16:17], 1, v[0:1]
	v_cmp_ge_i32_e64 s0, s3, v6
	v_pack_b32_f16 v1, v18, v19
	v_add_nc_u32_e32 v0, 64, v0
	s_delay_alu instid0(VALU_DEP_3) | instskip(NEXT) | instid1(VALU_DEP_4)
	s_or_b32 s2, s0, s2
	v_add_co_u32 v16, s1, s12, v16
	s_delay_alu instid0(VALU_DEP_1)
	v_add_co_ci_u32_e64 v17, s1, s13, v17, s1
	global_store_b32 v[16:17], v1, off
	s_and_not1_b32 exec_lo, exec_lo, s2
	s_cbranch_execz .LBB30_12
.LBB30_10:                              ; =>This Inner Loop Header: Depth=1
	ds_load_b32 v1, v8
	s_waitcnt lgkmcnt(0)
	v_cvt_f32_f16_e32 v17, v1
	s_delay_alu instid0(VALU_DEP_1) | instskip(NEXT) | instid1(VALU_DEP_1)
	v_mul_f32_e32 v16, v17, v17
	v_fma_mix_f32 v16, v1, v1, v16 op_sel:[1,1,0] op_sel_hi:[1,1,0]
	v_lshrrev_b32_e32 v1, 16, v1
	ds_bpermute_b32 v18, v9, v16
	v_cvt_f32_f16_e32 v1, v1
	s_waitcnt lgkmcnt(0)
	v_add_f32_e32 v16, v16, v18
	ds_bpermute_b32 v18, v10, v16
	s_waitcnt lgkmcnt(0)
	v_add_f32_e32 v16, v16, v18
	ds_bpermute_b32 v18, v11, v16
	;; [unrolled: 3-line block ×4, first 2 shown]
	s_waitcnt lgkmcnt(0)
	v_add_f32_e32 v16, v16, v18
	s_delay_alu instid0(VALU_DEP_1) | instskip(NEXT) | instid1(VALU_DEP_1)
	v_fma_f32 v16, 0x3c800000, v16, s19
	v_mul_f32_e32 v18, 0x4b800000, v16
	v_cmp_gt_f32_e64 s0, 0x800000, v16
	s_delay_alu instid0(VALU_DEP_1) | instskip(NEXT) | instid1(VALU_DEP_1)
	v_cndmask_b32_e64 v16, v16, v18, s0
	v_rsq_f32_e32 v16, v16
	s_waitcnt_depctr 0xfff
	v_dual_mul_f32 v19, 0x45800000, v16 :: v_dual_add_nc_u32 v18, s3, v5
	s_delay_alu instid0(VALU_DEP_1) | instskip(NEXT) | instid1(VALU_DEP_2)
	v_cmp_gt_i32_e64 s1, s16, v18
	v_cndmask_b32_e64 v16, v16, v19, s0
	s_delay_alu instid0(VALU_DEP_2) | instskip(SKIP_1) | instid1(VALU_DEP_2)
	v_cndmask_b32_e64 v18, v15, v14, s1
	v_cndmask_b32_e64 v20, v3, v2, s1
	v_cvt_f32_f16_e32 v18, v18
	s_delay_alu instid0(VALU_DEP_2) | instskip(NEXT) | instid1(VALU_DEP_2)
	v_cvt_f32_f16_e32 v19, v20
	v_mul_f32_e32 v18, v16, v18
	s_delay_alu instid0(VALU_DEP_1) | instskip(NEXT) | instid1(VALU_DEP_1)
	v_dual_mul_f32 v19, v16, v19 :: v_dual_mul_f32 v16, v18, v1
	v_mul_f32_e32 v17, v19, v17
	s_and_saveexec_b32 s0, vcc_lo
	s_cbranch_execz .LBB30_9
; %bb.11:                               ;   in Loop: Header=BB30_10 Depth=1
	ds_load_u16 v1, v7
	ds_load_u16 v18, v4
	s_waitcnt lgkmcnt(1)
	v_cvt_f32_f16_e32 v19, v1
	s_waitcnt lgkmcnt(0)
	v_cvt_f32_f16_e32 v20, v18
	s_delay_alu instid0(VALU_DEP_2) | instskip(NEXT) | instid1(VALU_DEP_1)
	v_mul_f32_e32 v19, v16, v19
	v_fma_mix_f32 v18, v17, v18, -v19 op_sel_hi:[0,1,0]
	s_delay_alu instid0(VALU_DEP_3) | instskip(NEXT) | instid1(VALU_DEP_1)
	v_mul_f32_e32 v16, v16, v20
	v_fma_mix_f32 v16, v17, v1, v16 op_sel_hi:[0,1,0]
	s_delay_alu instid0(VALU_DEP_3)
	v_mov_b32_e32 v17, v18
	s_branch .LBB30_9
.LBB30_12:
	s_nop 0
	s_sendmsg sendmsg(MSG_DEALLOC_VGPRS)
	s_endpgm
	.section	.rodata,"a",@progbits
	.p2align	6, 0x0
	.amdhsa_kernel _ZN12tensorrt_llm7kernels32fusedQKNormRopeKernelNTokenHeadsIN3c104HalfES3_Li64ELb1ELi2EEEvPviiifPKvS6_S6_PKlii
		.amdhsa_group_segment_fixed_size 0
		.amdhsa_private_segment_fixed_size 0
		.amdhsa_kernarg_size 320
		.amdhsa_user_sgpr_count 15
		.amdhsa_user_sgpr_dispatch_ptr 0
		.amdhsa_user_sgpr_queue_ptr 0
		.amdhsa_user_sgpr_kernarg_segment_ptr 1
		.amdhsa_user_sgpr_dispatch_id 0
		.amdhsa_user_sgpr_private_segment_size 0
		.amdhsa_wavefront_size32 1
		.amdhsa_uses_dynamic_stack 0
		.amdhsa_enable_private_segment 0
		.amdhsa_system_sgpr_workgroup_id_x 1
		.amdhsa_system_sgpr_workgroup_id_y 0
		.amdhsa_system_sgpr_workgroup_id_z 0
		.amdhsa_system_sgpr_workgroup_info 0
		.amdhsa_system_vgpr_workitem_id 0
		.amdhsa_next_free_vgpr 21
		.amdhsa_next_free_sgpr 21
		.amdhsa_reserve_vcc 1
		.amdhsa_float_round_mode_32 0
		.amdhsa_float_round_mode_16_64 0
		.amdhsa_float_denorm_mode_32 3
		.amdhsa_float_denorm_mode_16_64 3
		.amdhsa_dx10_clamp 1
		.amdhsa_ieee_mode 1
		.amdhsa_fp16_overflow 0
		.amdhsa_workgroup_processor_mode 1
		.amdhsa_memory_ordered 1
		.amdhsa_forward_progress 0
		.amdhsa_shared_vgpr_count 0
		.amdhsa_exception_fp_ieee_invalid_op 0
		.amdhsa_exception_fp_denorm_src 0
		.amdhsa_exception_fp_ieee_div_zero 0
		.amdhsa_exception_fp_ieee_overflow 0
		.amdhsa_exception_fp_ieee_underflow 0
		.amdhsa_exception_fp_ieee_inexact 0
		.amdhsa_exception_int_div_zero 0
	.end_amdhsa_kernel
	.section	.text._ZN12tensorrt_llm7kernels32fusedQKNormRopeKernelNTokenHeadsIN3c104HalfES3_Li64ELb1ELi2EEEvPviiifPKvS6_S6_PKlii,"axG",@progbits,_ZN12tensorrt_llm7kernels32fusedQKNormRopeKernelNTokenHeadsIN3c104HalfES3_Li64ELb1ELi2EEEvPviiifPKvS6_S6_PKlii,comdat
.Lfunc_end30:
	.size	_ZN12tensorrt_llm7kernels32fusedQKNormRopeKernelNTokenHeadsIN3c104HalfES3_Li64ELb1ELi2EEEvPviiifPKvS6_S6_PKlii, .Lfunc_end30-_ZN12tensorrt_llm7kernels32fusedQKNormRopeKernelNTokenHeadsIN3c104HalfES3_Li64ELb1ELi2EEEvPviiifPKvS6_S6_PKlii
                                        ; -- End function
	.section	.AMDGPU.csdata,"",@progbits
; Kernel info:
; codeLenInByte = 1576
; NumSgprs: 23
; NumVgprs: 21
; ScratchSize: 0
; MemoryBound: 0
; FloatMode: 240
; IeeeMode: 1
; LDSByteSize: 0 bytes/workgroup (compile time only)
; SGPRBlocks: 2
; VGPRBlocks: 2
; NumSGPRsForWavesPerEU: 23
; NumVGPRsForWavesPerEU: 21
; Occupancy: 16
; WaveLimiterHint : 0
; COMPUTE_PGM_RSRC2:SCRATCH_EN: 0
; COMPUTE_PGM_RSRC2:USER_SGPR: 15
; COMPUTE_PGM_RSRC2:TRAP_HANDLER: 0
; COMPUTE_PGM_RSRC2:TGID_X_EN: 1
; COMPUTE_PGM_RSRC2:TGID_Y_EN: 0
; COMPUTE_PGM_RSRC2:TGID_Z_EN: 0
; COMPUTE_PGM_RSRC2:TIDIG_COMP_CNT: 0
	.section	.text._ZN12tensorrt_llm7kernels32fusedQKNormRopeKernelNTokenHeadsIN3c104HalfES3_Li64ELb0ELi2EEEvPviiifPKvS6_S6_PKlii,"axG",@progbits,_ZN12tensorrt_llm7kernels32fusedQKNormRopeKernelNTokenHeadsIN3c104HalfES3_Li64ELb0ELi2EEEvPviiifPKvS6_S6_PKlii,comdat
	.protected	_ZN12tensorrt_llm7kernels32fusedQKNormRopeKernelNTokenHeadsIN3c104HalfES3_Li64ELb0ELi2EEEvPviiifPKvS6_S6_PKlii ; -- Begin function _ZN12tensorrt_llm7kernels32fusedQKNormRopeKernelNTokenHeadsIN3c104HalfES3_Li64ELb0ELi2EEEvPviiifPKvS6_S6_PKlii
	.globl	_ZN12tensorrt_llm7kernels32fusedQKNormRopeKernelNTokenHeadsIN3c104HalfES3_Li64ELb0ELi2EEEvPviiifPKvS6_S6_PKlii
	.p2align	8
	.type	_ZN12tensorrt_llm7kernels32fusedQKNormRopeKernelNTokenHeadsIN3c104HalfES3_Li64ELb0ELi2EEEvPviiifPKvS6_S6_PKlii,@function
_ZN12tensorrt_llm7kernels32fusedQKNormRopeKernelNTokenHeadsIN3c104HalfES3_Li64ELb0ELi2EEEvPviiifPKvS6_S6_PKlii: ; @_ZN12tensorrt_llm7kernels32fusedQKNormRopeKernelNTokenHeadsIN3c104HalfES3_Li64ELb0ELi2EEEvPviiifPKvS6_S6_PKlii
; %bb.0:
	s_clause 0x1
	s_load_b128 s[16:19], s[0:1], 0x8
	s_load_b64 s[2:3], s[0:1], 0x38
	v_lshrrev_b32_e32 v2, 5, v0
	s_waitcnt lgkmcnt(0)
	s_add_i32 s4, s17, s16
	s_delay_alu instid0(SALU_CYCLE_1) | instskip(NEXT) | instid1(SALU_CYCLE_1)
	s_add_i32 s5, s4, 1
	s_lshr_b32 s6, s5, 31
	s_delay_alu instid0(SALU_CYCLE_1) | instskip(NEXT) | instid1(SALU_CYCLE_1)
	s_add_i32 s5, s5, s6
	s_ashr_i32 s14, s5, 1
	s_load_b32 s5, s[0:1], 0x4c
	s_abs_i32 s6, s14
	s_delay_alu instid0(SALU_CYCLE_1) | instskip(SKIP_1) | instid1(VALU_DEP_1)
	v_cvt_f32_u32_e32 v1, s6
	s_sub_i32 s7, 0, s6
	v_rcp_iflag_f32_e32 v1, v1
	s_waitcnt_depctr 0xfff
	v_mul_f32_e32 v1, 0x4f7ffffe, v1
	s_waitcnt lgkmcnt(0)
	s_bfe_u32 s5, s5, 0xb0005
	s_delay_alu instid0(SALU_CYCLE_1) | instskip(NEXT) | instid1(VALU_DEP_2)
	v_mad_u64_u32 v[3:4], null, s15, s5, v[2:3]
	v_cvt_u32_f32_e32 v1, v1
	s_delay_alu instid0(VALU_DEP_1) | instskip(NEXT) | instid1(VALU_DEP_1)
	v_mul_lo_u32 v5, s7, v1
	v_mul_hi_u32 v4, v1, v5
	s_delay_alu instid0(VALU_DEP_4) | instskip(NEXT) | instid1(VALU_DEP_1)
	v_sub_nc_u32_e32 v5, 0, v3
	v_max_i32_e32 v5, v3, v5
	s_delay_alu instid0(VALU_DEP_3) | instskip(NEXT) | instid1(VALU_DEP_1)
	v_add_nc_u32_e32 v1, v1, v4
	v_mul_hi_u32 v1, v5, v1
	s_delay_alu instid0(VALU_DEP_1) | instskip(NEXT) | instid1(VALU_DEP_1)
	v_mul_lo_u32 v4, v1, s6
	v_sub_nc_u32_e32 v4, v5, v4
	v_add_nc_u32_e32 v5, 1, v1
	s_delay_alu instid0(VALU_DEP_2) | instskip(SKIP_1) | instid1(VALU_DEP_2)
	v_subrev_nc_u32_e32 v6, s6, v4
	v_cmp_le_u32_e32 vcc_lo, s6, v4
	v_dual_cndmask_b32 v4, v4, v6 :: v_dual_cndmask_b32 v1, v1, v5
	v_xor_b32_e32 v5, s14, v3
	s_delay_alu instid0(VALU_DEP_2) | instskip(NEXT) | instid1(VALU_DEP_3)
	v_cmp_le_u32_e32 vcc_lo, s6, v4
	v_add_nc_u32_e32 v6, 1, v1
	s_delay_alu instid0(VALU_DEP_3) | instskip(NEXT) | instid1(VALU_DEP_2)
	v_ashrrev_i32_e32 v5, 31, v5
	v_cndmask_b32_e32 v1, v1, v6, vcc_lo
	s_delay_alu instid0(VALU_DEP_1) | instskip(NEXT) | instid1(VALU_DEP_1)
	v_xor_b32_e32 v1, v1, v5
	v_sub_nc_u32_e32 v1, v1, v5
	s_delay_alu instid0(VALU_DEP_1)
	v_cmp_gt_i32_e32 vcc_lo, s2, v1
	s_and_saveexec_b32 s2, vcc_lo
	s_cbranch_execz .LBB31_12
; %bb.1:
	v_mul_lo_u32 v4, v1, s14
	s_load_b64 s[12:13], s[0:1], 0x0
	v_and_b32_e32 v0, 31, v0
	v_lshlrev_b32_e32 v9, 8, v2
	v_lshlrev_b32_e32 v8, 7, v3
	s_lshl_b32 s20, s3, 1
	s_delay_alu instid0(VALU_DEP_3) | instskip(SKIP_2) | instid1(VALU_DEP_1)
	v_lshlrev_b32_e32 v7, 2, v0
	v_sub_nc_u32_e32 v4, v3, v4
	s_mul_i32 s15, s20, s5
	v_lshlrev_b32_e32 v5, 1, v4
	s_delay_alu instid0(VALU_DEP_1) | instskip(SKIP_1) | instid1(VALU_DEP_2)
	v_add_nc_u32_e32 v4, 2, v5
	v_sub_nc_u32_e32 v6, s4, v5
	v_cmp_lt_i32_e32 vcc_lo, s4, v4
	s_delay_alu instid0(VALU_DEP_2) | instskip(NEXT) | instid1(VALU_DEP_1)
	v_cndmask_b32_e32 v6, 2, v6, vcc_lo
	v_cmp_lt_i32_e32 vcc_lo, 0, v6
	s_and_saveexec_b32 s4, vcc_lo
	s_cbranch_execz .LBB31_4
; %bb.2:
	s_add_i32 s2, s18, s17
	s_lshl_b32 s5, s14, 1
	s_add_i32 s2, s2, s16
	s_mov_b32 s6, 0
	s_sub_i32 s2, s2, s5
	s_mov_b32 s5, 0
	v_mul_lo_u32 v3, s2, v1
	s_add_i32 s2, s15, 0
	s_delay_alu instid0(SALU_CYCLE_1) | instskip(NEXT) | instid1(VALU_DEP_2)
	v_add3_u32 v10, s2, v9, v7
	v_lshl_add_u32 v3, v3, 6, v8
	s_delay_alu instid0(VALU_DEP_1)
	v_lshl_or_b32 v3, v0, 1, v3
	.p2align	6
.LBB31_3:                               ; =>This Inner Loop Header: Depth=1
	s_delay_alu instid0(VALU_DEP_1) | instskip(SKIP_1) | instid1(VALU_DEP_1)
	v_ashrrev_i32_e32 v4, 31, v3
	s_add_i32 s6, s6, 1
	v_lshlrev_b64 v[11:12], 1, v[3:4]
	v_add_nc_u32_e32 v3, 64, v3
	s_waitcnt lgkmcnt(0)
	s_delay_alu instid0(VALU_DEP_2) | instskip(NEXT) | instid1(VALU_DEP_1)
	v_add_co_u32 v11, s2, s12, v11
	v_add_co_ci_u32_e64 v12, s2, s13, v12, s2
	v_cmp_ge_i32_e64 s2, s6, v6
	global_load_b32 v4, v[11:12], off
	s_or_b32 s5, s2, s5
	s_waitcnt vmcnt(0)
	ds_store_b32 v10, v4
	v_add_nc_u32_e32 v10, 0x80, v10
	s_and_not1_b32 exec_lo, exec_lo, s5
	s_cbranch_execnz .LBB31_3
.LBB31_4:
	s_or_b32 exec_lo, exec_lo, s4
	s_load_b256 s[4:11], s[0:1], 0x18
	s_add_i32 s0, s20, 15
	v_mul_lo_u32 v4, v2, s3
	s_ashr_i32 s1, s0, 31
	s_mov_b32 s20, exec_lo
	s_lshr_b32 s1, s1, 28
	s_delay_alu instid0(SALU_CYCLE_1) | instskip(NEXT) | instid1(SALU_CYCLE_1)
	s_add_i32 s0, s0, s1
	s_ashr_i32 s2, s0, 4
	s_delay_alu instid0(SALU_CYCLE_1)
	v_cmpx_gt_i32_e64 s2, v0
	s_cbranch_execz .LBB31_7
; %bb.5:
	v_ashrrev_i32_e32 v2, 31, v1
	s_delay_alu instid0(VALU_DEP_1) | instskip(SKIP_1) | instid1(VALU_DEP_1)
	v_lshlrev_b64 v[2:3], 3, v[1:2]
	s_waitcnt lgkmcnt(0)
	v_add_co_u32 v2, s0, s10, v2
	s_delay_alu instid0(VALU_DEP_1)
	v_add_co_ci_u32_e64 v3, s0, s11, v3, s0
	s_ashr_i32 s0, s3, 31
	global_load_b64 v[2:3], v[2:3], off
	s_waitcnt vmcnt(0)
	v_mul_lo_u32 v3, v3, s3
	v_mul_lo_u32 v12, v2, s0
	v_mad_u64_u32 v[10:11], null, v2, s3, 0
	s_delay_alu instid0(VALU_DEP_1) | instskip(NEXT) | instid1(VALU_DEP_1)
	v_add3_u32 v11, v11, v12, v3
	v_lshlrev_b64 v[2:3], 1, v[10:11]
	v_lshlrev_b32_e32 v10, 4, v0
	v_lshlrev_b32_e32 v11, 1, v4
	s_delay_alu instid0(VALU_DEP_2) | instskip(NEXT) | instid1(VALU_DEP_1)
	v_add_co_u32 v2, s0, v2, v10
	v_add_co_ci_u32_e64 v3, s0, 0, v3, s0
	s_delay_alu instid0(VALU_DEP_3) | instskip(SKIP_1) | instid1(VALU_DEP_4)
	v_add3_u32 v10, v11, v10, 0
	v_mov_b32_e32 v11, v0
	v_add_co_u32 v2, s0, s8, v2
	s_delay_alu instid0(VALU_DEP_1)
	v_add_co_ci_u32_e64 v3, s0, s9, v3, s0
	s_mov_b32 s8, 0
	.p2align	6
.LBB31_6:                               ; =>This Inner Loop Header: Depth=1
	global_load_b128 v[12:15], v[2:3], off
	v_add_nc_u32_e32 v11, 32, v11
	v_add_co_u32 v2, s0, 0x200, v2
	s_delay_alu instid0(VALU_DEP_1) | instskip(NEXT) | instid1(VALU_DEP_3)
	v_add_co_ci_u32_e64 v3, s0, 0, v3, s0
	v_cmp_le_i32_e64 s1, s2, v11
	s_delay_alu instid0(VALU_DEP_1)
	s_or_b32 s8, s1, s8
	s_waitcnt vmcnt(0)
	ds_store_b128 v10, v[12:15]
	v_add_nc_u32_e32 v10, 0x200, v10
	s_and_not1_b32 exec_lo, exec_lo, s8
	s_cbranch_execnz .LBB31_6
.LBB31_7:
	s_or_b32 exec_lo, exec_lo, s20
	s_delay_alu instid0(SALU_CYCLE_1)
	s_and_b32 exec_lo, exec_lo, vcc_lo
	s_cbranch_execz .LBB31_12
; %bb.8:
	s_waitcnt lgkmcnt(0)
	s_clause 0x1
	global_load_b32 v2, v7, s[4:5]
	global_load_b32 v3, v7, s[6:7]
	s_abs_i32 s2, s3
	v_lshl_add_u32 v15, v4, 1, 0
	v_cvt_f32_u32_e32 v10, s2
	s_sub_i32 s0, 0, s2
	v_mbcnt_lo_u32_b32 v4, -1, 0
	v_or_b32_e32 v12, 2, v7
	s_add_i32 s1, s18, s17
	v_rcp_iflag_f32_e32 v10, v10
	s_lshl_b32 s4, s14, 1
	s_add_i32 s1, s1, s16
	v_xor_b32_e32 v13, 4, v4
	s_sub_i32 s1, s1, s4
	v_xor_b32_e32 v16, 2, v4
	v_mul_lo_u32 v1, s1, v1
	v_xor_b32_e32 v17, 1, v4
	s_mov_b32 s4, 0
	s_waitcnt_depctr 0xfff
	v_dual_mul_f32 v10, 0x4f7ffffe, v10 :: v_dual_add_nc_u32 v19, s15, v9
	v_lshl_add_u32 v1, v1, 6, v8
	s_delay_alu instid0(VALU_DEP_2) | instskip(NEXT) | instid1(VALU_DEP_1)
	v_cvt_u32_f32_e32 v10, v10
	v_mul_lo_u32 v11, s0, v10
	s_lshr_b32 s0, s3, 31
	s_delay_alu instid0(SALU_CYCLE_1) | instskip(NEXT) | instid1(SALU_CYCLE_1)
	s_add_i32 s0, s3, s0
	s_ashr_i32 s3, s0, 1
	s_and_b32 s0, s0, -2
	v_cmp_gt_i32_e32 vcc_lo, s3, v0
	s_delay_alu instid0(VALU_DEP_2)
	v_mul_hi_u32 v11, v10, v11
	v_add_nc_u32_e32 v18, s0, v15
	s_lshr_b32 s0, s3, 1
	s_mov_b32 s3, 0
	v_xor_b32_e32 v20, s0, v4
	v_cmp_gt_u32_e64 s0, s0, v0
	v_lshl_or_b32 v0, v0, 1, v1
	v_add_nc_u32_e32 v9, v10, v11
	v_xor_b32_e32 v10, 16, v4
	v_xor_b32_e32 v11, 8, v4
	s_delay_alu instid0(VALU_DEP_3) | instskip(SKIP_1) | instid1(VALU_DEP_4)
	v_mul_hi_u32 v14, v7, v9
	v_mul_hi_u32 v9, v12, v9
	v_cmp_gt_i32_e64 s1, 32, v10
	s_delay_alu instid0(VALU_DEP_1) | instskip(SKIP_1) | instid1(VALU_DEP_4)
	v_cndmask_b32_e64 v10, v4, v10, s1
	v_cmp_gt_i32_e64 s1, 32, v11
	v_mul_lo_u32 v9, v9, s2
	v_mul_lo_u32 v14, v14, s2
	s_delay_alu instid0(VALU_DEP_3) | instskip(SKIP_1) | instid1(VALU_DEP_4)
	v_cndmask_b32_e64 v11, v4, v11, s1
	v_cmp_gt_i32_e64 s1, 32, v13
	v_sub_nc_u32_e32 v9, v12, v9
	s_delay_alu instid0(VALU_DEP_4) | instskip(NEXT) | instid1(VALU_DEP_3)
	v_sub_nc_u32_e32 v14, v7, v14
	v_cndmask_b32_e64 v12, v4, v13, s1
	v_cmp_gt_i32_e64 s1, 32, v16
	v_lshlrev_b32_e32 v8, 2, v11
	v_subrev_nc_u32_e32 v21, s2, v9
	v_add3_u32 v7, v19, v7, 0
	s_delay_alu instid0(VALU_DEP_4) | instskip(SKIP_2) | instid1(VALU_DEP_2)
	v_cndmask_b32_e64 v13, v4, v16, s1
	v_cmp_gt_i32_e64 s1, 32, v17
	v_subrev_nc_u32_e32 v16, s2, v14
	v_cndmask_b32_e64 v17, v4, v17, s1
	v_cmp_le_u32_e64 s1, s2, v14
	s_delay_alu instid0(VALU_DEP_1) | instskip(SKIP_1) | instid1(VALU_DEP_1)
	v_cndmask_b32_e64 v14, v14, v16, s1
	v_cmp_le_u32_e64 s1, s2, v9
	v_cndmask_b32_e64 v9, v9, v21, s1
	v_cmp_gt_i32_e64 s1, 32, v20
	s_delay_alu instid0(VALU_DEP_1) | instskip(SKIP_4) | instid1(VALU_DEP_3)
	v_cndmask_b32_e64 v16, v4, v20, s1
	v_subrev_nc_u32_e32 v20, s2, v14
	v_cmp_le_u32_e64 s1, s2, v14
	v_lshlrev_b32_e32 v4, 2, v10
	v_subrev_nc_u32_e32 v10, s2, v9
	v_cndmask_b32_e64 v11, v14, v20, s1
	v_cmp_le_u32_e64 s1, s2, v9
	s_delay_alu instid0(VALU_DEP_2) | instskip(NEXT) | instid1(VALU_DEP_2)
	v_and_b32_e32 v20, -2, v11
	v_cndmask_b32_e64 v14, v9, v10, s1
	v_lshlrev_b32_e32 v11, 2, v17
	v_lshlrev_b32_e32 v9, 2, v12
	;; [unrolled: 1-line block ×4, first 2 shown]
	v_and_b32_e32 v17, -2, v14
	v_add_nc_u32_e32 v13, v15, v20
	v_add_nc_u32_e32 v14, v18, v20
	s_delay_alu instid0(VALU_DEP_3)
	v_add_nc_u32_e32 v15, v15, v17
	v_add_nc_u32_e32 v16, v18, v17
	s_waitcnt vmcnt(1)
	v_lshrrev_b32_e32 v17, 16, v2
	s_waitcnt vmcnt(0)
	v_lshrrev_b32_e32 v18, 16, v3
	s_branch .LBB31_10
.LBB31_9:                               ;   in Loop: Header=BB31_10 Depth=1
	s_or_b32 exec_lo, exec_lo, s1
	v_ashrrev_i32_e32 v1, 31, v0
	v_cvt_f16_f32_e32 v21, v19
	v_cvt_f16_f32_e32 v22, v20
	s_add_i32 s4, s4, 1
	v_add_nc_u32_e32 v7, 0x80, v7
	v_lshlrev_b64 v[19:20], 1, v[0:1]
	v_cmp_ge_i32_e64 s1, s4, v6
	v_pack_b32_f16 v1, v21, v22
	v_add_nc_u32_e32 v0, 64, v0
	s_delay_alu instid0(VALU_DEP_3) | instskip(NEXT) | instid1(VALU_DEP_4)
	s_or_b32 s3, s1, s3
	v_add_co_u32 v19, s2, s12, v19
	s_delay_alu instid0(VALU_DEP_1)
	v_add_co_ci_u32_e64 v20, s2, s13, v20, s2
	global_store_b32 v[19:20], v1, off
	s_and_not1_b32 exec_lo, exec_lo, s3
	s_cbranch_execz .LBB31_12
.LBB31_10:                              ; =>This Inner Loop Header: Depth=1
	ds_load_b32 v1, v7
	s_waitcnt lgkmcnt(0)
	v_cvt_f32_f16_e32 v19, v1
	s_delay_alu instid0(VALU_DEP_1) | instskip(NEXT) | instid1(VALU_DEP_1)
	v_mul_f32_e32 v20, v19, v19
	v_fma_mix_f32 v20, v1, v1, v20 op_sel:[1,1,0] op_sel_hi:[1,1,0]
	v_lshrrev_b32_e32 v1, 16, v1
	ds_bpermute_b32 v21, v4, v20
	v_cvt_f32_f16_e32 v1, v1
	s_waitcnt lgkmcnt(0)
	v_add_f32_e32 v20, v20, v21
	ds_bpermute_b32 v21, v8, v20
	s_waitcnt lgkmcnt(0)
	v_add_f32_e32 v20, v20, v21
	ds_bpermute_b32 v21, v9, v20
	;; [unrolled: 3-line block ×4, first 2 shown]
	s_waitcnt lgkmcnt(0)
	v_add_f32_e32 v20, v20, v21
	s_delay_alu instid0(VALU_DEP_1) | instskip(NEXT) | instid1(VALU_DEP_1)
	v_fma_f32 v20, 0x3c800000, v20, s19
	v_mul_f32_e32 v21, 0x4b800000, v20
	v_cmp_gt_f32_e64 s1, 0x800000, v20
	s_delay_alu instid0(VALU_DEP_1) | instskip(SKIP_1) | instid1(VALU_DEP_2)
	v_cndmask_b32_e64 v20, v20, v21, s1
	v_add_nc_u32_e32 v21, s4, v5
	v_rsq_f32_e32 v20, v20
	s_delay_alu instid0(VALU_DEP_1) | instskip(NEXT) | instid1(VALU_DEP_1)
	v_cmp_gt_i32_e64 s2, s16, v21
	v_cndmask_b32_e64 v21, v3, v2, s2
	v_cndmask_b32_e64 v23, v18, v17, s2
	s_delay_alu instid0(VALU_DEP_2) | instskip(SKIP_2) | instid1(VALU_DEP_1)
	v_cvt_f32_f16_e32 v21, v21
	s_waitcnt_depctr 0xfff
	v_mul_f32_e32 v22, 0x45800000, v20
	v_cndmask_b32_e64 v20, v20, v22, s1
	v_cvt_f32_f16_e32 v22, v23
	s_delay_alu instid0(VALU_DEP_2) | instskip(NEXT) | instid1(VALU_DEP_1)
	v_mul_f32_e32 v21, v20, v21
	v_dual_mul_f32 v20, v20, v22 :: v_dual_mul_f32 v19, v21, v19
	s_delay_alu instid0(VALU_DEP_1)
	v_mul_f32_e32 v20, v20, v1
	s_and_saveexec_b32 s1, vcc_lo
	s_cbranch_execz .LBB31_9
; %bb.11:                               ;   in Loop: Header=BB31_10 Depth=1
	; wave barrier
	ds_bpermute_b32 v1, v12, v19
	ds_load_u16 v21, v14
	ds_bpermute_b32 v22, v12, v20
	ds_load_u16 v23, v16
	ds_load_u16 v24, v13
	ds_load_u16 v25, v15
	; wave barrier
	s_waitcnt lgkmcnt(5)
	v_cndmask_b32_e64 v1, v1, -v1, s0
	s_waitcnt lgkmcnt(4)
	v_cvt_f32_f16_e32 v21, v21
	s_waitcnt lgkmcnt(3)
	v_cndmask_b32_e64 v22, v22, -v22, s0
	s_waitcnt lgkmcnt(2)
	v_cvt_f32_f16_e32 v23, v23
	v_mul_f32_e32 v1, v1, v21
	s_delay_alu instid0(VALU_DEP_2) | instskip(SKIP_1) | instid1(VALU_DEP_2)
	v_mul_f32_e32 v21, v22, v23
	s_waitcnt lgkmcnt(1)
	v_fma_mix_f32 v19, v19, v24, v1 op_sel_hi:[0,1,0]
	s_waitcnt lgkmcnt(0)
	s_delay_alu instid0(VALU_DEP_2)
	v_fma_mix_f32 v20, v20, v25, v21 op_sel_hi:[0,1,0]
	s_branch .LBB31_9
.LBB31_12:
	s_nop 0
	s_sendmsg sendmsg(MSG_DEALLOC_VGPRS)
	s_endpgm
	.section	.rodata,"a",@progbits
	.p2align	6, 0x0
	.amdhsa_kernel _ZN12tensorrt_llm7kernels32fusedQKNormRopeKernelNTokenHeadsIN3c104HalfES3_Li64ELb0ELi2EEEvPviiifPKvS6_S6_PKlii
		.amdhsa_group_segment_fixed_size 0
		.amdhsa_private_segment_fixed_size 0
		.amdhsa_kernarg_size 320
		.amdhsa_user_sgpr_count 15
		.amdhsa_user_sgpr_dispatch_ptr 0
		.amdhsa_user_sgpr_queue_ptr 0
		.amdhsa_user_sgpr_kernarg_segment_ptr 1
		.amdhsa_user_sgpr_dispatch_id 0
		.amdhsa_user_sgpr_private_segment_size 0
		.amdhsa_wavefront_size32 1
		.amdhsa_uses_dynamic_stack 0
		.amdhsa_enable_private_segment 0
		.amdhsa_system_sgpr_workgroup_id_x 1
		.amdhsa_system_sgpr_workgroup_id_y 0
		.amdhsa_system_sgpr_workgroup_id_z 0
		.amdhsa_system_sgpr_workgroup_info 0
		.amdhsa_system_vgpr_workitem_id 0
		.amdhsa_next_free_vgpr 26
		.amdhsa_next_free_sgpr 21
		.amdhsa_reserve_vcc 1
		.amdhsa_float_round_mode_32 0
		.amdhsa_float_round_mode_16_64 0
		.amdhsa_float_denorm_mode_32 3
		.amdhsa_float_denorm_mode_16_64 3
		.amdhsa_dx10_clamp 1
		.amdhsa_ieee_mode 1
		.amdhsa_fp16_overflow 0
		.amdhsa_workgroup_processor_mode 1
		.amdhsa_memory_ordered 1
		.amdhsa_forward_progress 0
		.amdhsa_shared_vgpr_count 0
		.amdhsa_exception_fp_ieee_invalid_op 0
		.amdhsa_exception_fp_denorm_src 0
		.amdhsa_exception_fp_ieee_div_zero 0
		.amdhsa_exception_fp_ieee_overflow 0
		.amdhsa_exception_fp_ieee_underflow 0
		.amdhsa_exception_fp_ieee_inexact 0
		.amdhsa_exception_int_div_zero 0
	.end_amdhsa_kernel
	.section	.text._ZN12tensorrt_llm7kernels32fusedQKNormRopeKernelNTokenHeadsIN3c104HalfES3_Li64ELb0ELi2EEEvPviiifPKvS6_S6_PKlii,"axG",@progbits,_ZN12tensorrt_llm7kernels32fusedQKNormRopeKernelNTokenHeadsIN3c104HalfES3_Li64ELb0ELi2EEEvPviiifPKvS6_S6_PKlii,comdat
.Lfunc_end31:
	.size	_ZN12tensorrt_llm7kernels32fusedQKNormRopeKernelNTokenHeadsIN3c104HalfES3_Li64ELb0ELi2EEEvPviiifPKvS6_S6_PKlii, .Lfunc_end31-_ZN12tensorrt_llm7kernels32fusedQKNormRopeKernelNTokenHeadsIN3c104HalfES3_Li64ELb0ELi2EEEvPviiifPKvS6_S6_PKlii
                                        ; -- End function
	.section	.AMDGPU.csdata,"",@progbits
; Kernel info:
; codeLenInByte = 1908
; NumSgprs: 23
; NumVgprs: 26
; ScratchSize: 0
; MemoryBound: 0
; FloatMode: 240
; IeeeMode: 1
; LDSByteSize: 0 bytes/workgroup (compile time only)
; SGPRBlocks: 2
; VGPRBlocks: 3
; NumSGPRsForWavesPerEU: 23
; NumVGPRsForWavesPerEU: 26
; Occupancy: 16
; WaveLimiterHint : 0
; COMPUTE_PGM_RSRC2:SCRATCH_EN: 0
; COMPUTE_PGM_RSRC2:USER_SGPR: 15
; COMPUTE_PGM_RSRC2:TRAP_HANDLER: 0
; COMPUTE_PGM_RSRC2:TGID_X_EN: 1
; COMPUTE_PGM_RSRC2:TGID_Y_EN: 0
; COMPUTE_PGM_RSRC2:TGID_Z_EN: 0
; COMPUTE_PGM_RSRC2:TIDIG_COMP_CNT: 0
	.section	.text._ZN12tensorrt_llm7kernels32fusedQKNormRopeKernelNTokenHeadsIN3c104HalfES3_Li128ELb1ELi2EEEvPviiifPKvS6_S6_PKlii,"axG",@progbits,_ZN12tensorrt_llm7kernels32fusedQKNormRopeKernelNTokenHeadsIN3c104HalfES3_Li128ELb1ELi2EEEvPviiifPKvS6_S6_PKlii,comdat
	.protected	_ZN12tensorrt_llm7kernels32fusedQKNormRopeKernelNTokenHeadsIN3c104HalfES3_Li128ELb1ELi2EEEvPviiifPKvS6_S6_PKlii ; -- Begin function _ZN12tensorrt_llm7kernels32fusedQKNormRopeKernelNTokenHeadsIN3c104HalfES3_Li128ELb1ELi2EEEvPviiifPKvS6_S6_PKlii
	.globl	_ZN12tensorrt_llm7kernels32fusedQKNormRopeKernelNTokenHeadsIN3c104HalfES3_Li128ELb1ELi2EEEvPviiifPKvS6_S6_PKlii
	.p2align	8
	.type	_ZN12tensorrt_llm7kernels32fusedQKNormRopeKernelNTokenHeadsIN3c104HalfES3_Li128ELb1ELi2EEEvPviiifPKvS6_S6_PKlii,@function
_ZN12tensorrt_llm7kernels32fusedQKNormRopeKernelNTokenHeadsIN3c104HalfES3_Li128ELb1ELi2EEEvPviiifPKvS6_S6_PKlii: ; @_ZN12tensorrt_llm7kernels32fusedQKNormRopeKernelNTokenHeadsIN3c104HalfES3_Li128ELb1ELi2EEEvPviiifPKvS6_S6_PKlii
; %bb.0:
	s_clause 0x1
	s_load_b128 s[16:19], s[0:1], 0x8
	s_load_b64 s[2:3], s[0:1], 0x38
	v_lshrrev_b32_e32 v2, 5, v0
	s_waitcnt lgkmcnt(0)
	s_add_i32 s4, s17, s16
	s_delay_alu instid0(SALU_CYCLE_1) | instskip(NEXT) | instid1(SALU_CYCLE_1)
	s_add_i32 s5, s4, 1
	s_lshr_b32 s6, s5, 31
	s_delay_alu instid0(SALU_CYCLE_1) | instskip(NEXT) | instid1(SALU_CYCLE_1)
	s_add_i32 s5, s5, s6
	s_ashr_i32 s14, s5, 1
	s_load_b32 s5, s[0:1], 0x4c
	s_abs_i32 s6, s14
	s_delay_alu instid0(SALU_CYCLE_1) | instskip(SKIP_1) | instid1(VALU_DEP_1)
	v_cvt_f32_u32_e32 v1, s6
	s_sub_i32 s7, 0, s6
	v_rcp_iflag_f32_e32 v1, v1
	s_waitcnt_depctr 0xfff
	v_mul_f32_e32 v1, 0x4f7ffffe, v1
	s_waitcnt lgkmcnt(0)
	s_bfe_u32 s5, s5, 0xb0005
	s_delay_alu instid0(SALU_CYCLE_1) | instskip(NEXT) | instid1(VALU_DEP_2)
	v_mad_u64_u32 v[3:4], null, s15, s5, v[2:3]
	v_cvt_u32_f32_e32 v1, v1
	s_delay_alu instid0(VALU_DEP_1) | instskip(NEXT) | instid1(VALU_DEP_1)
	v_mul_lo_u32 v5, s7, v1
	v_mul_hi_u32 v4, v1, v5
	s_delay_alu instid0(VALU_DEP_4) | instskip(NEXT) | instid1(VALU_DEP_1)
	v_sub_nc_u32_e32 v5, 0, v3
	v_max_i32_e32 v5, v3, v5
	s_delay_alu instid0(VALU_DEP_3) | instskip(NEXT) | instid1(VALU_DEP_1)
	v_add_nc_u32_e32 v1, v1, v4
	v_mul_hi_u32 v1, v5, v1
	s_delay_alu instid0(VALU_DEP_1) | instskip(NEXT) | instid1(VALU_DEP_1)
	v_mul_lo_u32 v4, v1, s6
	v_sub_nc_u32_e32 v4, v5, v4
	v_add_nc_u32_e32 v5, 1, v1
	s_delay_alu instid0(VALU_DEP_2) | instskip(SKIP_1) | instid1(VALU_DEP_2)
	v_subrev_nc_u32_e32 v6, s6, v4
	v_cmp_le_u32_e32 vcc_lo, s6, v4
	v_dual_cndmask_b32 v4, v4, v6 :: v_dual_cndmask_b32 v1, v1, v5
	v_xor_b32_e32 v5, s14, v3
	s_delay_alu instid0(VALU_DEP_2) | instskip(NEXT) | instid1(VALU_DEP_3)
	v_cmp_le_u32_e32 vcc_lo, s6, v4
	v_add_nc_u32_e32 v6, 1, v1
	s_delay_alu instid0(VALU_DEP_3) | instskip(NEXT) | instid1(VALU_DEP_2)
	v_ashrrev_i32_e32 v5, 31, v5
	v_cndmask_b32_e32 v1, v1, v6, vcc_lo
	s_delay_alu instid0(VALU_DEP_1) | instskip(NEXT) | instid1(VALU_DEP_1)
	v_xor_b32_e32 v1, v1, v5
	v_sub_nc_u32_e32 v1, v1, v5
	s_delay_alu instid0(VALU_DEP_1)
	v_cmp_gt_i32_e32 vcc_lo, s2, v1
	s_and_saveexec_b32 s2, vcc_lo
	s_cbranch_execz .LBB32_12
; %bb.1:
	v_mul_lo_u32 v4, v1, s14
	s_load_b64 s[12:13], s[0:1], 0x0
	v_and_b32_e32 v8, 31, v0
	v_lshlrev_b32_e32 v10, 9, v2
	v_lshlrev_b32_e32 v0, 8, v3
	s_lshl_b32 s20, s3, 1
	s_delay_alu instid0(VALU_DEP_3) | instskip(SKIP_2) | instid1(VALU_DEP_1)
	v_lshlrev_b32_e32 v9, 3, v8
	v_sub_nc_u32_e32 v4, v3, v4
	s_mul_i32 s15, s20, s5
	v_lshlrev_b32_e32 v6, 1, v4
	s_delay_alu instid0(VALU_DEP_1) | instskip(SKIP_1) | instid1(VALU_DEP_2)
	v_add_nc_u32_e32 v4, 2, v6
	v_sub_nc_u32_e32 v5, s4, v6
	v_cmp_lt_i32_e32 vcc_lo, s4, v4
	s_delay_alu instid0(VALU_DEP_2) | instskip(NEXT) | instid1(VALU_DEP_1)
	v_cndmask_b32_e32 v7, 2, v5, vcc_lo
	v_cmp_lt_i32_e32 vcc_lo, 0, v7
	s_and_saveexec_b32 s4, vcc_lo
	s_cbranch_execz .LBB32_4
; %bb.2:
	s_add_i32 s2, s18, s17
	s_lshl_b32 s5, s14, 1
	s_add_i32 s2, s2, s16
	s_mov_b32 s6, 0
	s_sub_i32 s2, s2, s5
	s_mov_b32 s5, 0
	v_mul_lo_u32 v3, s2, v1
	s_add_i32 s2, s15, 0
	s_delay_alu instid0(SALU_CYCLE_1) | instskip(NEXT) | instid1(VALU_DEP_2)
	v_add3_u32 v5, s2, v10, v9
	v_lshl_add_u32 v3, v3, 7, v0
	s_delay_alu instid0(VALU_DEP_1)
	v_lshl_or_b32 v3, v8, 2, v3
	.p2align	6
.LBB32_3:                               ; =>This Inner Loop Header: Depth=1
	s_delay_alu instid0(VALU_DEP_1) | instskip(SKIP_1) | instid1(VALU_DEP_1)
	v_ashrrev_i32_e32 v4, 31, v3
	s_add_i32 s6, s6, 1
	v_lshlrev_b64 v[11:12], 1, v[3:4]
	v_add_nc_u32_e32 v3, 0x80, v3
	s_waitcnt lgkmcnt(0)
	s_delay_alu instid0(VALU_DEP_2) | instskip(NEXT) | instid1(VALU_DEP_1)
	v_add_co_u32 v11, s2, s12, v11
	v_add_co_ci_u32_e64 v12, s2, s13, v12, s2
	v_cmp_ge_i32_e64 s2, s6, v7
	global_load_b64 v[11:12], v[11:12], off
	s_or_b32 s5, s2, s5
	s_waitcnt vmcnt(0)
	ds_store_b64 v5, v[11:12]
	v_add_nc_u32_e32 v5, 0x100, v5
	s_and_not1_b32 exec_lo, exec_lo, s5
	s_cbranch_execnz .LBB32_3
.LBB32_4:
	s_or_b32 exec_lo, exec_lo, s4
	s_load_b256 s[4:11], s[0:1], 0x18
	v_mul_lo_u32 v2, v2, s3
	s_add_i32 s0, s20, 15
	s_mov_b32 s20, exec_lo
	s_ashr_i32 s1, s0, 31
	s_delay_alu instid0(SALU_CYCLE_1) | instskip(NEXT) | instid1(SALU_CYCLE_1)
	s_lshr_b32 s1, s1, 28
	s_add_i32 s0, s0, s1
	s_delay_alu instid0(VALU_DEP_1) | instskip(SKIP_1) | instid1(SALU_CYCLE_1)
	v_lshlrev_b32_e32 v11, 1, v2
	s_ashr_i32 s2, s0, 4
	v_cmpx_gt_i32_e64 s2, v8
	s_cbranch_execz .LBB32_7
; %bb.5:
	v_ashrrev_i32_e32 v2, 31, v1
	s_delay_alu instid0(VALU_DEP_1) | instskip(SKIP_1) | instid1(VALU_DEP_1)
	v_lshlrev_b64 v[2:3], 3, v[1:2]
	s_waitcnt lgkmcnt(0)
	v_add_co_u32 v2, s0, s10, v2
	s_delay_alu instid0(VALU_DEP_1)
	v_add_co_ci_u32_e64 v3, s0, s11, v3, s0
	s_ashr_i32 s0, s3, 31
	global_load_b64 v[2:3], v[2:3], off
	s_waitcnt vmcnt(0)
	v_mul_lo_u32 v5, v3, s3
	v_mul_lo_u32 v12, v2, s0
	v_mad_u64_u32 v[3:4], null, v2, s3, 0
	s_delay_alu instid0(VALU_DEP_1) | instskip(SKIP_1) | instid1(VALU_DEP_2)
	v_add3_u32 v4, v4, v12, v5
	v_mov_b32_e32 v5, v8
	v_lshlrev_b64 v[2:3], 1, v[3:4]
	v_lshlrev_b32_e32 v4, 4, v8
	s_delay_alu instid0(VALU_DEP_1) | instskip(NEXT) | instid1(VALU_DEP_1)
	v_add_co_u32 v2, s0, v2, v4
	v_add_co_ci_u32_e64 v3, s0, 0, v3, s0
	v_add3_u32 v4, v11, v4, 0
	s_delay_alu instid0(VALU_DEP_3) | instskip(NEXT) | instid1(VALU_DEP_1)
	v_add_co_u32 v2, s0, s8, v2
	v_add_co_ci_u32_e64 v3, s0, s9, v3, s0
	s_mov_b32 s8, 0
	.p2align	6
.LBB32_6:                               ; =>This Inner Loop Header: Depth=1
	global_load_b128 v[12:15], v[2:3], off
	v_add_nc_u32_e32 v5, 32, v5
	v_add_co_u32 v2, s0, 0x200, v2
	s_delay_alu instid0(VALU_DEP_1) | instskip(NEXT) | instid1(VALU_DEP_3)
	v_add_co_ci_u32_e64 v3, s0, 0, v3, s0
	v_cmp_le_i32_e64 s1, s2, v5
	s_delay_alu instid0(VALU_DEP_1)
	s_or_b32 s8, s1, s8
	s_waitcnt vmcnt(0)
	ds_store_b128 v4, v[12:15]
	v_add_nc_u32_e32 v4, 0x200, v4
	s_and_not1_b32 exec_lo, exec_lo, s8
	s_cbranch_execnz .LBB32_6
.LBB32_7:
	s_or_b32 exec_lo, exec_lo, s20
	s_delay_alu instid0(SALU_CYCLE_1)
	s_and_b32 exec_lo, exec_lo, vcc_lo
	s_cbranch_execz .LBB32_12
; %bb.8:
	s_waitcnt lgkmcnt(0)
	s_clause 0x1
	global_load_b64 v[2:3], v9, s[4:5]
	global_load_b64 v[4:5], v9, s[6:7]
	v_mbcnt_lo_u32_b32 v12, -1, 0
	s_lshr_b32 s0, s3, 31
	s_ashr_i32 s1, s3, 31
	s_add_i32 s0, s3, s0
	s_lshr_b32 s1, s1, 30
	v_xor_b32_e32 v14, 16, v12
	s_and_b32 s5, s0, -2
	s_add_i32 s0, s3, s1
	v_lshlrev_b32_e32 v16, 2, v8
	s_ashr_i32 s0, s0, 2
	v_xor_b32_e32 v15, 8, v12
	v_cmp_gt_i32_e32 vcc_lo, s0, v8
	v_cmp_gt_i32_e64 s0, 32, v14
	v_add_nc_u32_e32 v13, s15, v10
	v_xor_b32_e32 v17, 4, v12
	v_add3_u32 v10, 0, v11, v16
	v_xor_b32_e32 v18, 2, v12
	v_cndmask_b32_e64 v11, v12, v14, s0
	v_cmp_gt_i32_e64 s0, 32, v15
	v_add3_u32 v9, v13, v9, 0
	s_add_i32 s2, s18, s17
	s_lshl_b32 s4, s14, 1
	s_add_i32 s2, s2, s16
	v_cndmask_b32_e64 v13, v12, v15, s0
	v_cmp_gt_i32_e64 s0, 32, v17
	s_sub_i32 s1, s2, s4
	v_xor_b32_e32 v19, 1, v12
	v_mul_lo_u32 v1, s1, v1
	v_add_nc_u32_e32 v8, s5, v10
	v_cndmask_b32_e64 v14, v12, v17, s0
	v_cmp_gt_i32_e64 s0, 32, v18
	v_lshlrev_b32_e32 v11, 2, v11
	s_mov_b32 s2, 0
	s_mov_b32 s3, 0
	s_delay_alu instid0(VALU_DEP_2) | instskip(SKIP_2) | instid1(VALU_DEP_2)
	v_cndmask_b32_e64 v15, v12, v18, s0
	v_cmp_gt_i32_e64 s0, 32, v19
	v_lshl_add_u32 v0, v1, 7, v0
	v_cndmask_b32_e64 v17, v12, v19, s0
	v_lshlrev_b32_e32 v12, 2, v13
	v_lshlrev_b32_e32 v13, 2, v14
	;; [unrolled: 1-line block ×3, first 2 shown]
	v_or_b32_e32 v0, v0, v16
	v_lshlrev_b32_e32 v15, 2, v17
	s_waitcnt vmcnt(1)
	v_lshrrev_b32_e32 v16, 16, v2
	s_waitcnt vmcnt(0)
	v_lshrrev_b32_e32 v17, 16, v4
	v_lshrrev_b32_e32 v18, 16, v3
	;; [unrolled: 1-line block ×3, first 2 shown]
	s_branch .LBB32_10
.LBB32_9:                               ;   in Loop: Header=BB32_10 Depth=1
	s_or_b32 exec_lo, exec_lo, s0
	v_ashrrev_i32_e32 v1, 31, v0
	s_delay_alu instid0(VALU_DEP_2)
	v_cvt_f16_f32_e32 v24, v23
	v_cvt_f16_f32_e32 v25, v22
	s_add_i32 s3, s3, 1
	v_add_nc_u32_e32 v9, 0x100, v9
	v_lshlrev_b64 v[22:23], 1, v[0:1]
	v_cvt_f16_f32_e32 v1, v20
	v_cvt_f16_f32_e32 v20, v21
	v_pack_b32_f16 v21, v24, v25
	v_add_nc_u32_e32 v0, 0x80, v0
	v_add_co_u32 v22, s0, s12, v22
	s_delay_alu instid0(VALU_DEP_1) | instskip(SKIP_2) | instid1(VALU_DEP_2)
	v_add_co_ci_u32_e64 v23, s0, s13, v23, s0
	v_cmp_ge_i32_e64 s0, s3, v7
	v_pack_b32_f16 v20, v1, v20
	s_or_b32 s2, s0, s2
	global_store_b64 v[22:23], v[20:21], off
	s_and_not1_b32 exec_lo, exec_lo, s2
	s_cbranch_execz .LBB32_12
.LBB32_10:                              ; =>This Inner Loop Header: Depth=1
	ds_load_b64 v[20:21], v9
	s_waitcnt lgkmcnt(0)
	v_lshrrev_b32_e32 v1, 16, v20
	v_lshrrev_b32_e32 v28, 16, v21
	s_delay_alu instid0(VALU_DEP_2) | instskip(NEXT) | instid1(VALU_DEP_2)
	v_cvt_f32_f16_e32 v1, v1
	v_cvt_f32_f16_e32 v28, v28
	s_delay_alu instid0(VALU_DEP_2) | instskip(NEXT) | instid1(VALU_DEP_1)
	v_mul_f32_e32 v22, v1, v1
	v_fma_mix_f32 v22, v20, v20, v22 op_sel_hi:[1,1,0]
	v_cvt_f32_f16_e32 v20, v20
	s_delay_alu instid0(VALU_DEP_2) | instskip(NEXT) | instid1(VALU_DEP_1)
	v_fma_mix_f32 v22, v21, v21, v22 op_sel_hi:[1,1,0]
	v_fma_mix_f32 v22, v21, v21, v22 op_sel:[1,1,0] op_sel_hi:[1,1,0]
	ds_bpermute_b32 v23, v11, v22
	s_waitcnt lgkmcnt(0)
	v_add_f32_e32 v22, v22, v23
	ds_bpermute_b32 v23, v12, v22
	s_waitcnt lgkmcnt(0)
	v_add_f32_e32 v22, v22, v23
	;; [unrolled: 3-line block ×5, first 2 shown]
	s_delay_alu instid0(VALU_DEP_1) | instskip(NEXT) | instid1(VALU_DEP_1)
	v_fma_f32 v22, 0x3c000000, v22, s19
	v_mul_f32_e32 v23, 0x4b800000, v22
	v_cmp_gt_f32_e64 s0, 0x800000, v22
	s_delay_alu instid0(VALU_DEP_1) | instskip(SKIP_1) | instid1(VALU_DEP_2)
	v_cndmask_b32_e64 v22, v22, v23, s0
	v_add_nc_u32_e32 v23, s3, v6
	v_rsq_f32_e32 v22, v22
	s_delay_alu instid0(VALU_DEP_1) | instskip(NEXT) | instid1(VALU_DEP_1)
	v_cmp_gt_i32_e64 s1, s16, v23
	v_cndmask_b32_e64 v23, v17, v16, s1
	v_cndmask_b32_e64 v24, v4, v2, s1
	;; [unrolled: 1-line block ×4, first 2 shown]
	s_delay_alu instid0(VALU_DEP_4) | instskip(NEXT) | instid1(TRANS32_DEP_1)
	v_cvt_f32_f16_e32 v23, v23
	v_mul_f32_e32 v26, 0x45800000, v22
	v_cvt_f32_f16_e32 v24, v24
	v_cvt_f32_f16_e32 v25, v25
	s_delay_alu instid0(VALU_DEP_3) | instskip(SKIP_2) | instid1(VALU_DEP_3)
	v_cndmask_b32_e64 v22, v22, v26, s0
	v_cvt_f32_f16_e32 v26, v27
	v_cvt_f32_f16_e32 v27, v21
	v_mul_f32_e32 v21, v22, v23
	v_mul_f32_e32 v23, v22, v24
	;; [unrolled: 1-line block ×4, first 2 shown]
	s_delay_alu instid0(VALU_DEP_3) | instskip(NEXT) | instid1(VALU_DEP_2)
	v_dual_mul_f32 v21, v21, v1 :: v_dual_mul_f32 v20, v23, v20
	v_dual_mul_f32 v22, v24, v28 :: v_dual_mul_f32 v23, v25, v27
	s_and_saveexec_b32 s0, vcc_lo
	s_cbranch_execz .LBB32_9
; %bb.11:                               ;   in Loop: Header=BB32_10 Depth=1
	ds_load_u16 v1, v8
	ds_load_u16 v24, v8 offset:2
	ds_load_u16 v25, v10
	ds_load_u16 v26, v10 offset:2
	s_waitcnt lgkmcnt(3)
	v_cvt_f32_f16_e32 v27, v1
	s_waitcnt lgkmcnt(2)
	v_cvt_f32_f16_e32 v28, v24
	;; [unrolled: 2-line block ×4, first 2 shown]
	v_dual_mul_f32 v27, v21, v27 :: v_dual_mul_f32 v28, v22, v28
	s_delay_alu instid0(VALU_DEP_2) | instskip(NEXT) | instid1(VALU_DEP_2)
	v_dual_mul_f32 v21, v21, v29 :: v_dual_mul_f32 v22, v22, v30
	v_fma_mix_f32 v25, v20, v25, -v27 op_sel_hi:[0,1,0]
	s_delay_alu instid0(VALU_DEP_3) | instskip(NEXT) | instid1(VALU_DEP_3)
	v_fma_mix_f32 v26, v23, v26, -v28 op_sel_hi:[0,1,0]
	v_fma_mix_f32 v21, v20, v1, v21 op_sel_hi:[0,1,0]
	s_delay_alu instid0(VALU_DEP_4) | instskip(NEXT) | instid1(VALU_DEP_3)
	v_fma_mix_f32 v22, v23, v24, v22 op_sel_hi:[0,1,0]
	v_dual_mov_b32 v20, v25 :: v_dual_mov_b32 v23, v26
	s_branch .LBB32_9
.LBB32_12:
	s_nop 0
	s_sendmsg sendmsg(MSG_DEALLOC_VGPRS)
	s_endpgm
	.section	.rodata,"a",@progbits
	.p2align	6, 0x0
	.amdhsa_kernel _ZN12tensorrt_llm7kernels32fusedQKNormRopeKernelNTokenHeadsIN3c104HalfES3_Li128ELb1ELi2EEEvPviiifPKvS6_S6_PKlii
		.amdhsa_group_segment_fixed_size 0
		.amdhsa_private_segment_fixed_size 0
		.amdhsa_kernarg_size 320
		.amdhsa_user_sgpr_count 15
		.amdhsa_user_sgpr_dispatch_ptr 0
		.amdhsa_user_sgpr_queue_ptr 0
		.amdhsa_user_sgpr_kernarg_segment_ptr 1
		.amdhsa_user_sgpr_dispatch_id 0
		.amdhsa_user_sgpr_private_segment_size 0
		.amdhsa_wavefront_size32 1
		.amdhsa_uses_dynamic_stack 0
		.amdhsa_enable_private_segment 0
		.amdhsa_system_sgpr_workgroup_id_x 1
		.amdhsa_system_sgpr_workgroup_id_y 0
		.amdhsa_system_sgpr_workgroup_id_z 0
		.amdhsa_system_sgpr_workgroup_info 0
		.amdhsa_system_vgpr_workitem_id 0
		.amdhsa_next_free_vgpr 31
		.amdhsa_next_free_sgpr 21
		.amdhsa_reserve_vcc 1
		.amdhsa_float_round_mode_32 0
		.amdhsa_float_round_mode_16_64 0
		.amdhsa_float_denorm_mode_32 3
		.amdhsa_float_denorm_mode_16_64 3
		.amdhsa_dx10_clamp 1
		.amdhsa_ieee_mode 1
		.amdhsa_fp16_overflow 0
		.amdhsa_workgroup_processor_mode 1
		.amdhsa_memory_ordered 1
		.amdhsa_forward_progress 0
		.amdhsa_shared_vgpr_count 0
		.amdhsa_exception_fp_ieee_invalid_op 0
		.amdhsa_exception_fp_denorm_src 0
		.amdhsa_exception_fp_ieee_div_zero 0
		.amdhsa_exception_fp_ieee_overflow 0
		.amdhsa_exception_fp_ieee_underflow 0
		.amdhsa_exception_fp_ieee_inexact 0
		.amdhsa_exception_int_div_zero 0
	.end_amdhsa_kernel
	.section	.text._ZN12tensorrt_llm7kernels32fusedQKNormRopeKernelNTokenHeadsIN3c104HalfES3_Li128ELb1ELi2EEEvPviiifPKvS6_S6_PKlii,"axG",@progbits,_ZN12tensorrt_llm7kernels32fusedQKNormRopeKernelNTokenHeadsIN3c104HalfES3_Li128ELb1ELi2EEEvPviiifPKvS6_S6_PKlii,comdat
.Lfunc_end32:
	.size	_ZN12tensorrt_llm7kernels32fusedQKNormRopeKernelNTokenHeadsIN3c104HalfES3_Li128ELb1ELi2EEEvPviiifPKvS6_S6_PKlii, .Lfunc_end32-_ZN12tensorrt_llm7kernels32fusedQKNormRopeKernelNTokenHeadsIN3c104HalfES3_Li128ELb1ELi2EEEvPviiifPKvS6_S6_PKlii
                                        ; -- End function
	.section	.AMDGPU.csdata,"",@progbits
; Kernel info:
; codeLenInByte = 1744
; NumSgprs: 23
; NumVgprs: 31
; ScratchSize: 0
; MemoryBound: 0
; FloatMode: 240
; IeeeMode: 1
; LDSByteSize: 0 bytes/workgroup (compile time only)
; SGPRBlocks: 2
; VGPRBlocks: 3
; NumSGPRsForWavesPerEU: 23
; NumVGPRsForWavesPerEU: 31
; Occupancy: 16
; WaveLimiterHint : 0
; COMPUTE_PGM_RSRC2:SCRATCH_EN: 0
; COMPUTE_PGM_RSRC2:USER_SGPR: 15
; COMPUTE_PGM_RSRC2:TRAP_HANDLER: 0
; COMPUTE_PGM_RSRC2:TGID_X_EN: 1
; COMPUTE_PGM_RSRC2:TGID_Y_EN: 0
; COMPUTE_PGM_RSRC2:TGID_Z_EN: 0
; COMPUTE_PGM_RSRC2:TIDIG_COMP_CNT: 0
	.section	.text._ZN12tensorrt_llm7kernels32fusedQKNormRopeKernelNTokenHeadsIN3c104HalfES3_Li128ELb0ELi2EEEvPviiifPKvS6_S6_PKlii,"axG",@progbits,_ZN12tensorrt_llm7kernels32fusedQKNormRopeKernelNTokenHeadsIN3c104HalfES3_Li128ELb0ELi2EEEvPviiifPKvS6_S6_PKlii,comdat
	.protected	_ZN12tensorrt_llm7kernels32fusedQKNormRopeKernelNTokenHeadsIN3c104HalfES3_Li128ELb0ELi2EEEvPviiifPKvS6_S6_PKlii ; -- Begin function _ZN12tensorrt_llm7kernels32fusedQKNormRopeKernelNTokenHeadsIN3c104HalfES3_Li128ELb0ELi2EEEvPviiifPKvS6_S6_PKlii
	.globl	_ZN12tensorrt_llm7kernels32fusedQKNormRopeKernelNTokenHeadsIN3c104HalfES3_Li128ELb0ELi2EEEvPviiifPKvS6_S6_PKlii
	.p2align	8
	.type	_ZN12tensorrt_llm7kernels32fusedQKNormRopeKernelNTokenHeadsIN3c104HalfES3_Li128ELb0ELi2EEEvPviiifPKvS6_S6_PKlii,@function
_ZN12tensorrt_llm7kernels32fusedQKNormRopeKernelNTokenHeadsIN3c104HalfES3_Li128ELb0ELi2EEEvPviiifPKvS6_S6_PKlii: ; @_ZN12tensorrt_llm7kernels32fusedQKNormRopeKernelNTokenHeadsIN3c104HalfES3_Li128ELb0ELi2EEEvPviiifPKvS6_S6_PKlii
; %bb.0:
	s_clause 0x1
	s_load_b128 s[16:19], s[0:1], 0x8
	s_load_b64 s[2:3], s[0:1], 0x38
	s_waitcnt lgkmcnt(0)
	s_add_i32 s4, s17, s16
	s_delay_alu instid0(SALU_CYCLE_1) | instskip(NEXT) | instid1(SALU_CYCLE_1)
	s_add_i32 s5, s4, 1
	s_lshr_b32 s6, s5, 31
	s_delay_alu instid0(SALU_CYCLE_1) | instskip(NEXT) | instid1(SALU_CYCLE_1)
	s_add_i32 s5, s5, s6
	s_ashr_i32 s14, s5, 1
	s_load_b32 s5, s[0:1], 0x4c
	s_abs_i32 s6, s14
	s_delay_alu instid0(SALU_CYCLE_1) | instskip(SKIP_1) | instid1(VALU_DEP_1)
	v_cvt_f32_u32_e32 v1, s6
	s_sub_i32 s7, 0, s6
	v_rcp_iflag_f32_e32 v1, v1
	s_waitcnt_depctr 0xfff
	v_mul_f32_e32 v1, 0x4f7ffffe, v1
	s_waitcnt lgkmcnt(0)
	s_bfe_u32 s5, s5, 0xb0005
	s_delay_alu instid0(VALU_DEP_1) | instskip(SKIP_1) | instid1(VALU_DEP_2)
	v_cvt_u32_f32_e32 v4, v1
	v_lshrrev_b32_e32 v1, 5, v0
	v_mul_lo_u32 v5, s7, v4
	s_delay_alu instid0(VALU_DEP_2) | instskip(NEXT) | instid1(VALU_DEP_2)
	v_mad_u64_u32 v[2:3], null, s15, s5, v[1:2]
	v_mul_hi_u32 v3, v4, v5
	s_delay_alu instid0(VALU_DEP_2) | instskip(NEXT) | instid1(VALU_DEP_1)
	v_sub_nc_u32_e32 v5, 0, v2
	v_max_i32_e32 v5, v2, v5
	s_delay_alu instid0(VALU_DEP_3) | instskip(NEXT) | instid1(VALU_DEP_1)
	v_add_nc_u32_e32 v3, v4, v3
	v_mul_hi_u32 v3, v5, v3
	s_delay_alu instid0(VALU_DEP_1) | instskip(NEXT) | instid1(VALU_DEP_1)
	v_mul_lo_u32 v4, v3, s6
	v_sub_nc_u32_e32 v4, v5, v4
	v_add_nc_u32_e32 v5, 1, v3
	s_delay_alu instid0(VALU_DEP_2) | instskip(SKIP_1) | instid1(VALU_DEP_2)
	v_subrev_nc_u32_e32 v6, s6, v4
	v_cmp_le_u32_e32 vcc_lo, s6, v4
	v_dual_cndmask_b32 v4, v4, v6 :: v_dual_cndmask_b32 v3, v3, v5
	v_xor_b32_e32 v5, s14, v2
	s_delay_alu instid0(VALU_DEP_2) | instskip(NEXT) | instid1(VALU_DEP_3)
	v_cmp_le_u32_e32 vcc_lo, s6, v4
	v_add_nc_u32_e32 v6, 1, v3
	s_delay_alu instid0(VALU_DEP_3) | instskip(NEXT) | instid1(VALU_DEP_2)
	v_ashrrev_i32_e32 v5, 31, v5
	v_cndmask_b32_e32 v3, v3, v6, vcc_lo
	s_delay_alu instid0(VALU_DEP_1) | instskip(NEXT) | instid1(VALU_DEP_1)
	v_xor_b32_e32 v3, v3, v5
	v_sub_nc_u32_e32 v4, v3, v5
	s_delay_alu instid0(VALU_DEP_1)
	v_cmp_gt_i32_e32 vcc_lo, s2, v4
	s_and_saveexec_b32 s2, vcc_lo
	s_cbranch_execz .LBB33_12
; %bb.1:
	v_mul_lo_u32 v3, v4, s14
	s_load_b64 s[12:13], s[0:1], 0x0
	v_and_b32_e32 v9, 31, v0
	v_lshlrev_b32_e32 v11, 9, v1
	v_lshlrev_b32_e32 v10, 8, v2
	s_lshl_b32 s20, s3, 1
	s_delay_alu instid0(VALU_DEP_3) | instskip(SKIP_2) | instid1(VALU_DEP_1)
	v_lshlrev_b32_e32 v8, 3, v9
	v_sub_nc_u32_e32 v3, v2, v3
	s_mul_i32 s15, s20, s5
	v_lshlrev_b32_e32 v6, 1, v3
	s_delay_alu instid0(VALU_DEP_1) | instskip(SKIP_1) | instid1(VALU_DEP_2)
	v_add_nc_u32_e32 v3, 2, v6
	v_sub_nc_u32_e32 v5, s4, v6
	v_cmp_lt_i32_e32 vcc_lo, s4, v3
	s_delay_alu instid0(VALU_DEP_2) | instskip(NEXT) | instid1(VALU_DEP_1)
	v_cndmask_b32_e32 v7, 2, v5, vcc_lo
	v_cmp_lt_i32_e32 vcc_lo, 0, v7
	s_and_saveexec_b32 s4, vcc_lo
	s_cbranch_execz .LBB33_4
; %bb.2:
	s_add_i32 s2, s18, s17
	s_lshl_b32 s5, s14, 1
	s_add_i32 s2, s2, s16
	s_mov_b32 s6, 0
	s_sub_i32 s2, s2, s5
	s_mov_b32 s5, 0
	v_mul_lo_u32 v0, s2, v4
	s_add_i32 s2, s15, 0
	s_delay_alu instid0(VALU_DEP_1) | instskip(SKIP_1) | instid1(VALU_DEP_2)
	v_lshl_add_u32 v2, v0, 7, v10
	v_add3_u32 v0, s2, v11, v8
	v_lshl_or_b32 v2, v9, 2, v2
	.p2align	6
.LBB33_3:                               ; =>This Inner Loop Header: Depth=1
	s_delay_alu instid0(VALU_DEP_1) | instskip(SKIP_1) | instid1(VALU_DEP_1)
	v_ashrrev_i32_e32 v3, 31, v2
	s_add_i32 s6, s6, 1
	v_lshlrev_b64 v[12:13], 1, v[2:3]
	v_add_nc_u32_e32 v2, 0x80, v2
	s_waitcnt lgkmcnt(0)
	s_delay_alu instid0(VALU_DEP_2) | instskip(NEXT) | instid1(VALU_DEP_1)
	v_add_co_u32 v12, s2, s12, v12
	v_add_co_ci_u32_e64 v13, s2, s13, v13, s2
	v_cmp_ge_i32_e64 s2, s6, v7
	global_load_b64 v[12:13], v[12:13], off
	s_or_b32 s5, s2, s5
	s_waitcnt vmcnt(0)
	ds_store_b64 v0, v[12:13]
	v_add_nc_u32_e32 v0, 0x100, v0
	s_and_not1_b32 exec_lo, exec_lo, s5
	s_cbranch_execnz .LBB33_3
.LBB33_4:
	s_or_b32 exec_lo, exec_lo, s4
	s_load_b256 s[4:11], s[0:1], 0x18
	s_add_i32 s0, s20, 15
	v_mul_lo_u32 v12, v1, s3
	s_ashr_i32 s1, s0, 31
	s_mov_b32 s20, exec_lo
	s_lshr_b32 s1, s1, 28
	s_delay_alu instid0(SALU_CYCLE_1) | instskip(NEXT) | instid1(SALU_CYCLE_1)
	s_add_i32 s0, s0, s1
	s_ashr_i32 s2, s0, 4
	s_delay_alu instid0(SALU_CYCLE_1)
	v_cmpx_gt_i32_e64 s2, v9
	s_cbranch_execz .LBB33_7
; %bb.5:
	v_ashrrev_i32_e32 v5, 31, v4
	s_delay_alu instid0(VALU_DEP_1) | instskip(SKIP_1) | instid1(VALU_DEP_1)
	v_lshlrev_b64 v[0:1], 3, v[4:5]
	s_waitcnt lgkmcnt(0)
	v_add_co_u32 v0, s0, s10, v0
	s_delay_alu instid0(VALU_DEP_1)
	v_add_co_ci_u32_e64 v1, s0, s11, v1, s0
	s_ashr_i32 s0, s3, 31
	global_load_b64 v[0:1], v[0:1], off
	s_waitcnt vmcnt(0)
	v_mul_lo_u32 v3, v1, s3
	v_mul_lo_u32 v5, v0, s0
	v_mad_u64_u32 v[1:2], null, v0, s3, 0
	s_delay_alu instid0(VALU_DEP_1) | instskip(SKIP_1) | instid1(VALU_DEP_2)
	v_add3_u32 v2, v2, v5, v3
	v_lshlrev_b32_e32 v3, 1, v12
	v_lshlrev_b64 v[0:1], 1, v[1:2]
	v_lshlrev_b32_e32 v2, 4, v9
	s_delay_alu instid0(VALU_DEP_1) | instskip(NEXT) | instid1(VALU_DEP_1)
	v_add_co_u32 v0, s0, v0, v2
	v_add_co_ci_u32_e64 v1, s0, 0, v1, s0
	v_add3_u32 v2, v3, v2, 0
	v_mov_b32_e32 v3, v9
	s_delay_alu instid0(VALU_DEP_4) | instskip(NEXT) | instid1(VALU_DEP_1)
	v_add_co_u32 v0, s0, s8, v0
	v_add_co_ci_u32_e64 v1, s0, s9, v1, s0
	s_mov_b32 s8, 0
	.p2align	6
.LBB33_6:                               ; =>This Inner Loop Header: Depth=1
	global_load_b128 v[13:16], v[0:1], off
	v_add_nc_u32_e32 v3, 32, v3
	v_add_co_u32 v0, s0, 0x200, v0
	s_delay_alu instid0(VALU_DEP_1) | instskip(NEXT) | instid1(VALU_DEP_3)
	v_add_co_ci_u32_e64 v1, s0, 0, v1, s0
	v_cmp_le_i32_e64 s1, s2, v3
	s_delay_alu instid0(VALU_DEP_1)
	s_or_b32 s8, s1, s8
	s_waitcnt vmcnt(0)
	ds_store_b128 v2, v[13:16]
	v_add_nc_u32_e32 v2, 0x200, v2
	s_and_not1_b32 exec_lo, exec_lo, s8
	s_cbranch_execnz .LBB33_6
.LBB33_7:
	s_or_b32 exec_lo, exec_lo, s20
	s_delay_alu instid0(SALU_CYCLE_1)
	s_and_b32 exec_lo, exec_lo, vcc_lo
	s_cbranch_execz .LBB33_12
; %bb.8:
	s_waitcnt lgkmcnt(0)
	s_clause 0x1
	global_load_b64 v[0:1], v8, s[4:5]
	global_load_b64 v[2:3], v8, s[6:7]
	s_abs_i32 s2, s3
	v_lshl_add_u32 v21, v12, 1, 0
	v_cvt_f32_u32_e32 v5, s2
	v_mbcnt_lo_u32_b32 v12, -1, 0
	s_lshr_b32 s0, s3, 31
	s_ashr_i32 s1, s3, 31
	s_add_i32 s0, s3, s0
	s_lshr_b32 s6, s1, 30
	s_lshr_b32 s1, s1, 29
	v_rcp_iflag_f32_e32 v5, v5
	v_add_nc_u32_e32 v27, s15, v11
	v_xor_b32_e32 v11, 16, v12
	s_add_i32 s4, s18, s17
	s_and_b32 s0, s0, -2
	s_add_i32 s6, s3, s6
	s_add_i32 s1, s3, s1
	s_lshl_b32 s5, s14, 1
	s_add_i32 s4, s4, s16
	v_add_nc_u32_e32 v22, s0, v21
	s_ashr_i32 s0, s6, 2
	s_ashr_i32 s1, s1, 3
	s_sub_i32 s3, s4, s5
	v_cmp_gt_i32_e32 vcc_lo, s0, v9
	v_xor_b32_e32 v23, s1, v12
	v_cmp_gt_i32_e64 s0, s1, v9
	v_cmp_gt_i32_e64 s1, 32, v11
	v_mul_lo_u32 v4, s3, v4
	s_sub_i32 s7, 0, s2
	v_xor_b32_e32 v13, 8, v12
	v_xor_b32_e32 v18, 4, v12
	v_cndmask_b32_e64 v11, v12, v11, s1
	v_mul_f32_e32 v5, 0x4f7ffffe, v5
	v_xor_b32_e32 v19, 2, v12
	v_cmp_gt_i32_e64 s1, 32, v13
	v_lshl_add_u32 v4, v4, 7, v10
	v_lshlrev_b32_e32 v10, 2, v11
	v_cvt_u32_f32_e32 v5, v5
	v_or_b32_e32 v14, 2, v8
	v_cndmask_b32_e64 v13, v12, v13, s1
	v_cmp_gt_i32_e64 s1, 32, v18
	v_or_b32_e32 v15, 4, v8
	v_mul_lo_u32 v17, s7, v5
	v_or_b32_e32 v16, 6, v8
	v_xor_b32_e32 v20, 1, v12
	v_lshlrev_b32_e32 v11, 2, v13
	v_lshl_or_b32 v4, v9, 2, v4
	s_mov_b32 s3, 0
	s_mov_b32 s4, 0
	v_mul_hi_u32 v17, v5, v17
	s_delay_alu instid0(VALU_DEP_1) | instskip(SKIP_2) | instid1(VALU_DEP_3)
	v_add_nc_u32_e32 v5, v5, v17
	v_cndmask_b32_e64 v17, v12, v18, s1
	v_cmp_gt_i32_e64 s1, 32, v19
	v_mul_hi_u32 v24, v14, v5
	v_mul_hi_u32 v25, v15, v5
	s_delay_alu instid0(VALU_DEP_3) | instskip(SKIP_3) | instid1(VALU_DEP_4)
	v_cndmask_b32_e64 v18, v12, v19, s1
	v_mul_hi_u32 v19, v8, v5
	v_mul_hi_u32 v5, v16, v5
	v_cmp_gt_i32_e64 s1, 32, v20
	v_lshlrev_b32_e32 v13, 2, v18
	v_mul_lo_u32 v24, v24, s2
	v_mul_lo_u32 v25, v25, s2
	s_delay_alu instid0(VALU_DEP_4) | instskip(SKIP_4) | instid1(VALU_DEP_3)
	v_cndmask_b32_e64 v20, v12, v20, s1
	v_mul_lo_u32 v19, v19, s2
	v_cmp_gt_i32_e64 s1, 32, v23
	v_mul_lo_u32 v5, v5, s2
	v_sub_nc_u32_e32 v18, v14, v24
	v_cndmask_b32_e64 v23, v12, v23, s1
	v_lshlrev_b32_e32 v12, 2, v17
	v_sub_nc_u32_e32 v17, v8, v19
	v_sub_nc_u32_e32 v15, v15, v25
	;; [unrolled: 1-line block ×3, first 2 shown]
	v_subrev_nc_u32_e32 v19, s2, v18
	v_lshlrev_b32_e32 v14, 2, v20
	v_subrev_nc_u32_e32 v16, s2, v17
	v_cmp_le_u32_e64 s1, s2, v17
	v_subrev_nc_u32_e32 v20, s2, v15
	v_subrev_nc_u32_e32 v24, s2, v5
	v_add3_u32 v8, v27, v8, 0
	s_delay_alu instid0(VALU_DEP_4) | instskip(SKIP_1) | instid1(VALU_DEP_1)
	v_cndmask_b32_e64 v16, v17, v16, s1
	v_cmp_le_u32_e64 s1, s2, v18
	v_cndmask_b32_e64 v17, v18, v19, s1
	v_cmp_le_u32_e64 s1, s2, v15
	s_delay_alu instid0(VALU_DEP_4) | instskip(NEXT) | instid1(VALU_DEP_2)
	v_subrev_nc_u32_e32 v19, s2, v16
	v_cndmask_b32_e64 v18, v15, v20, s1
	v_cmp_le_u32_e64 s1, s2, v5
	v_subrev_nc_u32_e32 v20, s2, v17
	v_lshlrev_b32_e32 v15, 2, v23
	s_delay_alu instid0(VALU_DEP_4) | instskip(NEXT) | instid1(VALU_DEP_4)
	v_subrev_nc_u32_e32 v23, s2, v18
	v_cndmask_b32_e64 v5, v5, v24, s1
	v_cmp_le_u32_e64 s1, s2, v16
	s_delay_alu instid0(VALU_DEP_2) | instskip(NEXT) | instid1(VALU_DEP_2)
	v_subrev_nc_u32_e32 v24, s2, v5
	v_cndmask_b32_e64 v16, v16, v19, s1
	v_cmp_le_u32_e64 s1, s2, v17
	s_delay_alu instid0(VALU_DEP_2) | instskip(NEXT) | instid1(VALU_DEP_2)
	v_and_b32_e32 v16, -2, v16
	v_cndmask_b32_e64 v17, v17, v20, s1
	v_cmp_le_u32_e64 s1, s2, v18
	s_delay_alu instid0(VALU_DEP_3) | instskip(NEXT) | instid1(VALU_DEP_3)
	v_add_nc_u32_e32 v9, v21, v16
	v_and_b32_e32 v19, -2, v17
	s_delay_alu instid0(VALU_DEP_3) | instskip(SKIP_2) | instid1(VALU_DEP_4)
	v_cndmask_b32_e64 v18, v18, v23, s1
	v_cmp_le_u32_e64 s1, s2, v5
	v_add_nc_u32_e32 v16, v22, v16
	v_add_nc_u32_e32 v17, v21, v19
	s_delay_alu instid0(VALU_DEP_4) | instskip(NEXT) | instid1(VALU_DEP_4)
	v_and_b32_e32 v20, -2, v18
	v_cndmask_b32_e64 v5, v5, v24, s1
	v_add_nc_u32_e32 v18, v22, v19
	s_delay_alu instid0(VALU_DEP_3) | instskip(NEXT) | instid1(VALU_DEP_3)
	v_add_nc_u32_e32 v19, v21, v20
	v_and_b32_e32 v5, -2, v5
	v_add_nc_u32_e32 v20, v22, v20
	s_delay_alu instid0(VALU_DEP_2)
	v_add_nc_u32_e32 v21, v21, v5
	v_add_nc_u32_e32 v22, v22, v5
	s_waitcnt vmcnt(1)
	v_lshrrev_b32_e32 v23, 16, v0
	v_lshrrev_b32_e32 v24, 16, v1
	s_waitcnt vmcnt(0)
	v_lshrrev_b32_e32 v25, 16, v2
	v_lshrrev_b32_e32 v26, 16, v3
	s_branch .LBB33_10
.LBB33_9:                               ;   in Loop: Header=BB33_10 Depth=1
	s_or_b32 exec_lo, exec_lo, s1
	v_ashrrev_i32_e32 v5, 31, v4
	v_cvt_f16_f32_e32 v31, v29
	v_cvt_f16_f32_e32 v32, v30
	s_add_i32 s4, s4, 1
	v_add_nc_u32_e32 v8, 0x100, v8
	v_lshlrev_b64 v[29:30], 1, v[4:5]
	v_cvt_f16_f32_e32 v5, v27
	v_cvt_f16_f32_e32 v27, v28
	v_pack_b32_f16 v28, v31, v32
	v_add_nc_u32_e32 v4, 0x80, v4
	v_add_co_u32 v29, s1, s12, v29
	s_delay_alu instid0(VALU_DEP_1) | instskip(SKIP_2) | instid1(VALU_DEP_2)
	v_add_co_ci_u32_e64 v30, s1, s13, v30, s1
	v_cmp_ge_i32_e64 s1, s4, v7
	v_pack_b32_f16 v27, v5, v27
	s_or_b32 s3, s1, s3
	global_store_b64 v[29:30], v[27:28], off
	s_and_not1_b32 exec_lo, exec_lo, s3
	s_cbranch_execz .LBB33_12
.LBB33_10:                              ; =>This Inner Loop Header: Depth=1
	ds_load_b64 v[27:28], v8
	s_waitcnt lgkmcnt(0)
	v_lshrrev_b32_e32 v5, 16, v27
	v_lshrrev_b32_e32 v35, 16, v28
	s_delay_alu instid0(VALU_DEP_2) | instskip(NEXT) | instid1(VALU_DEP_2)
	v_cvt_f32_f16_e32 v5, v5
	v_cvt_f32_f16_e32 v35, v35
	s_delay_alu instid0(VALU_DEP_2) | instskip(NEXT) | instid1(VALU_DEP_1)
	v_mul_f32_e32 v29, v5, v5
	v_fma_mix_f32 v29, v27, v27, v29 op_sel_hi:[1,1,0]
	v_cvt_f32_f16_e32 v27, v27
	s_delay_alu instid0(VALU_DEP_2) | instskip(NEXT) | instid1(VALU_DEP_1)
	v_fma_mix_f32 v29, v28, v28, v29 op_sel_hi:[1,1,0]
	v_fma_mix_f32 v29, v28, v28, v29 op_sel:[1,1,0] op_sel_hi:[1,1,0]
	ds_bpermute_b32 v30, v10, v29
	s_waitcnt lgkmcnt(0)
	v_add_f32_e32 v29, v29, v30
	ds_bpermute_b32 v30, v11, v29
	s_waitcnt lgkmcnt(0)
	v_add_f32_e32 v29, v29, v30
	;; [unrolled: 3-line block ×5, first 2 shown]
	s_delay_alu instid0(VALU_DEP_1) | instskip(NEXT) | instid1(VALU_DEP_1)
	v_fma_f32 v29, 0x3c000000, v29, s19
	v_mul_f32_e32 v30, 0x4b800000, v29
	v_cmp_gt_f32_e64 s1, 0x800000, v29
	s_delay_alu instid0(VALU_DEP_1) | instskip(SKIP_1) | instid1(VALU_DEP_2)
	v_cndmask_b32_e64 v29, v29, v30, s1
	v_add_nc_u32_e32 v30, s4, v6
	v_rsq_f32_e32 v29, v29
	s_delay_alu instid0(VALU_DEP_1) | instskip(NEXT) | instid1(VALU_DEP_1)
	v_cmp_gt_i32_e64 s2, s16, v30
	v_cndmask_b32_e64 v30, v2, v0, s2
	v_cndmask_b32_e64 v31, v25, v23, s2
	;; [unrolled: 1-line block ×4, first 2 shown]
	s_delay_alu instid0(VALU_DEP_4) | instskip(NEXT) | instid1(TRANS32_DEP_1)
	v_cvt_f32_f16_e32 v30, v30
	v_mul_f32_e32 v33, 0x45800000, v29
	v_cvt_f32_f16_e32 v31, v31
	v_cvt_f32_f16_e32 v32, v32
	s_delay_alu instid0(VALU_DEP_3) | instskip(SKIP_2) | instid1(VALU_DEP_3)
	v_cndmask_b32_e64 v29, v29, v33, s1
	v_cvt_f32_f16_e32 v33, v34
	v_cvt_f32_f16_e32 v34, v28
	v_mul_f32_e32 v28, v29, v30
	v_mul_f32_e32 v30, v29, v31
	;; [unrolled: 1-line block ×3, first 2 shown]
	s_delay_alu instid0(VALU_DEP_3) | instskip(NEXT) | instid1(VALU_DEP_2)
	v_dual_mul_f32 v32, v29, v33 :: v_dual_mul_f32 v27, v28, v27
	v_dual_mul_f32 v29, v31, v34 :: v_dual_mul_f32 v28, v30, v5
	s_delay_alu instid0(VALU_DEP_2)
	v_mul_f32_e32 v30, v32, v35
	s_and_saveexec_b32 s1, vcc_lo
	s_cbranch_execz .LBB33_9
; %bb.11:                               ;   in Loop: Header=BB33_10 Depth=1
	; wave barrier
	ds_bpermute_b32 v5, v15, v27
	ds_load_u16 v31, v16
	ds_load_u16 v33, v18
	;; [unrolled: 1-line block ×3, first 2 shown]
	ds_bpermute_b32 v32, v15, v28
	ds_bpermute_b32 v34, v15, v29
	;; [unrolled: 1-line block ×3, first 2 shown]
	ds_load_u16 v37, v22
	ds_load_u16 v38, v9
	ds_load_u16 v39, v17
	ds_load_u16 v40, v19
	ds_load_u16 v41, v21
	; wave barrier
	s_waitcnt lgkmcnt(11)
	v_cndmask_b32_e64 v5, v5, -v5, s0
	s_waitcnt lgkmcnt(10)
	v_cvt_f32_f16_e32 v31, v31
	s_waitcnt lgkmcnt(9)
	v_cvt_f32_f16_e32 v33, v33
	;; [unrolled: 2-line block ×3, first 2 shown]
	s_waitcnt lgkmcnt(7)
	v_cndmask_b32_e64 v32, v32, -v32, s0
	s_waitcnt lgkmcnt(6)
	v_cndmask_b32_e64 v34, v34, -v34, s0
	;; [unrolled: 2-line block ×3, first 2 shown]
	s_waitcnt lgkmcnt(4)
	v_cvt_f32_f16_e32 v37, v37
	v_mul_f32_e32 v5, v5, v31
	v_dual_mul_f32 v31, v32, v33 :: v_dual_mul_f32 v32, v34, v35
	s_delay_alu instid0(VALU_DEP_3) | instskip(SKIP_1) | instid1(VALU_DEP_3)
	v_mul_f32_e32 v33, v36, v37
	s_waitcnt lgkmcnt(3)
	v_fma_mix_f32 v27, v27, v38, v5 op_sel_hi:[0,1,0]
	s_waitcnt lgkmcnt(2)
	v_fma_mix_f32 v28, v28, v39, v31 op_sel_hi:[0,1,0]
	;; [unrolled: 2-line block ×4, first 2 shown]
	s_branch .LBB33_9
.LBB33_12:
	s_nop 0
	s_sendmsg sendmsg(MSG_DEALLOC_VGPRS)
	s_endpgm
	.section	.rodata,"a",@progbits
	.p2align	6, 0x0
	.amdhsa_kernel _ZN12tensorrt_llm7kernels32fusedQKNormRopeKernelNTokenHeadsIN3c104HalfES3_Li128ELb0ELi2EEEvPviiifPKvS6_S6_PKlii
		.amdhsa_group_segment_fixed_size 0
		.amdhsa_private_segment_fixed_size 0
		.amdhsa_kernarg_size 320
		.amdhsa_user_sgpr_count 15
		.amdhsa_user_sgpr_dispatch_ptr 0
		.amdhsa_user_sgpr_queue_ptr 0
		.amdhsa_user_sgpr_kernarg_segment_ptr 1
		.amdhsa_user_sgpr_dispatch_id 0
		.amdhsa_user_sgpr_private_segment_size 0
		.amdhsa_wavefront_size32 1
		.amdhsa_uses_dynamic_stack 0
		.amdhsa_enable_private_segment 0
		.amdhsa_system_sgpr_workgroup_id_x 1
		.amdhsa_system_sgpr_workgroup_id_y 0
		.amdhsa_system_sgpr_workgroup_id_z 0
		.amdhsa_system_sgpr_workgroup_info 0
		.amdhsa_system_vgpr_workitem_id 0
		.amdhsa_next_free_vgpr 42
		.amdhsa_next_free_sgpr 21
		.amdhsa_reserve_vcc 1
		.amdhsa_float_round_mode_32 0
		.amdhsa_float_round_mode_16_64 0
		.amdhsa_float_denorm_mode_32 3
		.amdhsa_float_denorm_mode_16_64 3
		.amdhsa_dx10_clamp 1
		.amdhsa_ieee_mode 1
		.amdhsa_fp16_overflow 0
		.amdhsa_workgroup_processor_mode 1
		.amdhsa_memory_ordered 1
		.amdhsa_forward_progress 0
		.amdhsa_shared_vgpr_count 0
		.amdhsa_exception_fp_ieee_invalid_op 0
		.amdhsa_exception_fp_denorm_src 0
		.amdhsa_exception_fp_ieee_div_zero 0
		.amdhsa_exception_fp_ieee_overflow 0
		.amdhsa_exception_fp_ieee_underflow 0
		.amdhsa_exception_fp_ieee_inexact 0
		.amdhsa_exception_int_div_zero 0
	.end_amdhsa_kernel
	.section	.text._ZN12tensorrt_llm7kernels32fusedQKNormRopeKernelNTokenHeadsIN3c104HalfES3_Li128ELb0ELi2EEEvPviiifPKvS6_S6_PKlii,"axG",@progbits,_ZN12tensorrt_llm7kernels32fusedQKNormRopeKernelNTokenHeadsIN3c104HalfES3_Li128ELb0ELi2EEEvPviiifPKvS6_S6_PKlii,comdat
.Lfunc_end33:
	.size	_ZN12tensorrt_llm7kernels32fusedQKNormRopeKernelNTokenHeadsIN3c104HalfES3_Li128ELb0ELi2EEEvPviiifPKvS6_S6_PKlii, .Lfunc_end33-_ZN12tensorrt_llm7kernels32fusedQKNormRopeKernelNTokenHeadsIN3c104HalfES3_Li128ELb0ELi2EEEvPviiifPKvS6_S6_PKlii
                                        ; -- End function
	.section	.AMDGPU.csdata,"",@progbits
; Kernel info:
; codeLenInByte = 2292
; NumSgprs: 23
; NumVgprs: 42
; ScratchSize: 0
; MemoryBound: 0
; FloatMode: 240
; IeeeMode: 1
; LDSByteSize: 0 bytes/workgroup (compile time only)
; SGPRBlocks: 2
; VGPRBlocks: 5
; NumSGPRsForWavesPerEU: 23
; NumVGPRsForWavesPerEU: 42
; Occupancy: 16
; WaveLimiterHint : 0
; COMPUTE_PGM_RSRC2:SCRATCH_EN: 0
; COMPUTE_PGM_RSRC2:USER_SGPR: 15
; COMPUTE_PGM_RSRC2:TRAP_HANDLER: 0
; COMPUTE_PGM_RSRC2:TGID_X_EN: 1
; COMPUTE_PGM_RSRC2:TGID_Y_EN: 0
; COMPUTE_PGM_RSRC2:TGID_Z_EN: 0
; COMPUTE_PGM_RSRC2:TIDIG_COMP_CNT: 0
	.section	.text._ZN12tensorrt_llm7kernels32fusedQKNormRopeKernelNTokenHeadsIN3c104HalfES3_Li256ELb1ELi2EEEvPviiifPKvS6_S6_PKlii,"axG",@progbits,_ZN12tensorrt_llm7kernels32fusedQKNormRopeKernelNTokenHeadsIN3c104HalfES3_Li256ELb1ELi2EEEvPviiifPKvS6_S6_PKlii,comdat
	.protected	_ZN12tensorrt_llm7kernels32fusedQKNormRopeKernelNTokenHeadsIN3c104HalfES3_Li256ELb1ELi2EEEvPviiifPKvS6_S6_PKlii ; -- Begin function _ZN12tensorrt_llm7kernels32fusedQKNormRopeKernelNTokenHeadsIN3c104HalfES3_Li256ELb1ELi2EEEvPviiifPKvS6_S6_PKlii
	.globl	_ZN12tensorrt_llm7kernels32fusedQKNormRopeKernelNTokenHeadsIN3c104HalfES3_Li256ELb1ELi2EEEvPviiifPKvS6_S6_PKlii
	.p2align	8
	.type	_ZN12tensorrt_llm7kernels32fusedQKNormRopeKernelNTokenHeadsIN3c104HalfES3_Li256ELb1ELi2EEEvPviiifPKvS6_S6_PKlii,@function
_ZN12tensorrt_llm7kernels32fusedQKNormRopeKernelNTokenHeadsIN3c104HalfES3_Li256ELb1ELi2EEEvPviiifPKvS6_S6_PKlii: ; @_ZN12tensorrt_llm7kernels32fusedQKNormRopeKernelNTokenHeadsIN3c104HalfES3_Li256ELb1ELi2EEEvPviiifPKvS6_S6_PKlii
; %bb.0:
	s_clause 0x1
	s_load_b128 s[16:19], s[0:1], 0x8
	s_load_b64 s[2:3], s[0:1], 0x38
	s_waitcnt lgkmcnt(0)
	s_add_i32 s4, s17, s16
	s_delay_alu instid0(SALU_CYCLE_1) | instskip(NEXT) | instid1(SALU_CYCLE_1)
	s_add_i32 s5, s4, 1
	s_lshr_b32 s6, s5, 31
	s_delay_alu instid0(SALU_CYCLE_1) | instskip(NEXT) | instid1(SALU_CYCLE_1)
	s_add_i32 s5, s5, s6
	s_ashr_i32 s14, s5, 1
	s_load_b32 s5, s[0:1], 0x4c
	s_abs_i32 s6, s14
	s_delay_alu instid0(SALU_CYCLE_1) | instskip(SKIP_1) | instid1(VALU_DEP_1)
	v_cvt_f32_u32_e32 v1, s6
	s_sub_i32 s7, 0, s6
	v_rcp_iflag_f32_e32 v1, v1
	s_waitcnt_depctr 0xfff
	v_mul_f32_e32 v1, 0x4f7ffffe, v1
	s_waitcnt lgkmcnt(0)
	s_bfe_u32 s5, s5, 0xb0005
	s_delay_alu instid0(VALU_DEP_1) | instskip(SKIP_1) | instid1(VALU_DEP_2)
	v_cvt_u32_f32_e32 v4, v1
	v_lshrrev_b32_e32 v1, 5, v0
	v_mul_lo_u32 v5, s7, v4
	s_delay_alu instid0(VALU_DEP_2) | instskip(NEXT) | instid1(VALU_DEP_2)
	v_mad_u64_u32 v[2:3], null, s15, s5, v[1:2]
	v_mul_hi_u32 v3, v4, v5
	s_delay_alu instid0(VALU_DEP_2) | instskip(NEXT) | instid1(VALU_DEP_1)
	v_sub_nc_u32_e32 v5, 0, v2
	v_max_i32_e32 v5, v2, v5
	s_delay_alu instid0(VALU_DEP_3) | instskip(NEXT) | instid1(VALU_DEP_1)
	v_add_nc_u32_e32 v3, v4, v3
	v_mul_hi_u32 v3, v5, v3
	s_delay_alu instid0(VALU_DEP_1) | instskip(NEXT) | instid1(VALU_DEP_1)
	v_mul_lo_u32 v4, v3, s6
	v_sub_nc_u32_e32 v4, v5, v4
	v_add_nc_u32_e32 v5, 1, v3
	s_delay_alu instid0(VALU_DEP_2) | instskip(SKIP_1) | instid1(VALU_DEP_2)
	v_subrev_nc_u32_e32 v6, s6, v4
	v_cmp_le_u32_e32 vcc_lo, s6, v4
	v_dual_cndmask_b32 v4, v4, v6 :: v_dual_cndmask_b32 v3, v3, v5
	v_xor_b32_e32 v5, s14, v2
	s_delay_alu instid0(VALU_DEP_2) | instskip(NEXT) | instid1(VALU_DEP_3)
	v_cmp_le_u32_e32 vcc_lo, s6, v4
	v_add_nc_u32_e32 v6, 1, v3
	s_delay_alu instid0(VALU_DEP_3) | instskip(NEXT) | instid1(VALU_DEP_2)
	v_ashrrev_i32_e32 v5, 31, v5
	v_cndmask_b32_e32 v3, v3, v6, vcc_lo
	s_delay_alu instid0(VALU_DEP_1) | instskip(NEXT) | instid1(VALU_DEP_1)
	v_xor_b32_e32 v3, v3, v5
	v_sub_nc_u32_e32 v4, v3, v5
	s_delay_alu instid0(VALU_DEP_1)
	v_cmp_gt_i32_e32 vcc_lo, s2, v4
	s_and_saveexec_b32 s2, vcc_lo
	s_cbranch_execz .LBB34_12
; %bb.1:
	v_mul_lo_u32 v3, v4, s14
	s_load_b64 s[12:13], s[0:1], 0x0
	v_and_b32_e32 v14, 31, v0
	v_lshlrev_b32_e32 v12, 10, v1
	v_lshlrev_b32_e32 v15, 9, v2
	s_lshl_b32 s20, s3, 1
	s_delay_alu instid0(VALU_DEP_3) | instskip(SKIP_2) | instid1(VALU_DEP_1)
	v_lshlrev_b32_e32 v13, 4, v14
	v_sub_nc_u32_e32 v3, v2, v3
	s_mul_i32 s15, s20, s5
	v_lshlrev_b32_e32 v6, 1, v3
	s_delay_alu instid0(VALU_DEP_1) | instskip(SKIP_1) | instid1(VALU_DEP_2)
	v_add_nc_u32_e32 v3, 2, v6
	v_sub_nc_u32_e32 v5, s4, v6
	v_cmp_lt_i32_e32 vcc_lo, s4, v3
	s_delay_alu instid0(VALU_DEP_2) | instskip(NEXT) | instid1(VALU_DEP_1)
	v_cndmask_b32_e32 v7, 2, v5, vcc_lo
	v_cmp_lt_i32_e32 vcc_lo, 0, v7
	s_and_saveexec_b32 s4, vcc_lo
	s_cbranch_execz .LBB34_4
; %bb.2:
	s_add_i32 s2, s18, s17
	s_lshl_b32 s5, s14, 1
	s_add_i32 s2, s2, s16
	s_mov_b32 s6, 0
	s_sub_i32 s2, s2, s5
	s_mov_b32 s5, 0
	v_mul_lo_u32 v2, s2, v4
	s_add_i32 s2, s15, 0
	s_delay_alu instid0(SALU_CYCLE_1) | instskip(NEXT) | instid1(VALU_DEP_2)
	v_add3_u32 v5, s2, v12, v13
	v_lshl_add_u32 v2, v2, 8, v15
	s_delay_alu instid0(VALU_DEP_1)
	v_lshl_or_b32 v2, v14, 3, v2
	.p2align	6
.LBB34_3:                               ; =>This Inner Loop Header: Depth=1
	s_delay_alu instid0(VALU_DEP_1) | instskip(SKIP_1) | instid1(VALU_DEP_1)
	v_ashrrev_i32_e32 v3, 31, v2
	s_add_i32 s6, s6, 1
	v_lshlrev_b64 v[8:9], 1, v[2:3]
	v_add_nc_u32_e32 v2, 0x100, v2
	s_waitcnt lgkmcnt(0)
	s_delay_alu instid0(VALU_DEP_2) | instskip(NEXT) | instid1(VALU_DEP_1)
	v_add_co_u32 v8, s2, s12, v8
	v_add_co_ci_u32_e64 v9, s2, s13, v9, s2
	v_cmp_ge_i32_e64 s2, s6, v7
	global_load_b128 v[8:11], v[8:9], off
	s_or_b32 s5, s2, s5
	s_waitcnt vmcnt(0)
	ds_store_b128 v5, v[8:11]
	v_add_nc_u32_e32 v5, 0x200, v5
	s_and_not1_b32 exec_lo, exec_lo, s5
	s_cbranch_execnz .LBB34_3
.LBB34_4:
	s_or_b32 exec_lo, exec_lo, s4
	s_load_b256 s[4:11], s[0:1], 0x18
	v_mul_lo_u32 v1, v1, s3
	s_add_i32 s0, s20, 15
	s_mov_b32 s20, exec_lo
	s_ashr_i32 s1, s0, 31
	s_delay_alu instid0(SALU_CYCLE_1) | instskip(NEXT) | instid1(SALU_CYCLE_1)
	s_lshr_b32 s1, s1, 28
	s_add_i32 s0, s0, s1
	s_delay_alu instid0(VALU_DEP_1) | instskip(SKIP_1) | instid1(SALU_CYCLE_1)
	v_lshlrev_b32_e32 v16, 1, v1
	s_ashr_i32 s2, s0, 4
	v_cmpx_gt_i32_e64 s2, v14
	s_cbranch_execz .LBB34_7
; %bb.5:
	v_ashrrev_i32_e32 v5, 31, v4
	s_delay_alu instid0(VALU_DEP_1) | instskip(SKIP_1) | instid1(VALU_DEP_1)
	v_lshlrev_b64 v[1:2], 3, v[4:5]
	s_waitcnt lgkmcnt(0)
	v_add_co_u32 v1, s0, s10, v1
	s_delay_alu instid0(VALU_DEP_1)
	v_add_co_ci_u32_e64 v2, s0, s11, v2, s0
	s_ashr_i32 s0, s3, 31
	global_load_b64 v[1:2], v[1:2], off
	s_waitcnt vmcnt(0)
	v_mul_lo_u32 v5, v2, s3
	v_mul_lo_u32 v8, v1, s0
	v_mad_u64_u32 v[2:3], null, v1, s3, 0
	s_delay_alu instid0(VALU_DEP_1) | instskip(SKIP_1) | instid1(VALU_DEP_2)
	v_add3_u32 v3, v3, v8, v5
	v_and_b32_e32 v5, 31, v0
	v_lshlrev_b64 v[0:1], 1, v[2:3]
	s_delay_alu instid0(VALU_DEP_2) | instskip(NEXT) | instid1(VALU_DEP_1)
	v_dual_mov_b32 v3, v14 :: v_dual_lshlrev_b32 v2, 4, v5
	v_add_co_u32 v0, s0, v0, v2
	s_delay_alu instid0(VALU_DEP_1) | instskip(SKIP_1) | instid1(VALU_DEP_3)
	v_add_co_ci_u32_e64 v1, s0, 0, v1, s0
	v_add3_u32 v2, v16, v13, 0
	v_add_co_u32 v0, s0, s8, v0
	s_delay_alu instid0(VALU_DEP_1)
	v_add_co_ci_u32_e64 v1, s0, s9, v1, s0
	s_mov_b32 s8, 0
	.p2align	6
.LBB34_6:                               ; =>This Inner Loop Header: Depth=1
	global_load_b128 v[8:11], v[0:1], off
	v_add_nc_u32_e32 v3, 32, v3
	v_add_co_u32 v0, s0, 0x200, v0
	s_delay_alu instid0(VALU_DEP_1) | instskip(NEXT) | instid1(VALU_DEP_3)
	v_add_co_ci_u32_e64 v1, s0, 0, v1, s0
	v_cmp_le_i32_e64 s1, s2, v3
	s_delay_alu instid0(VALU_DEP_1)
	s_or_b32 s8, s1, s8
	s_waitcnt vmcnt(0)
	ds_store_b128 v2, v[8:11]
	v_add_nc_u32_e32 v2, 0x200, v2
	s_and_not1_b32 exec_lo, exec_lo, s8
	s_cbranch_execnz .LBB34_6
.LBB34_7:
	s_or_b32 exec_lo, exec_lo, s20
	s_delay_alu instid0(SALU_CYCLE_1)
	s_and_b32 exec_lo, exec_lo, vcc_lo
	s_cbranch_execz .LBB34_12
; %bb.8:
	s_waitcnt lgkmcnt(0)
	s_clause 0x5
	global_load_b32 v8, v13, s[6:7] offset:2
	global_load_b64 v[0:1], v13, s[4:5] offset:8
	global_load_u16 v9, v13, s[4:5]
	global_load_u16 v10, v13, s[6:7]
	global_load_b32 v11, v13, s[4:5] offset:2
	global_load_b64 v[2:3], v13, s[6:7] offset:8
	v_mbcnt_lo_u32_b32 v17, -1, 0
	s_lshr_b32 s0, s3, 31
	s_ashr_i32 s1, s3, 31
	s_add_i32 s0, s3, s0
	s_lshr_b32 s1, s1, 29
	v_xor_b32_e32 v19, 16, v17
	v_lshlrev_b32_e32 v5, 3, v14
	v_xor_b32_e32 v20, 8, v17
	v_add_nc_u32_e32 v18, s15, v12
	v_xor_b32_e32 v21, 4, v17
	v_xor_b32_e32 v22, 2, v17
	v_add3_u32 v12, 0, v16, v5
	s_add_i32 s2, s18, s17
	v_xor_b32_e32 v23, 1, v17
	s_add_i32 s2, s2, s16
	s_clause 0x1
	global_load_d16_hi_b16 v9, v13, s[4:5] offset:6
	global_load_d16_hi_b16 v10, v13, s[6:7] offset:6
	s_and_b32 s5, s0, -2
	s_add_i32 s0, s3, s1
	v_add3_u32 v13, v18, v13, 0
	s_ashr_i32 s0, s0, 3
	s_lshl_b32 s4, s14, 1
	v_cmp_gt_i32_e32 vcc_lo, s0, v14
	v_cmp_gt_i32_e64 s0, 32, v19
	s_sub_i32 s1, s2, s4
	v_add_nc_u32_e32 v14, s5, v12
	v_mul_lo_u32 v4, s1, v4
	s_waitcnt vmcnt(6)
	v_lshrrev_b32_e32 v24, 16, v1
	v_cndmask_b32_e64 v16, v17, v19, s0
	v_cmp_gt_i32_e64 s0, 32, v20
	s_waitcnt vmcnt(2)
	v_lshrrev_b32_e32 v27, 16, v3
	s_mov_b32 s2, 0
	s_mov_b32 s3, 0
	v_cndmask_b32_e64 v18, v17, v20, s0
	v_cmp_gt_i32_e64 s0, 32, v21
	v_lshl_add_u32 v4, v4, 8, v15
	v_lshlrev_b32_e32 v15, 2, v16
	s_delay_alu instid0(VALU_DEP_4) | instskip(NEXT) | instid1(VALU_DEP_4)
	v_lshlrev_b32_e32 v16, 2, v18
	v_cndmask_b32_e64 v19, v17, v21, s0
	v_cmp_gt_i32_e64 s0, 32, v22
	v_or_b32_e32 v4, v4, v5
	s_delay_alu instid0(VALU_DEP_2) | instskip(SKIP_2) | instid1(VALU_DEP_3)
	v_cndmask_b32_e64 v20, v17, v22, s0
	v_cmp_gt_i32_e64 s0, 32, v23
	v_lshrrev_b32_e32 v22, 16, v0
	v_lshlrev_b32_e32 v18, 2, v20
	s_delay_alu instid0(VALU_DEP_3) | instskip(SKIP_3) | instid1(VALU_DEP_4)
	v_cndmask_b32_e64 v21, v17, v23, s0
	v_lshlrev_b32_e32 v17, 2, v19
	v_lshrrev_b32_e32 v20, 16, v11
	v_lshrrev_b32_e32 v23, 16, v2
	v_lshlrev_b32_e32 v19, 2, v21
	v_lshrrev_b32_e32 v21, 16, v8
	s_waitcnt vmcnt(1)
	v_lshrrev_b32_e32 v25, 16, v9
	s_waitcnt vmcnt(0)
	v_lshrrev_b32_e32 v26, 16, v10
	s_branch .LBB34_10
.LBB34_9:                               ;   in Loop: Header=BB34_10 Depth=1
	s_or_b32 exec_lo, exec_lo, s0
	v_ashrrev_i32_e32 v5, 31, v4
	v_cvt_f16_f32_e32 v38, v35
	v_cvt_f16_f32_e32 v37, v31
	;; [unrolled: 1-line block ×4, first 2 shown]
	v_lshlrev_b64 v[35:36], 1, v[4:5]
	v_cvt_f16_f32_e32 v5, v34
	v_cvt_f16_f32_e32 v30, v30
	;; [unrolled: 1-line block ×4, first 2 shown]
	s_add_i32 s3, s3, 1
	v_add_co_u32 v32, s0, s12, v35
	s_delay_alu instid0(VALU_DEP_1)
	v_add_co_ci_u32_e64 v33, s0, s13, v36, s0
	v_cmp_ge_i32_e64 s0, s3, v7
	v_pack_b32_f16 v31, v31, v29
	v_pack_b32_f16 v30, v5, v30
	;; [unrolled: 1-line block ×4, first 2 shown]
	v_add_nc_u32_e32 v4, 0x100, v4
	v_add_nc_u32_e32 v13, 0x200, v13
	s_or_b32 s2, s0, s2
	global_store_b128 v[32:33], v[28:31], off
	s_and_not1_b32 exec_lo, exec_lo, s2
	s_cbranch_execz .LBB34_12
.LBB34_10:                              ; =>This Inner Loop Header: Depth=1
	ds_load_b128 v[28:31], v13
	s_waitcnt lgkmcnt(0)
	v_lshrrev_b32_e32 v5, 16, v28
	v_lshrrev_b32_e32 v42, 16, v31
	v_cvt_f32_f16_e32 v44, v31
	v_lshrrev_b32_e32 v41, 16, v29
	s_delay_alu instid0(VALU_DEP_4) | instskip(NEXT) | instid1(VALU_DEP_4)
	v_cvt_f32_f16_e32 v5, v5
	v_cvt_f32_f16_e32 v42, v42
	s_delay_alu instid0(VALU_DEP_2) | instskip(NEXT) | instid1(VALU_DEP_1)
	v_mul_f32_e32 v32, v5, v5
	v_fma_mix_f32 v32, v28, v28, v32 op_sel_hi:[1,1,0]
	s_delay_alu instid0(VALU_DEP_1) | instskip(NEXT) | instid1(VALU_DEP_1)
	v_fma_mix_f32 v32, v29, v29, v32 op_sel_hi:[1,1,0]
	v_fma_mix_f32 v32, v29, v29, v32 op_sel:[1,1,0] op_sel_hi:[1,1,0]
	v_cvt_f32_f16_e32 v29, v29
	s_delay_alu instid0(VALU_DEP_2) | instskip(NEXT) | instid1(VALU_DEP_1)
	v_fma_mix_f32 v32, v30, v30, v32 op_sel_hi:[1,1,0]
	v_fma_mix_f32 v32, v30, v30, v32 op_sel:[1,1,0] op_sel_hi:[1,1,0]
	s_delay_alu instid0(VALU_DEP_1) | instskip(NEXT) | instid1(VALU_DEP_1)
	v_fma_mix_f32 v32, v31, v31, v32 op_sel_hi:[1,1,0]
	v_fma_mix_f32 v32, v31, v31, v32 op_sel:[1,1,0] op_sel_hi:[1,1,0]
	v_cvt_f32_f16_e32 v31, v28
	v_lshrrev_b32_e32 v28, 16, v30
	ds_bpermute_b32 v33, v15, v32
	s_waitcnt lgkmcnt(0)
	v_add_f32_e32 v32, v32, v33
	ds_bpermute_b32 v33, v16, v32
	s_waitcnt lgkmcnt(0)
	v_add_f32_e32 v32, v32, v33
	;; [unrolled: 3-line block ×5, first 2 shown]
	s_delay_alu instid0(VALU_DEP_1) | instskip(NEXT) | instid1(VALU_DEP_1)
	v_fma_f32 v32, 0x3b800000, v32, s19
	v_dual_mul_f32 v35, 0x4b800000, v32 :: v_dual_add_nc_u32 v34, s3, v6
	v_cmp_gt_f32_e64 s1, 0x800000, v32
	s_delay_alu instid0(VALU_DEP_2) | instskip(NEXT) | instid1(VALU_DEP_2)
	v_cmp_gt_i32_e64 s0, s16, v34
	v_cndmask_b32_e64 v32, v32, v35, s1
	s_delay_alu instid0(VALU_DEP_2)
	v_cndmask_b32_e64 v34, v8, v11, s0
	v_cndmask_b32_e64 v33, v21, v20, s0
	;; [unrolled: 1-line block ×4, first 2 shown]
	v_rsq_f32_e32 v32, v32
	v_cndmask_b32_e64 v35, v23, v22, s0
	v_cndmask_b32_e64 v38, v2, v0, s0
	;; [unrolled: 1-line block ×4, first 2 shown]
	v_cvt_f32_f16_e32 v34, v34
	v_cvt_f32_f16_e32 v33, v33
	;; [unrolled: 1-line block ×5, first 2 shown]
	v_mul_f32_e32 v43, 0x45800000, v32
	v_cvt_f32_f16_e32 v38, v38
	v_cvt_f32_f16_e32 v39, v39
	;; [unrolled: 1-line block ×3, first 2 shown]
	s_delay_alu instid0(VALU_DEP_4) | instskip(SKIP_3) | instid1(VALU_DEP_4)
	v_cndmask_b32_e64 v32, v32, v43, s1
	v_cvt_f32_f16_e32 v43, v30
	v_cvt_f32_f16_e32 v30, v41
	;; [unrolled: 1-line block ×3, first 2 shown]
	v_mul_f32_e32 v34, v32, v34
	v_mul_f32_e32 v37, v32, v37
	;; [unrolled: 1-line block ×5, first 2 shown]
	v_dual_mul_f32 v38, v32, v35 :: v_dual_mul_f32 v35, v34, v5
	v_mul_f32_e32 v40, v32, v40
	v_mul_f32_e32 v32, v32, v39
	;; [unrolled: 1-line block ×3, first 2 shown]
	v_dual_mul_f32 v33, v33, v29 :: v_dual_mul_f32 v28, v28, v30
	s_delay_alu instid0(VALU_DEP_3)
	v_dual_mul_f32 v30, v38, v41 :: v_dual_mul_f32 v29, v32, v42
	v_mul_f32_e32 v34, v36, v43
	v_mul_f32_e32 v32, v40, v44
	s_and_saveexec_b32 s0, vcc_lo
	s_cbranch_execz .LBB34_9
; %bb.11:                               ;   in Loop: Header=BB34_10 Depth=1
	ds_load_b64 v[36:37], v12
	ds_load_b64 v[38:39], v14
	s_waitcnt lgkmcnt(1)
	v_lshrrev_b32_e32 v5, 16, v37
	v_cvt_f32_f16_e32 v40, v36
	s_waitcnt lgkmcnt(0)
	v_lshrrev_b32_e32 v41, 16, v38
	v_cvt_f32_f16_e32 v42, v38
	v_lshrrev_b32_e32 v43, 16, v39
	v_cvt_f32_f16_e32 v44, v39
	v_cvt_f32_f16_e32 v45, v37
	;; [unrolled: 1-line block ×3, first 2 shown]
	v_mul_f32_e32 v42, v35, v42
	v_mul_f32_e32 v35, v35, v40
	v_cvt_f32_f16_e32 v5, v5
	v_mul_f32_e32 v40, v30, v44
	v_mul_f32_e32 v30, v30, v45
	v_cvt_f32_f16_e32 v43, v43
	v_mul_f32_e32 v44, v28, v41
	v_mul_f32_e32 v41, v33, v41
	v_fma_mix_f32 v42, v31, v36, -v42 op_sel_hi:[0,1,0]
	v_fma_mix_f32 v30, v34, v39, v30 op_sel_hi:[0,1,0]
	v_mul_f32_e32 v5, v29, v5
	v_fma_mix_f32 v40, v34, v37, -v40 op_sel_hi:[0,1,0]
	v_mul_f32_e32 v34, v29, v43
	v_fma_mix_f32 v35, v31, v38, v35 op_sel_hi:[0,1,0]
	v_mov_b32_e32 v31, v42
	v_fma_mix_f32 v33, v33, v36, -v44 op_sel:[0,1,0] op_sel_hi:[0,1,0]
	v_fma_mix_f32 v28, v28, v36, v41 op_sel:[0,1,0] op_sel_hi:[0,1,0]
	v_fma_mix_f32 v36, v32, v37, -v34 op_sel:[0,1,0] op_sel_hi:[0,1,0]
	v_fma_mix_f32 v29, v32, v39, v5 op_sel:[0,1,0] op_sel_hi:[0,1,0]
	v_mov_b32_e32 v34, v40
	s_delay_alu instid0(VALU_DEP_3)
	v_mov_b32_e32 v32, v36
	s_branch .LBB34_9
.LBB34_12:
	s_nop 0
	s_sendmsg sendmsg(MSG_DEALLOC_VGPRS)
	s_endpgm
	.section	.rodata,"a",@progbits
	.p2align	6, 0x0
	.amdhsa_kernel _ZN12tensorrt_llm7kernels32fusedQKNormRopeKernelNTokenHeadsIN3c104HalfES3_Li256ELb1ELi2EEEvPviiifPKvS6_S6_PKlii
		.amdhsa_group_segment_fixed_size 0
		.amdhsa_private_segment_fixed_size 0
		.amdhsa_kernarg_size 320
		.amdhsa_user_sgpr_count 15
		.amdhsa_user_sgpr_dispatch_ptr 0
		.amdhsa_user_sgpr_queue_ptr 0
		.amdhsa_user_sgpr_kernarg_segment_ptr 1
		.amdhsa_user_sgpr_dispatch_id 0
		.amdhsa_user_sgpr_private_segment_size 0
		.amdhsa_wavefront_size32 1
		.amdhsa_uses_dynamic_stack 0
		.amdhsa_enable_private_segment 0
		.amdhsa_system_sgpr_workgroup_id_x 1
		.amdhsa_system_sgpr_workgroup_id_y 0
		.amdhsa_system_sgpr_workgroup_id_z 0
		.amdhsa_system_sgpr_workgroup_info 0
		.amdhsa_system_vgpr_workitem_id 0
		.amdhsa_next_free_vgpr 46
		.amdhsa_next_free_sgpr 21
		.amdhsa_reserve_vcc 1
		.amdhsa_float_round_mode_32 0
		.amdhsa_float_round_mode_16_64 0
		.amdhsa_float_denorm_mode_32 3
		.amdhsa_float_denorm_mode_16_64 3
		.amdhsa_dx10_clamp 1
		.amdhsa_ieee_mode 1
		.amdhsa_fp16_overflow 0
		.amdhsa_workgroup_processor_mode 1
		.amdhsa_memory_ordered 1
		.amdhsa_forward_progress 0
		.amdhsa_shared_vgpr_count 0
		.amdhsa_exception_fp_ieee_invalid_op 0
		.amdhsa_exception_fp_denorm_src 0
		.amdhsa_exception_fp_ieee_div_zero 0
		.amdhsa_exception_fp_ieee_overflow 0
		.amdhsa_exception_fp_ieee_underflow 0
		.amdhsa_exception_fp_ieee_inexact 0
		.amdhsa_exception_int_div_zero 0
	.end_amdhsa_kernel
	.section	.text._ZN12tensorrt_llm7kernels32fusedQKNormRopeKernelNTokenHeadsIN3c104HalfES3_Li256ELb1ELi2EEEvPviiifPKvS6_S6_PKlii,"axG",@progbits,_ZN12tensorrt_llm7kernels32fusedQKNormRopeKernelNTokenHeadsIN3c104HalfES3_Li256ELb1ELi2EEEvPviiifPKvS6_S6_PKlii,comdat
.Lfunc_end34:
	.size	_ZN12tensorrt_llm7kernels32fusedQKNormRopeKernelNTokenHeadsIN3c104HalfES3_Li256ELb1ELi2EEEvPviiifPKvS6_S6_PKlii, .Lfunc_end34-_ZN12tensorrt_llm7kernels32fusedQKNormRopeKernelNTokenHeadsIN3c104HalfES3_Li256ELb1ELi2EEEvPviiifPKvS6_S6_PKlii
                                        ; -- End function
	.section	.AMDGPU.csdata,"",@progbits
; Kernel info:
; codeLenInByte = 2048
; NumSgprs: 23
; NumVgprs: 46
; ScratchSize: 0
; MemoryBound: 0
; FloatMode: 240
; IeeeMode: 1
; LDSByteSize: 0 bytes/workgroup (compile time only)
; SGPRBlocks: 2
; VGPRBlocks: 5
; NumSGPRsForWavesPerEU: 23
; NumVGPRsForWavesPerEU: 46
; Occupancy: 16
; WaveLimiterHint : 0
; COMPUTE_PGM_RSRC2:SCRATCH_EN: 0
; COMPUTE_PGM_RSRC2:USER_SGPR: 15
; COMPUTE_PGM_RSRC2:TRAP_HANDLER: 0
; COMPUTE_PGM_RSRC2:TGID_X_EN: 1
; COMPUTE_PGM_RSRC2:TGID_Y_EN: 0
; COMPUTE_PGM_RSRC2:TGID_Z_EN: 0
; COMPUTE_PGM_RSRC2:TIDIG_COMP_CNT: 0
	.section	.text._ZN12tensorrt_llm7kernels32fusedQKNormRopeKernelNTokenHeadsIN3c104HalfES3_Li256ELb0ELi2EEEvPviiifPKvS6_S6_PKlii,"axG",@progbits,_ZN12tensorrt_llm7kernels32fusedQKNormRopeKernelNTokenHeadsIN3c104HalfES3_Li256ELb0ELi2EEEvPviiifPKvS6_S6_PKlii,comdat
	.protected	_ZN12tensorrt_llm7kernels32fusedQKNormRopeKernelNTokenHeadsIN3c104HalfES3_Li256ELb0ELi2EEEvPviiifPKvS6_S6_PKlii ; -- Begin function _ZN12tensorrt_llm7kernels32fusedQKNormRopeKernelNTokenHeadsIN3c104HalfES3_Li256ELb0ELi2EEEvPviiifPKvS6_S6_PKlii
	.globl	_ZN12tensorrt_llm7kernels32fusedQKNormRopeKernelNTokenHeadsIN3c104HalfES3_Li256ELb0ELi2EEEvPviiifPKvS6_S6_PKlii
	.p2align	8
	.type	_ZN12tensorrt_llm7kernels32fusedQKNormRopeKernelNTokenHeadsIN3c104HalfES3_Li256ELb0ELi2EEEvPviiifPKvS6_S6_PKlii,@function
_ZN12tensorrt_llm7kernels32fusedQKNormRopeKernelNTokenHeadsIN3c104HalfES3_Li256ELb0ELi2EEEvPviiifPKvS6_S6_PKlii: ; @_ZN12tensorrt_llm7kernels32fusedQKNormRopeKernelNTokenHeadsIN3c104HalfES3_Li256ELb0ELi2EEEvPviiifPKvS6_S6_PKlii
; %bb.0:
	s_clause 0x1
	s_load_b128 s[16:19], s[0:1], 0x8
	s_load_b64 s[2:3], s[0:1], 0x38
	s_waitcnt lgkmcnt(0)
	s_add_i32 s4, s17, s16
	s_delay_alu instid0(SALU_CYCLE_1) | instskip(NEXT) | instid1(SALU_CYCLE_1)
	s_add_i32 s5, s4, 1
	s_lshr_b32 s6, s5, 31
	s_delay_alu instid0(SALU_CYCLE_1) | instskip(NEXT) | instid1(SALU_CYCLE_1)
	s_add_i32 s5, s5, s6
	s_ashr_i32 s14, s5, 1
	s_load_b32 s5, s[0:1], 0x4c
	s_abs_i32 s6, s14
	s_delay_alu instid0(SALU_CYCLE_1) | instskip(SKIP_1) | instid1(VALU_DEP_1)
	v_cvt_f32_u32_e32 v1, s6
	s_sub_i32 s7, 0, s6
	v_rcp_iflag_f32_e32 v1, v1
	s_waitcnt_depctr 0xfff
	v_mul_f32_e32 v1, 0x4f7ffffe, v1
	s_waitcnt lgkmcnt(0)
	s_bfe_u32 s5, s5, 0xb0005
	s_delay_alu instid0(VALU_DEP_1) | instskip(SKIP_1) | instid1(VALU_DEP_2)
	v_cvt_u32_f32_e32 v4, v1
	v_lshrrev_b32_e32 v1, 5, v0
	v_mul_lo_u32 v5, s7, v4
	s_delay_alu instid0(VALU_DEP_2) | instskip(NEXT) | instid1(VALU_DEP_2)
	v_mad_u64_u32 v[2:3], null, s15, s5, v[1:2]
	v_mul_hi_u32 v3, v4, v5
	s_delay_alu instid0(VALU_DEP_2) | instskip(NEXT) | instid1(VALU_DEP_1)
	v_sub_nc_u32_e32 v5, 0, v2
	v_max_i32_e32 v5, v2, v5
	s_delay_alu instid0(VALU_DEP_3) | instskip(NEXT) | instid1(VALU_DEP_1)
	v_add_nc_u32_e32 v3, v4, v3
	v_mul_hi_u32 v3, v5, v3
	s_delay_alu instid0(VALU_DEP_1) | instskip(NEXT) | instid1(VALU_DEP_1)
	v_mul_lo_u32 v4, v3, s6
	v_sub_nc_u32_e32 v4, v5, v4
	v_add_nc_u32_e32 v5, 1, v3
	s_delay_alu instid0(VALU_DEP_2) | instskip(SKIP_1) | instid1(VALU_DEP_2)
	v_subrev_nc_u32_e32 v6, s6, v4
	v_cmp_le_u32_e32 vcc_lo, s6, v4
	v_dual_cndmask_b32 v4, v4, v6 :: v_dual_cndmask_b32 v3, v3, v5
	v_xor_b32_e32 v5, s14, v2
	s_delay_alu instid0(VALU_DEP_2) | instskip(NEXT) | instid1(VALU_DEP_3)
	v_cmp_le_u32_e32 vcc_lo, s6, v4
	v_add_nc_u32_e32 v6, 1, v3
	s_delay_alu instid0(VALU_DEP_3) | instskip(NEXT) | instid1(VALU_DEP_2)
	v_ashrrev_i32_e32 v5, 31, v5
	v_cndmask_b32_e32 v3, v3, v6, vcc_lo
	s_delay_alu instid0(VALU_DEP_1) | instskip(NEXT) | instid1(VALU_DEP_1)
	v_xor_b32_e32 v3, v3, v5
	v_sub_nc_u32_e32 v8, v3, v5
	s_delay_alu instid0(VALU_DEP_1)
	v_cmp_gt_i32_e32 vcc_lo, s2, v8
	s_and_saveexec_b32 s2, vcc_lo
	s_cbranch_execz .LBB35_12
; %bb.1:
	v_mul_lo_u32 v3, v8, s14
	s_load_b64 s[12:13], s[0:1], 0x0
	v_and_b32_e32 v19, 31, v0
	v_lshlrev_b32_e32 v14, 10, v1
	v_lshlrev_b32_e32 v13, 9, v2
	s_lshl_b32 s20, s3, 1
	s_delay_alu instid0(VALU_DEP_3) | instskip(SKIP_2) | instid1(VALU_DEP_1)
	v_lshlrev_b32_e32 v12, 4, v19
	v_sub_nc_u32_e32 v3, v2, v3
	s_mul_i32 s15, s20, s5
	v_lshlrev_b32_e32 v10, 1, v3
	s_delay_alu instid0(VALU_DEP_1) | instskip(SKIP_1) | instid1(VALU_DEP_2)
	v_add_nc_u32_e32 v3, 2, v10
	v_sub_nc_u32_e32 v4, s4, v10
	v_cmp_lt_i32_e32 vcc_lo, s4, v3
	s_delay_alu instid0(VALU_DEP_2) | instskip(NEXT) | instid1(VALU_DEP_1)
	v_cndmask_b32_e32 v11, 2, v4, vcc_lo
	v_cmp_lt_i32_e32 vcc_lo, 0, v11
	s_and_saveexec_b32 s4, vcc_lo
	s_cbranch_execz .LBB35_4
; %bb.2:
	s_add_i32 s2, s18, s17
	s_lshl_b32 s5, s14, 1
	s_add_i32 s2, s2, s16
	s_mov_b32 s6, 0
	s_sub_i32 s2, s2, s5
	s_mov_b32 s5, 0
	v_mul_lo_u32 v2, s2, v8
	s_add_i32 s2, s15, 0
	s_delay_alu instid0(SALU_CYCLE_1) | instskip(NEXT) | instid1(VALU_DEP_2)
	v_add3_u32 v4, s2, v14, v12
	v_lshl_add_u32 v2, v2, 8, v13
	s_delay_alu instid0(VALU_DEP_1)
	v_lshl_or_b32 v2, v19, 3, v2
	.p2align	6
.LBB35_3:                               ; =>This Inner Loop Header: Depth=1
	s_delay_alu instid0(VALU_DEP_1) | instskip(SKIP_1) | instid1(VALU_DEP_1)
	v_ashrrev_i32_e32 v3, 31, v2
	s_add_i32 s6, s6, 1
	v_lshlrev_b64 v[5:6], 1, v[2:3]
	v_add_nc_u32_e32 v2, 0x100, v2
	s_waitcnt lgkmcnt(0)
	s_delay_alu instid0(VALU_DEP_2) | instskip(NEXT) | instid1(VALU_DEP_1)
	v_add_co_u32 v5, s2, s12, v5
	v_add_co_ci_u32_e64 v6, s2, s13, v6, s2
	v_cmp_ge_i32_e64 s2, s6, v11
	global_load_b128 v[15:18], v[5:6], off
	s_or_b32 s5, s2, s5
	s_waitcnt vmcnt(0)
	ds_store_b128 v4, v[15:18]
	v_add_nc_u32_e32 v4, 0x200, v4
	s_and_not1_b32 exec_lo, exec_lo, s5
	s_cbranch_execnz .LBB35_3
.LBB35_4:
	s_or_b32 exec_lo, exec_lo, s4
	s_load_b256 s[4:11], s[0:1], 0x18
	s_add_i32 s0, s20, 15
	v_mul_lo_u32 v15, v1, s3
	s_ashr_i32 s1, s0, 31
	s_mov_b32 s20, exec_lo
	s_lshr_b32 s1, s1, 28
	s_delay_alu instid0(SALU_CYCLE_1) | instskip(NEXT) | instid1(SALU_CYCLE_1)
	s_add_i32 s0, s0, s1
	s_ashr_i32 s2, s0, 4
	s_delay_alu instid0(SALU_CYCLE_1)
	v_cmpx_gt_i32_e64 s2, v19
	s_cbranch_execz .LBB35_7
; %bb.5:
	v_ashrrev_i32_e32 v9, 31, v8
	s_delay_alu instid0(VALU_DEP_1) | instskip(SKIP_1) | instid1(VALU_DEP_1)
	v_lshlrev_b64 v[1:2], 3, v[8:9]
	s_waitcnt lgkmcnt(0)
	v_add_co_u32 v1, s0, s10, v1
	s_delay_alu instid0(VALU_DEP_1)
	v_add_co_ci_u32_e64 v2, s0, s11, v2, s0
	s_ashr_i32 s0, s3, 31
	global_load_b64 v[1:2], v[1:2], off
	s_waitcnt vmcnt(0)
	v_mul_lo_u32 v4, v2, s3
	v_mul_lo_u32 v5, v1, s0
	v_mad_u64_u32 v[2:3], null, v1, s3, 0
	s_delay_alu instid0(VALU_DEP_1) | instskip(SKIP_1) | instid1(VALU_DEP_2)
	v_add3_u32 v3, v3, v5, v4
	v_and_b32_e32 v4, 31, v0
	v_lshlrev_b64 v[0:1], 1, v[2:3]
	s_delay_alu instid0(VALU_DEP_2) | instskip(SKIP_1) | instid1(VALU_DEP_2)
	v_lshlrev_b32_e32 v2, 4, v4
	v_lshlrev_b32_e32 v3, 1, v15
	v_add_co_u32 v0, s0, v0, v2
	s_delay_alu instid0(VALU_DEP_1) | instskip(NEXT) | instid1(VALU_DEP_3)
	v_add_co_ci_u32_e64 v1, s0, 0, v1, s0
	v_add3_u32 v2, v3, v12, 0
	v_mov_b32_e32 v3, v19
	s_delay_alu instid0(VALU_DEP_4) | instskip(NEXT) | instid1(VALU_DEP_1)
	v_add_co_u32 v0, s0, s8, v0
	v_add_co_ci_u32_e64 v1, s0, s9, v1, s0
	s_mov_b32 s8, 0
	.p2align	6
.LBB35_6:                               ; =>This Inner Loop Header: Depth=1
	global_load_b128 v[4:7], v[0:1], off
	v_add_nc_u32_e32 v3, 32, v3
	v_add_co_u32 v0, s0, 0x200, v0
	s_delay_alu instid0(VALU_DEP_1) | instskip(NEXT) | instid1(VALU_DEP_3)
	v_add_co_ci_u32_e64 v1, s0, 0, v1, s0
	v_cmp_le_i32_e64 s1, s2, v3
	s_delay_alu instid0(VALU_DEP_1)
	s_or_b32 s8, s1, s8
	s_waitcnt vmcnt(0)
	ds_store_b128 v2, v[4:7]
	v_add_nc_u32_e32 v2, 0x200, v2
	s_and_not1_b32 exec_lo, exec_lo, s8
	s_cbranch_execnz .LBB35_6
.LBB35_7:
	s_or_b32 exec_lo, exec_lo, s20
	s_delay_alu instid0(SALU_CYCLE_1)
	s_and_b32 exec_lo, exec_lo, vcc_lo
	s_cbranch_execz .LBB35_12
; %bb.8:
	s_waitcnt lgkmcnt(0)
	s_clause 0x1
	global_load_b128 v[0:3], v12, s[4:5]
	global_load_b128 v[4:7], v12, s[6:7]
	s_abs_i32 s2, s3
	v_add_nc_u32_e32 v43, s15, v14
	v_cvt_f32_u32_e32 v14, s2
	v_lshl_add_u32 v9, v15, 1, 0
	v_mbcnt_lo_u32_b32 v15, -1, 0
	s_lshr_b32 s0, s3, 31
	s_ashr_i32 s1, s3, 31
	v_rcp_iflag_f32_e32 v14, v14
	s_add_i32 s0, s3, s0
	s_lshr_b32 s6, s1, 29
	s_lshr_b32 s1, s1, 28
	v_xor_b32_e32 v16, 16, v15
	s_and_b32 s0, s0, -2
	s_add_i32 s6, s3, s6
	s_add_i32 s1, s3, s1
	s_sub_i32 s7, 0, s2
	v_add_nc_u32_e32 v34, s0, v9
	s_waitcnt_depctr 0xfff
	v_mul_f32_e32 v14, 0x4f7ffffe, v14
	s_ashr_i32 s0, s6, 3
	s_ashr_i32 s1, s1, 4
	v_xor_b32_e32 v17, 8, v15
	v_cmp_gt_i32_e32 vcc_lo, s0, v19
	v_cvt_u32_f32_e32 v29, v14
	v_xor_b32_e32 v14, s1, v15
	v_cmp_gt_i32_e64 s0, s1, v19
	v_cmp_gt_i32_e64 s1, 32, v16
	s_add_i32 s4, s18, s17
	v_mul_lo_u32 v30, s7, v29
	s_lshl_b32 s5, s14, 1
	s_add_i32 s4, s4, s16
	v_xor_b32_e32 v18, 4, v15
	s_sub_i32 s3, s4, s5
	v_cndmask_b32_e64 v16, v15, v16, s1
	v_cmp_gt_i32_e64 s1, 32, v17
	v_mul_lo_u32 v8, s3, v8
	v_mul_hi_u32 v30, v29, v30
	v_xor_b32_e32 v27, 2, v15
	v_xor_b32_e32 v28, 1, v15
	v_cndmask_b32_e64 v17, v15, v17, s1
	v_cmp_gt_i32_e64 s1, 32, v18
	v_or_b32_e32 v20, 2, v12
	v_or_b32_e32 v21, 4, v12
	v_lshl_add_u32 v8, v8, 8, v13
	v_lshlrev_b32_e32 v13, 2, v16
	v_cndmask_b32_e64 v18, v15, v18, s1
	v_cmp_gt_i32_e64 s1, 32, v27
	v_add_nc_u32_e32 v29, v29, v30
	v_lshl_or_b32 v8, v19, 3, v8
	v_or_b32_e32 v22, 6, v12
	v_or_b32_e32 v23, 8, v12
	v_cndmask_b32_e64 v27, v15, v27, s1
	v_cmp_gt_i32_e64 s1, 32, v28
	v_mul_hi_u32 v19, v12, v29
	v_or_b32_e32 v24, 10, v12
	v_or_b32_e32 v25, 12, v12
	v_lshlrev_b32_e32 v16, 2, v27
	v_cndmask_b32_e64 v28, v15, v28, s1
	v_cmp_gt_i32_e64 s1, 32, v14
	v_mul_hi_u32 v27, v20, v29
	v_or_b32_e32 v26, 14, v12
	v_mul_lo_u32 v19, v19, s2
	v_mul_hi_u32 v30, v22, v29
	v_cndmask_b32_e64 v31, v15, v14, s1
	v_lshlrev_b32_e32 v14, 2, v17
	v_lshlrev_b32_e32 v17, 2, v28
	v_mul_hi_u32 v28, v21, v29
	v_mul_lo_u32 v27, v27, s2
	v_lshlrev_b32_e32 v15, 2, v18
	v_lshlrev_b32_e32 v18, 2, v31
	v_mul_hi_u32 v31, v23, v29
	v_mul_hi_u32 v32, v24, v29
	;; [unrolled: 1-line block ×4, first 2 shown]
	v_sub_nc_u32_e32 v19, v12, v19
	v_mul_lo_u32 v28, v28, s2
	v_sub_nc_u32_e32 v20, v20, v27
	v_mul_lo_u32 v30, v30, s2
	v_mul_lo_u32 v31, v31, s2
	v_subrev_nc_u32_e32 v27, s2, v19
	v_cmp_le_u32_e64 s1, s2, v19
	v_mul_lo_u32 v29, v29, s2
	v_mul_lo_u32 v32, v32, s2
	v_sub_nc_u32_e32 v21, v21, v28
	v_subrev_nc_u32_e32 v28, s2, v20
	v_cndmask_b32_e64 v19, v19, v27, s1
	v_cmp_le_u32_e64 s1, s2, v20
	v_sub_nc_u32_e32 v22, v22, v30
	v_sub_nc_u32_e32 v23, v23, v31
	;; [unrolled: 1-line block ×3, first 2 shown]
	v_subrev_nc_u32_e32 v29, s2, v21
	v_cndmask_b32_e64 v20, v20, v28, s1
	v_cmp_le_u32_e64 s1, s2, v21
	v_subrev_nc_u32_e32 v30, s2, v22
	v_mul_lo_u32 v33, v33, s2
	v_sub_nc_u32_e32 v24, v24, v32
	v_subrev_nc_u32_e32 v31, s2, v23
	v_cndmask_b32_e64 v21, v21, v29, s1
	v_cmp_le_u32_e64 s1, s2, v22
	v_subrev_nc_u32_e32 v35, s2, v26
	v_subrev_nc_u32_e32 v32, s2, v24
	v_subrev_nc_u32_e32 v27, s2, v19
	v_sub_nc_u32_e32 v25, v25, v33
	v_cndmask_b32_e64 v22, v22, v30, s1
	v_cmp_le_u32_e64 s1, s2, v23
	v_subrev_nc_u32_e32 v28, s2, v20
	v_subrev_nc_u32_e32 v29, s2, v21
	;; [unrolled: 1-line block ×4, first 2 shown]
	v_cndmask_b32_e64 v23, v23, v31, s1
	v_cmp_le_u32_e64 s1, s2, v24
	v_add3_u32 v12, v43, v12, 0
	s_mov_b32 s3, 0
	s_mov_b32 s4, 0
	v_subrev_nc_u32_e32 v31, s2, v23
	v_cndmask_b32_e64 v24, v24, v32, s1
	v_cmp_le_u32_e64 s1, s2, v25
	s_delay_alu instid0(VALU_DEP_2) | instskip(NEXT) | instid1(VALU_DEP_2)
	v_subrev_nc_u32_e32 v32, s2, v24
	v_cndmask_b32_e64 v25, v25, v33, s1
	v_cmp_le_u32_e64 s1, s2, v26
	s_delay_alu instid0(VALU_DEP_2) | instskip(NEXT) | instid1(VALU_DEP_2)
	;; [unrolled: 4-line block ×4, first 2 shown]
	v_and_b32_e32 v27, -2, v19
	v_cndmask_b32_e64 v20, v20, v28, s1
	v_cmp_le_u32_e64 s1, s2, v21
	s_delay_alu instid0(VALU_DEP_3) | instskip(NEXT) | instid1(VALU_DEP_3)
	v_add_nc_u32_e32 v19, v9, v27
	v_and_b32_e32 v28, -2, v20
	s_delay_alu instid0(VALU_DEP_3) | instskip(SKIP_2) | instid1(VALU_DEP_3)
	v_cndmask_b32_e64 v21, v21, v29, s1
	v_cmp_le_u32_e64 s1, s2, v22
	v_add_nc_u32_e32 v20, v34, v27
	v_and_b32_e32 v29, -2, v21
	s_delay_alu instid0(VALU_DEP_3) | instskip(SKIP_2) | instid1(VALU_DEP_3)
	v_cndmask_b32_e64 v22, v22, v30, s1
	v_cmp_le_u32_e64 s1, s2, v23
	;; [unrolled: 5-line block ×3, first 2 shown]
	v_add_nc_u32_e32 v22, v34, v28
	v_and_b32_e32 v31, -2, v23
	s_delay_alu instid0(VALU_DEP_3) | instskip(SKIP_2) | instid1(VALU_DEP_4)
	v_cndmask_b32_e64 v24, v24, v32, s1
	v_cmp_le_u32_e64 s1, s2, v25
	v_add_nc_u32_e32 v23, v9, v29
	v_add_nc_u32_e32 v27, v9, v31
	s_delay_alu instid0(VALU_DEP_4) | instskip(NEXT) | instid1(VALU_DEP_4)
	v_and_b32_e32 v32, -2, v24
	v_cndmask_b32_e64 v25, v25, v33, s1
	v_cmp_le_u32_e64 s1, s2, v26
	v_add_nc_u32_e32 v24, v34, v29
	v_add_nc_u32_e32 v28, v34, v31
	;; [unrolled: 1-line block ×3, first 2 shown]
	v_and_b32_e32 v33, -2, v25
	v_cndmask_b32_e64 v26, v26, v35, s1
	v_add_nc_u32_e32 v25, v9, v30
	s_delay_alu instid0(VALU_DEP_3) | instskip(NEXT) | instid1(VALU_DEP_3)
	v_add_nc_u32_e32 v31, v9, v33
	v_and_b32_e32 v35, -2, v26
	v_add_nc_u32_e32 v26, v34, v30
	v_add_nc_u32_e32 v30, v34, v32
	;; [unrolled: 1-line block ×3, first 2 shown]
	s_delay_alu instid0(VALU_DEP_4)
	v_add_nc_u32_e32 v33, v9, v35
	v_add_nc_u32_e32 v34, v34, v35
	s_waitcnt vmcnt(1)
	v_lshrrev_b32_e32 v35, 16, v0
	v_lshrrev_b32_e32 v36, 16, v1
	;; [unrolled: 1-line block ×4, first 2 shown]
	s_waitcnt vmcnt(0)
	v_lshrrev_b32_e32 v39, 16, v4
	v_lshrrev_b32_e32 v40, 16, v5
	;; [unrolled: 1-line block ×4, first 2 shown]
	s_branch .LBB35_10
.LBB35_9:                               ;   in Loop: Header=BB35_10 Depth=1
	s_or_b32 exec_lo, exec_lo, s1
	v_ashrrev_i32_e32 v9, 31, v8
	v_cvt_f16_f32_e32 v51, v47
	v_cvt_f16_f32_e32 v52, v48
	;; [unrolled: 1-line block ×4, first 2 shown]
	v_lshlrev_b64 v[47:48], 1, v[8:9]
	v_cvt_f16_f32_e32 v9, v43
	v_cvt_f16_f32_e32 v43, v44
	;; [unrolled: 1-line block ×4, first 2 shown]
	s_add_i32 s4, s4, 1
	v_add_co_u32 v47, s1, s12, v47
	s_delay_alu instid0(VALU_DEP_1)
	v_add_co_ci_u32_e64 v48, s1, s13, v48, s1
	v_cmp_ge_i32_e64 s1, s4, v11
	v_pack_b32_f16 v46, v44, v45
	v_pack_b32_f16 v45, v9, v43
	v_pack_b32_f16 v44, v49, v50
	v_pack_b32_f16 v43, v51, v52
	v_add_nc_u32_e32 v8, 0x100, v8
	v_add_nc_u32_e32 v12, 0x200, v12
	s_or_b32 s3, s1, s3
	global_store_b128 v[47:48], v[43:46], off
	s_and_not1_b32 exec_lo, exec_lo, s3
	s_cbranch_execz .LBB35_12
.LBB35_10:                              ; =>This Inner Loop Header: Depth=1
	ds_load_b128 v[43:46], v12
	v_add_nc_u32_e32 v49, s4, v10
	s_delay_alu instid0(VALU_DEP_1) | instskip(NEXT) | instid1(VALU_DEP_1)
	v_cmp_gt_i32_e64 s1, s16, v49
	v_cndmask_b32_e64 v50, v39, v35, s1
	v_cndmask_b32_e64 v52, v40, v36, s1
	;; [unrolled: 1-line block ×5, first 2 shown]
	v_cvt_f32_f16_e32 v50, v50
	v_cndmask_b32_e64 v55, v42, v38, s1
	v_cvt_f32_f16_e32 v52, v52
	v_cvt_f32_f16_e32 v51, v51
	s_waitcnt lgkmcnt(0)
	v_lshrrev_b32_e32 v9, 16, v43
	v_cvt_f32_f16_e32 v58, v45
	v_cvt_f32_f16_e32 v53, v53
	;; [unrolled: 1-line block ×6, first 2 shown]
	v_lshrrev_b32_e32 v59, 16, v46
	s_delay_alu instid0(VALU_DEP_3) | instskip(NEXT) | instid1(VALU_DEP_1)
	v_mul_f32_e32 v47, v9, v9
	v_fma_mix_f32 v47, v43, v43, v47 op_sel_hi:[1,1,0]
	v_cvt_f32_f16_e32 v43, v43
	s_delay_alu instid0(VALU_DEP_2) | instskip(NEXT) | instid1(VALU_DEP_1)
	v_fma_mix_f32 v47, v44, v44, v47 op_sel_hi:[1,1,0]
	v_fma_mix_f32 v47, v44, v44, v47 op_sel:[1,1,0] op_sel_hi:[1,1,0]
	v_lshrrev_b32_e32 v44, 16, v44
	s_delay_alu instid0(VALU_DEP_2) | instskip(NEXT) | instid1(VALU_DEP_2)
	v_fma_mix_f32 v47, v45, v45, v47 op_sel_hi:[1,1,0]
	v_cvt_f32_f16_e32 v44, v44
	s_delay_alu instid0(VALU_DEP_2) | instskip(SKIP_1) | instid1(VALU_DEP_2)
	v_fma_mix_f32 v47, v45, v45, v47 op_sel:[1,1,0] op_sel_hi:[1,1,0]
	v_lshrrev_b32_e32 v45, 16, v45
	v_fma_mix_f32 v47, v46, v46, v47 op_sel_hi:[1,1,0]
	s_delay_alu instid0(VALU_DEP_2) | instskip(NEXT) | instid1(VALU_DEP_2)
	v_cvt_f32_f16_e32 v45, v45
	v_fma_mix_f32 v47, v46, v46, v47 op_sel:[1,1,0] op_sel_hi:[1,1,0]
	v_cvt_f32_f16_e32 v46, v46
	ds_bpermute_b32 v48, v13, v47
	s_waitcnt lgkmcnt(0)
	v_add_f32_e32 v47, v47, v48
	ds_bpermute_b32 v48, v14, v47
	s_waitcnt lgkmcnt(0)
	v_add_f32_e32 v47, v47, v48
	;; [unrolled: 3-line block ×5, first 2 shown]
	v_cndmask_b32_e64 v48, v4, v0, s1
	s_delay_alu instid0(VALU_DEP_2) | instskip(NEXT) | instid1(VALU_DEP_2)
	v_fma_f32 v47, 0x3b800000, v47, s19
	v_cvt_f32_f16_e32 v48, v48
	s_delay_alu instid0(VALU_DEP_2) | instskip(SKIP_1) | instid1(VALU_DEP_1)
	v_mul_f32_e32 v49, 0x4b800000, v47
	v_cmp_gt_f32_e64 s2, 0x800000, v47
	v_cndmask_b32_e64 v47, v47, v49, s2
	v_cndmask_b32_e64 v49, v6, v2, s1
	s_delay_alu instid0(VALU_DEP_2) | instskip(NEXT) | instid1(VALU_DEP_1)
	v_rsq_f32_e32 v47, v47
	v_cvt_f32_f16_e32 v49, v49
	s_waitcnt_depctr 0xfff
	v_mul_f32_e32 v57, 0x45800000, v47
	s_delay_alu instid0(VALU_DEP_1) | instskip(SKIP_1) | instid1(VALU_DEP_2)
	v_cndmask_b32_e64 v47, v47, v57, s2
	v_cvt_f32_f16_e32 v57, v59
	v_mul_f32_e32 v52, v47, v52
	v_mul_f32_e32 v48, v47, v48
	;; [unrolled: 1-line block ×8, first 2 shown]
	v_dual_mul_f32 v47, v48, v43 :: v_dual_mul_f32 v48, v50, v9
	v_mul_f32_e32 v49, v51, v56
	v_dual_mul_f32 v50, v52, v44 :: v_dual_mul_f32 v43, v59, v58
	v_dual_mul_f32 v44, v53, v45 :: v_dual_mul_f32 v45, v54, v46
	v_mul_f32_e32 v46, v55, v57
	s_and_saveexec_b32 s1, vcc_lo
	s_cbranch_execz .LBB35_9
; %bb.11:                               ;   in Loop: Header=BB35_10 Depth=1
	; wave barrier
	ds_bpermute_b32 v9, v18, v47
	ds_load_u16 v51, v20
	ds_load_u16 v53, v22
	ds_bpermute_b32 v52, v18, v48
	ds_bpermute_b32 v54, v18, v49
	ds_load_u16 v55, v24
	ds_load_u16 v56, v19
	;; [unrolled: 1-line block ×4, first 2 shown]
	ds_bpermute_b32 v59, v18, v50
	ds_load_u16 v60, v25
	ds_load_u16 v61, v26
	ds_bpermute_b32 v62, v18, v43
	ds_load_u16 v63, v28
	ds_load_u16 v65, v30
	;; [unrolled: 1-line block ×3, first 2 shown]
	ds_bpermute_b32 v64, v18, v44
	ds_bpermute_b32 v66, v18, v45
	;; [unrolled: 1-line block ×3, first 2 shown]
	ds_load_u16 v69, v34
	ds_load_u16 v70, v27
	;; [unrolled: 1-line block ×3, first 2 shown]
	s_waitcnt lgkmcnt(21)
	v_cndmask_b32_e64 v9, v9, -v9, s0
	s_waitcnt lgkmcnt(20)
	v_cvt_f32_f16_e32 v51, v51
	s_waitcnt lgkmcnt(19)
	v_cvt_f32_f16_e32 v53, v53
	s_waitcnt lgkmcnt(18)
	v_cndmask_b32_e64 v52, v52, -v52, s0
	s_waitcnt lgkmcnt(17)
	v_cndmask_b32_e64 v54, v54, -v54, s0
	s_waitcnt lgkmcnt(16)
	v_cvt_f32_f16_e32 v55, v55
	v_mul_f32_e32 v9, v9, v51
	s_delay_alu instid0(VALU_DEP_2)
	v_dual_mul_f32 v51, v52, v53 :: v_dual_mul_f32 v52, v54, v55
	ds_load_u16 v53, v31
	ds_load_u16 v54, v33
	s_waitcnt lgkmcnt(17)
	v_fma_mix_f32 v47, v47, v56, v9 op_sel_hi:[0,1,0]
	s_waitcnt lgkmcnt(16)
	v_fma_mix_f32 v48, v48, v57, v51 op_sel_hi:[0,1,0]
	s_waitcnt lgkmcnt(14)
	v_cndmask_b32_e64 v9, v59, -v59, s0
	v_fma_mix_f32 v49, v49, v58, v52 op_sel_hi:[0,1,0]
	s_waitcnt lgkmcnt(12)
	v_cvt_f32_f16_e32 v51, v61
	s_waitcnt lgkmcnt(11)
	v_cndmask_b32_e64 v52, v62, -v62, s0
	s_waitcnt lgkmcnt(10)
	v_cvt_f32_f16_e32 v55, v63
	s_waitcnt lgkmcnt(7)
	v_cndmask_b32_e64 v56, v64, -v64, s0
	v_cvt_f32_f16_e32 v57, v65
	s_waitcnt lgkmcnt(6)
	v_cndmask_b32_e64 v58, v66, -v66, s0
	v_cvt_f32_f16_e32 v59, v67
	s_waitcnt lgkmcnt(5)
	v_cndmask_b32_e64 v61, v68, -v68, s0
	s_waitcnt lgkmcnt(4)
	v_cvt_f32_f16_e32 v62, v69
	v_mul_f32_e32 v9, v9, v51
	v_mul_f32_e32 v51, v52, v55
	v_dual_mul_f32 v52, v56, v57 :: v_dual_mul_f32 v55, v58, v59
	s_delay_alu instid0(VALU_DEP_4) | instskip(NEXT) | instid1(VALU_DEP_4)
	v_mul_f32_e32 v56, v61, v62
	v_fma_mix_f32 v50, v50, v60, v9 op_sel_hi:[0,1,0]
	s_waitcnt lgkmcnt(3)
	v_fma_mix_f32 v43, v43, v70, v51 op_sel_hi:[0,1,0]
	s_waitcnt lgkmcnt(2)
	;; [unrolled: 2-line block ×4, first 2 shown]
	v_fma_mix_f32 v46, v46, v54, v56 op_sel_hi:[0,1,0]
	; wave barrier
	s_branch .LBB35_9
.LBB35_12:
	s_nop 0
	s_sendmsg sendmsg(MSG_DEALLOC_VGPRS)
	s_endpgm
	.section	.rodata,"a",@progbits
	.p2align	6, 0x0
	.amdhsa_kernel _ZN12tensorrt_llm7kernels32fusedQKNormRopeKernelNTokenHeadsIN3c104HalfES3_Li256ELb0ELi2EEEvPviiifPKvS6_S6_PKlii
		.amdhsa_group_segment_fixed_size 0
		.amdhsa_private_segment_fixed_size 0
		.amdhsa_kernarg_size 320
		.amdhsa_user_sgpr_count 15
		.amdhsa_user_sgpr_dispatch_ptr 0
		.amdhsa_user_sgpr_queue_ptr 0
		.amdhsa_user_sgpr_kernarg_segment_ptr 1
		.amdhsa_user_sgpr_dispatch_id 0
		.amdhsa_user_sgpr_private_segment_size 0
		.amdhsa_wavefront_size32 1
		.amdhsa_uses_dynamic_stack 0
		.amdhsa_enable_private_segment 0
		.amdhsa_system_sgpr_workgroup_id_x 1
		.amdhsa_system_sgpr_workgroup_id_y 0
		.amdhsa_system_sgpr_workgroup_id_z 0
		.amdhsa_system_sgpr_workgroup_info 0
		.amdhsa_system_vgpr_workitem_id 0
		.amdhsa_next_free_vgpr 72
		.amdhsa_next_free_sgpr 21
		.amdhsa_reserve_vcc 1
		.amdhsa_float_round_mode_32 0
		.amdhsa_float_round_mode_16_64 0
		.amdhsa_float_denorm_mode_32 3
		.amdhsa_float_denorm_mode_16_64 3
		.amdhsa_dx10_clamp 1
		.amdhsa_ieee_mode 1
		.amdhsa_fp16_overflow 0
		.amdhsa_workgroup_processor_mode 1
		.amdhsa_memory_ordered 1
		.amdhsa_forward_progress 0
		.amdhsa_shared_vgpr_count 0
		.amdhsa_exception_fp_ieee_invalid_op 0
		.amdhsa_exception_fp_denorm_src 0
		.amdhsa_exception_fp_ieee_div_zero 0
		.amdhsa_exception_fp_ieee_overflow 0
		.amdhsa_exception_fp_ieee_underflow 0
		.amdhsa_exception_fp_ieee_inexact 0
		.amdhsa_exception_int_div_zero 0
	.end_amdhsa_kernel
	.section	.text._ZN12tensorrt_llm7kernels32fusedQKNormRopeKernelNTokenHeadsIN3c104HalfES3_Li256ELb0ELi2EEEvPviiifPKvS6_S6_PKlii,"axG",@progbits,_ZN12tensorrt_llm7kernels32fusedQKNormRopeKernelNTokenHeadsIN3c104HalfES3_Li256ELb0ELi2EEEvPviiifPKvS6_S6_PKlii,comdat
.Lfunc_end35:
	.size	_ZN12tensorrt_llm7kernels32fusedQKNormRopeKernelNTokenHeadsIN3c104HalfES3_Li256ELb0ELi2EEEvPviiifPKvS6_S6_PKlii, .Lfunc_end35-_ZN12tensorrt_llm7kernels32fusedQKNormRopeKernelNTokenHeadsIN3c104HalfES3_Li256ELb0ELi2EEEvPviiifPKvS6_S6_PKlii
                                        ; -- End function
	.section	.AMDGPU.csdata,"",@progbits
; Kernel info:
; codeLenInByte = 3024
; NumSgprs: 23
; NumVgprs: 72
; ScratchSize: 0
; MemoryBound: 0
; FloatMode: 240
; IeeeMode: 1
; LDSByteSize: 0 bytes/workgroup (compile time only)
; SGPRBlocks: 2
; VGPRBlocks: 8
; NumSGPRsForWavesPerEU: 23
; NumVGPRsForWavesPerEU: 72
; Occupancy: 16
; WaveLimiterHint : 0
; COMPUTE_PGM_RSRC2:SCRATCH_EN: 0
; COMPUTE_PGM_RSRC2:USER_SGPR: 15
; COMPUTE_PGM_RSRC2:TRAP_HANDLER: 0
; COMPUTE_PGM_RSRC2:TGID_X_EN: 1
; COMPUTE_PGM_RSRC2:TGID_Y_EN: 0
; COMPUTE_PGM_RSRC2:TGID_Z_EN: 0
; COMPUTE_PGM_RSRC2:TIDIG_COMP_CNT: 0
	.section	.text._ZN12tensorrt_llm7kernels32fusedQKNormRopeKernelNTokenHeadsIN3c104HalfES3_Li64ELb1ELi4EEEvPviiifPKvS6_S6_PKlii,"axG",@progbits,_ZN12tensorrt_llm7kernels32fusedQKNormRopeKernelNTokenHeadsIN3c104HalfES3_Li64ELb1ELi4EEEvPviiifPKvS6_S6_PKlii,comdat
	.protected	_ZN12tensorrt_llm7kernels32fusedQKNormRopeKernelNTokenHeadsIN3c104HalfES3_Li64ELb1ELi4EEEvPviiifPKvS6_S6_PKlii ; -- Begin function _ZN12tensorrt_llm7kernels32fusedQKNormRopeKernelNTokenHeadsIN3c104HalfES3_Li64ELb1ELi4EEEvPviiifPKvS6_S6_PKlii
	.globl	_ZN12tensorrt_llm7kernels32fusedQKNormRopeKernelNTokenHeadsIN3c104HalfES3_Li64ELb1ELi4EEEvPviiifPKvS6_S6_PKlii
	.p2align	8
	.type	_ZN12tensorrt_llm7kernels32fusedQKNormRopeKernelNTokenHeadsIN3c104HalfES3_Li64ELb1ELi4EEEvPviiifPKvS6_S6_PKlii,@function
_ZN12tensorrt_llm7kernels32fusedQKNormRopeKernelNTokenHeadsIN3c104HalfES3_Li64ELb1ELi4EEEvPviiifPKvS6_S6_PKlii: ; @_ZN12tensorrt_llm7kernels32fusedQKNormRopeKernelNTokenHeadsIN3c104HalfES3_Li64ELb1ELi4EEEvPviiifPKvS6_S6_PKlii
; %bb.0:
	s_clause 0x1
	s_load_b128 s[16:19], s[0:1], 0x8
	s_load_b64 s[2:3], s[0:1], 0x38
	v_lshrrev_b32_e32 v2, 5, v0
	s_waitcnt lgkmcnt(0)
	s_add_i32 s4, s17, s16
	s_delay_alu instid0(SALU_CYCLE_1) | instskip(NEXT) | instid1(SALU_CYCLE_1)
	s_add_i32 s5, s4, 3
	s_ashr_i32 s6, s5, 31
	s_delay_alu instid0(SALU_CYCLE_1) | instskip(NEXT) | instid1(SALU_CYCLE_1)
	s_lshr_b32 s6, s6, 30
	s_add_i32 s5, s5, s6
	s_delay_alu instid0(SALU_CYCLE_1) | instskip(SKIP_2) | instid1(SALU_CYCLE_1)
	s_ashr_i32 s14, s5, 2
	s_load_b32 s5, s[0:1], 0x4c
	s_abs_i32 s6, s14
	v_cvt_f32_u32_e32 v1, s6
	s_sub_i32 s7, 0, s6
	s_delay_alu instid0(VALU_DEP_1) | instskip(SKIP_4) | instid1(SALU_CYCLE_1)
	v_rcp_iflag_f32_e32 v1, v1
	s_waitcnt_depctr 0xfff
	v_mul_f32_e32 v1, 0x4f7ffffe, v1
	s_waitcnt lgkmcnt(0)
	s_bfe_u32 s5, s5, 0xb0005
	v_mad_u64_u32 v[3:4], null, s15, s5, v[2:3]
	s_delay_alu instid0(VALU_DEP_2) | instskip(NEXT) | instid1(VALU_DEP_1)
	v_cvt_u32_f32_e32 v1, v1
	v_mul_lo_u32 v5, s7, v1
	s_delay_alu instid0(VALU_DEP_1) | instskip(NEXT) | instid1(VALU_DEP_4)
	v_mul_hi_u32 v4, v1, v5
	v_sub_nc_u32_e32 v5, 0, v3
	s_delay_alu instid0(VALU_DEP_1) | instskip(NEXT) | instid1(VALU_DEP_3)
	v_max_i32_e32 v5, v3, v5
	v_add_nc_u32_e32 v1, v1, v4
	s_delay_alu instid0(VALU_DEP_1) | instskip(NEXT) | instid1(VALU_DEP_1)
	v_mul_hi_u32 v1, v5, v1
	v_mul_lo_u32 v4, v1, s6
	s_delay_alu instid0(VALU_DEP_1) | instskip(SKIP_1) | instid1(VALU_DEP_2)
	v_sub_nc_u32_e32 v4, v5, v4
	v_add_nc_u32_e32 v5, 1, v1
	v_subrev_nc_u32_e32 v6, s6, v4
	v_cmp_le_u32_e32 vcc_lo, s6, v4
	s_delay_alu instid0(VALU_DEP_2) | instskip(SKIP_1) | instid1(VALU_DEP_2)
	v_dual_cndmask_b32 v4, v4, v6 :: v_dual_cndmask_b32 v1, v1, v5
	v_xor_b32_e32 v5, s14, v3
	v_cmp_le_u32_e32 vcc_lo, s6, v4
	s_delay_alu instid0(VALU_DEP_3) | instskip(NEXT) | instid1(VALU_DEP_3)
	v_add_nc_u32_e32 v6, 1, v1
	v_ashrrev_i32_e32 v5, 31, v5
	s_delay_alu instid0(VALU_DEP_2) | instskip(NEXT) | instid1(VALU_DEP_1)
	v_cndmask_b32_e32 v1, v1, v6, vcc_lo
	v_xor_b32_e32 v1, v1, v5
	s_delay_alu instid0(VALU_DEP_1) | instskip(NEXT) | instid1(VALU_DEP_1)
	v_sub_nc_u32_e32 v1, v1, v5
	v_cmp_gt_i32_e32 vcc_lo, s2, v1
	s_and_saveexec_b32 s2, vcc_lo
	s_cbranch_execz .LBB36_12
; %bb.1:
	v_mul_lo_u32 v4, v1, s14
	s_load_b64 s[12:13], s[0:1], 0x0
	v_and_b32_e32 v7, 31, v0
	v_lshlrev_b32_e32 v9, 9, v2
	v_lshlrev_b32_e32 v0, 8, v3
	s_lshl_b32 s20, s3, 1
	s_delay_alu instid0(VALU_DEP_3) | instskip(SKIP_2) | instid1(VALU_DEP_1)
	v_lshlrev_b32_e32 v8, 2, v7
	v_sub_nc_u32_e32 v4, v3, v4
	s_mul_i32 s15, s20, s5
	v_lshlrev_b32_e32 v5, 2, v4
	s_delay_alu instid0(VALU_DEP_1) | instskip(SKIP_1) | instid1(VALU_DEP_2)
	v_add_nc_u32_e32 v4, 4, v5
	v_sub_nc_u32_e32 v6, s4, v5
	v_cmp_lt_i32_e32 vcc_lo, s4, v4
	s_delay_alu instid0(VALU_DEP_2) | instskip(NEXT) | instid1(VALU_DEP_1)
	v_cndmask_b32_e32 v6, 4, v6, vcc_lo
	v_cmp_lt_i32_e32 vcc_lo, 0, v6
	s_and_saveexec_b32 s4, vcc_lo
	s_cbranch_execz .LBB36_4
; %bb.2:
	s_add_i32 s2, s18, s17
	s_lshl_b32 s5, s14, 2
	s_add_i32 s2, s2, s16
	s_mov_b32 s6, 0
	s_sub_i32 s2, s2, s5
	s_mov_b32 s5, 0
	v_mul_lo_u32 v3, s2, v1
	s_add_i32 s2, s15, 0
	s_delay_alu instid0(SALU_CYCLE_1) | instskip(NEXT) | instid1(VALU_DEP_2)
	v_add3_u32 v10, s2, v9, v8
	v_lshl_add_u32 v3, v3, 6, v0
	s_delay_alu instid0(VALU_DEP_1)
	v_lshl_or_b32 v3, v7, 1, v3
	.p2align	6
.LBB36_3:                               ; =>This Inner Loop Header: Depth=1
	s_delay_alu instid0(VALU_DEP_1) | instskip(SKIP_1) | instid1(VALU_DEP_1)
	v_ashrrev_i32_e32 v4, 31, v3
	s_add_i32 s6, s6, 1
	v_lshlrev_b64 v[11:12], 1, v[3:4]
	v_add_nc_u32_e32 v3, 64, v3
	s_waitcnt lgkmcnt(0)
	s_delay_alu instid0(VALU_DEP_2) | instskip(NEXT) | instid1(VALU_DEP_1)
	v_add_co_u32 v11, s2, s12, v11
	v_add_co_ci_u32_e64 v12, s2, s13, v12, s2
	v_cmp_ge_i32_e64 s2, s6, v6
	global_load_b32 v4, v[11:12], off
	s_or_b32 s5, s2, s5
	s_waitcnt vmcnt(0)
	ds_store_b32 v10, v4
	v_add_nc_u32_e32 v10, 0x80, v10
	s_and_not1_b32 exec_lo, exec_lo, s5
	s_cbranch_execnz .LBB36_3
.LBB36_4:
	s_or_b32 exec_lo, exec_lo, s4
	s_load_b256 s[4:11], s[0:1], 0x18
	v_mul_lo_u32 v2, v2, s3
	s_add_i32 s0, s20, 15
	s_mov_b32 s20, exec_lo
	s_ashr_i32 s1, s0, 31
	s_delay_alu instid0(SALU_CYCLE_1) | instskip(NEXT) | instid1(SALU_CYCLE_1)
	s_lshr_b32 s1, s1, 28
	s_add_i32 s0, s0, s1
	s_delay_alu instid0(VALU_DEP_1) | instskip(SKIP_1) | instid1(SALU_CYCLE_1)
	v_lshlrev_b32_e32 v4, 1, v2
	s_ashr_i32 s2, s0, 4
	v_cmpx_gt_i32_e64 s2, v7
	s_cbranch_execz .LBB36_7
; %bb.5:
	v_ashrrev_i32_e32 v2, 31, v1
	s_delay_alu instid0(VALU_DEP_1) | instskip(SKIP_1) | instid1(VALU_DEP_1)
	v_lshlrev_b64 v[2:3], 3, v[1:2]
	s_waitcnt lgkmcnt(0)
	v_add_co_u32 v2, s0, s10, v2
	s_delay_alu instid0(VALU_DEP_1)
	v_add_co_ci_u32_e64 v3, s0, s11, v3, s0
	s_ashr_i32 s0, s3, 31
	global_load_b64 v[2:3], v[2:3], off
	s_waitcnt vmcnt(0)
	v_mul_lo_u32 v3, v3, s3
	v_mul_lo_u32 v12, v2, s0
	v_mad_u64_u32 v[10:11], null, v2, s3, 0
	s_delay_alu instid0(VALU_DEP_1) | instskip(NEXT) | instid1(VALU_DEP_1)
	v_add3_u32 v11, v11, v12, v3
	v_lshlrev_b64 v[2:3], 1, v[10:11]
	v_dual_mov_b32 v11, v7 :: v_dual_lshlrev_b32 v10, 4, v7
	s_delay_alu instid0(VALU_DEP_1) | instskip(NEXT) | instid1(VALU_DEP_1)
	v_add_co_u32 v2, s0, v2, v10
	v_add_co_ci_u32_e64 v3, s0, 0, v3, s0
	v_add3_u32 v10, v4, v10, 0
	s_delay_alu instid0(VALU_DEP_3) | instskip(NEXT) | instid1(VALU_DEP_1)
	v_add_co_u32 v2, s0, s8, v2
	v_add_co_ci_u32_e64 v3, s0, s9, v3, s0
	s_mov_b32 s8, 0
	.p2align	6
.LBB36_6:                               ; =>This Inner Loop Header: Depth=1
	global_load_b128 v[12:15], v[2:3], off
	v_add_nc_u32_e32 v11, 32, v11
	v_add_co_u32 v2, s0, 0x200, v2
	s_delay_alu instid0(VALU_DEP_1) | instskip(NEXT) | instid1(VALU_DEP_3)
	v_add_co_ci_u32_e64 v3, s0, 0, v3, s0
	v_cmp_le_i32_e64 s1, s2, v11
	s_delay_alu instid0(VALU_DEP_1)
	s_or_b32 s8, s1, s8
	s_waitcnt vmcnt(0)
	ds_store_b128 v10, v[12:15]
	v_add_nc_u32_e32 v10, 0x200, v10
	s_and_not1_b32 exec_lo, exec_lo, s8
	s_cbranch_execnz .LBB36_6
.LBB36_7:
	s_or_b32 exec_lo, exec_lo, s20
	s_delay_alu instid0(SALU_CYCLE_1)
	s_and_b32 exec_lo, exec_lo, vcc_lo
	s_cbranch_execz .LBB36_12
; %bb.8:
	s_waitcnt lgkmcnt(0)
	s_clause 0x1
	global_load_b32 v2, v8, s[4:5]
	global_load_b32 v3, v8, s[6:7]
	v_mbcnt_lo_u32_b32 v10, -1, 0
	s_lshr_b32 s0, s3, 31
	s_add_i32 s1, s18, s17
	s_lshl_b32 s2, s14, 2
	s_add_i32 s0, s3, s0
	v_xor_b32_e32 v11, 16, v10
	s_add_i32 s1, s1, s16
	s_ashr_i32 s3, s0, 1
	s_and_b32 s4, s0, -2
	s_sub_i32 s0, s1, s2
	v_add_nc_u32_e32 v9, s15, v9
	v_xor_b32_e32 v12, 8, v10
	v_mul_lo_u32 v1, s0, v1
	v_cmp_gt_i32_e64 s0, 32, v11
	v_xor_b32_e32 v13, 4, v10
	v_add3_u32 v8, v9, v8, 0
	v_xor_b32_e32 v15, 2, v10
	v_xor_b32_e32 v16, 1, v10
	v_cndmask_b32_e64 v9, v10, v11, s0
	v_cmp_gt_i32_e64 s0, 32, v12
	v_lshlrev_b32_e32 v14, 1, v7
	v_lshl_add_u32 v0, v1, 6, v0
	v_cmp_gt_i32_e32 vcc_lo, s3, v7
	v_lshlrev_b32_e32 v9, 2, v9
	v_cndmask_b32_e64 v11, v10, v12, s0
	v_cmp_gt_i32_e64 s0, 32, v13
	v_add3_u32 v4, 0, v4, v14
	v_or_b32_e32 v0, v0, v14
	s_mov_b32 s2, 0
	s_mov_b32 s3, 0
	v_cndmask_b32_e64 v12, v10, v13, s0
	v_cmp_gt_i32_e64 s0, 32, v15
	v_add_nc_u32_e32 v7, s4, v4
	s_delay_alu instid0(VALU_DEP_2) | instskip(SKIP_1) | instid1(VALU_DEP_1)
	v_cndmask_b32_e64 v13, v10, v15, s0
	v_cmp_gt_i32_e64 s0, 32, v16
	v_cndmask_b32_e64 v15, v10, v16, s0
	v_lshlrev_b32_e32 v10, 2, v11
	v_lshlrev_b32_e32 v11, 2, v12
	v_lshlrev_b32_e32 v12, 2, v13
	s_delay_alu instid0(VALU_DEP_4)
	v_lshlrev_b32_e32 v13, 2, v15
	s_waitcnt vmcnt(1)
	v_lshrrev_b32_e32 v14, 16, v2
	s_waitcnt vmcnt(0)
	v_lshrrev_b32_e32 v15, 16, v3
	s_branch .LBB36_10
.LBB36_9:                               ;   in Loop: Header=BB36_10 Depth=1
	s_or_b32 exec_lo, exec_lo, s0
	v_ashrrev_i32_e32 v1, 31, v0
	s_delay_alu instid0(VALU_DEP_2)
	v_cvt_f16_f32_e32 v18, v17
	v_cvt_f16_f32_e32 v19, v16
	s_add_i32 s3, s3, 1
	v_add_nc_u32_e32 v8, 0x80, v8
	v_lshlrev_b64 v[16:17], 1, v[0:1]
	v_cmp_ge_i32_e64 s0, s3, v6
	v_pack_b32_f16 v1, v18, v19
	v_add_nc_u32_e32 v0, 64, v0
	s_delay_alu instid0(VALU_DEP_3) | instskip(NEXT) | instid1(VALU_DEP_4)
	s_or_b32 s2, s0, s2
	v_add_co_u32 v16, s1, s12, v16
	s_delay_alu instid0(VALU_DEP_1)
	v_add_co_ci_u32_e64 v17, s1, s13, v17, s1
	global_store_b32 v[16:17], v1, off
	s_and_not1_b32 exec_lo, exec_lo, s2
	s_cbranch_execz .LBB36_12
.LBB36_10:                              ; =>This Inner Loop Header: Depth=1
	ds_load_b32 v1, v8
	s_waitcnt lgkmcnt(0)
	v_cvt_f32_f16_e32 v17, v1
	s_delay_alu instid0(VALU_DEP_1) | instskip(NEXT) | instid1(VALU_DEP_1)
	v_mul_f32_e32 v16, v17, v17
	v_fma_mix_f32 v16, v1, v1, v16 op_sel:[1,1,0] op_sel_hi:[1,1,0]
	v_lshrrev_b32_e32 v1, 16, v1
	ds_bpermute_b32 v18, v9, v16
	v_cvt_f32_f16_e32 v1, v1
	s_waitcnt lgkmcnt(0)
	v_add_f32_e32 v16, v16, v18
	ds_bpermute_b32 v18, v10, v16
	s_waitcnt lgkmcnt(0)
	v_add_f32_e32 v16, v16, v18
	ds_bpermute_b32 v18, v11, v16
	;; [unrolled: 3-line block ×4, first 2 shown]
	s_waitcnt lgkmcnt(0)
	v_add_f32_e32 v16, v16, v18
	s_delay_alu instid0(VALU_DEP_1) | instskip(NEXT) | instid1(VALU_DEP_1)
	v_fma_f32 v16, 0x3c800000, v16, s19
	v_mul_f32_e32 v18, 0x4b800000, v16
	v_cmp_gt_f32_e64 s0, 0x800000, v16
	s_delay_alu instid0(VALU_DEP_1) | instskip(NEXT) | instid1(VALU_DEP_1)
	v_cndmask_b32_e64 v16, v16, v18, s0
	v_rsq_f32_e32 v16, v16
	s_waitcnt_depctr 0xfff
	v_dual_mul_f32 v19, 0x45800000, v16 :: v_dual_add_nc_u32 v18, s3, v5
	s_delay_alu instid0(VALU_DEP_1) | instskip(NEXT) | instid1(VALU_DEP_2)
	v_cmp_gt_i32_e64 s1, s16, v18
	v_cndmask_b32_e64 v16, v16, v19, s0
	s_delay_alu instid0(VALU_DEP_2) | instskip(SKIP_1) | instid1(VALU_DEP_2)
	v_cndmask_b32_e64 v18, v15, v14, s1
	v_cndmask_b32_e64 v20, v3, v2, s1
	v_cvt_f32_f16_e32 v18, v18
	s_delay_alu instid0(VALU_DEP_2) | instskip(NEXT) | instid1(VALU_DEP_2)
	v_cvt_f32_f16_e32 v19, v20
	v_mul_f32_e32 v18, v16, v18
	s_delay_alu instid0(VALU_DEP_1) | instskip(NEXT) | instid1(VALU_DEP_1)
	v_dual_mul_f32 v19, v16, v19 :: v_dual_mul_f32 v16, v18, v1
	v_mul_f32_e32 v17, v19, v17
	s_and_saveexec_b32 s0, vcc_lo
	s_cbranch_execz .LBB36_9
; %bb.11:                               ;   in Loop: Header=BB36_10 Depth=1
	ds_load_u16 v1, v7
	ds_load_u16 v18, v4
	s_waitcnt lgkmcnt(1)
	v_cvt_f32_f16_e32 v19, v1
	s_waitcnt lgkmcnt(0)
	v_cvt_f32_f16_e32 v20, v18
	s_delay_alu instid0(VALU_DEP_2) | instskip(NEXT) | instid1(VALU_DEP_1)
	v_mul_f32_e32 v19, v16, v19
	v_fma_mix_f32 v18, v17, v18, -v19 op_sel_hi:[0,1,0]
	s_delay_alu instid0(VALU_DEP_3) | instskip(NEXT) | instid1(VALU_DEP_1)
	v_mul_f32_e32 v16, v16, v20
	v_fma_mix_f32 v16, v17, v1, v16 op_sel_hi:[0,1,0]
	s_delay_alu instid0(VALU_DEP_3)
	v_mov_b32_e32 v17, v18
	s_branch .LBB36_9
.LBB36_12:
	s_nop 0
	s_sendmsg sendmsg(MSG_DEALLOC_VGPRS)
	s_endpgm
	.section	.rodata,"a",@progbits
	.p2align	6, 0x0
	.amdhsa_kernel _ZN12tensorrt_llm7kernels32fusedQKNormRopeKernelNTokenHeadsIN3c104HalfES3_Li64ELb1ELi4EEEvPviiifPKvS6_S6_PKlii
		.amdhsa_group_segment_fixed_size 0
		.amdhsa_private_segment_fixed_size 0
		.amdhsa_kernarg_size 320
		.amdhsa_user_sgpr_count 15
		.amdhsa_user_sgpr_dispatch_ptr 0
		.amdhsa_user_sgpr_queue_ptr 0
		.amdhsa_user_sgpr_kernarg_segment_ptr 1
		.amdhsa_user_sgpr_dispatch_id 0
		.amdhsa_user_sgpr_private_segment_size 0
		.amdhsa_wavefront_size32 1
		.amdhsa_uses_dynamic_stack 0
		.amdhsa_enable_private_segment 0
		.amdhsa_system_sgpr_workgroup_id_x 1
		.amdhsa_system_sgpr_workgroup_id_y 0
		.amdhsa_system_sgpr_workgroup_id_z 0
		.amdhsa_system_sgpr_workgroup_info 0
		.amdhsa_system_vgpr_workitem_id 0
		.amdhsa_next_free_vgpr 21
		.amdhsa_next_free_sgpr 21
		.amdhsa_reserve_vcc 1
		.amdhsa_float_round_mode_32 0
		.amdhsa_float_round_mode_16_64 0
		.amdhsa_float_denorm_mode_32 3
		.amdhsa_float_denorm_mode_16_64 3
		.amdhsa_dx10_clamp 1
		.amdhsa_ieee_mode 1
		.amdhsa_fp16_overflow 0
		.amdhsa_workgroup_processor_mode 1
		.amdhsa_memory_ordered 1
		.amdhsa_forward_progress 0
		.amdhsa_shared_vgpr_count 0
		.amdhsa_exception_fp_ieee_invalid_op 0
		.amdhsa_exception_fp_denorm_src 0
		.amdhsa_exception_fp_ieee_div_zero 0
		.amdhsa_exception_fp_ieee_overflow 0
		.amdhsa_exception_fp_ieee_underflow 0
		.amdhsa_exception_fp_ieee_inexact 0
		.amdhsa_exception_int_div_zero 0
	.end_amdhsa_kernel
	.section	.text._ZN12tensorrt_llm7kernels32fusedQKNormRopeKernelNTokenHeadsIN3c104HalfES3_Li64ELb1ELi4EEEvPviiifPKvS6_S6_PKlii,"axG",@progbits,_ZN12tensorrt_llm7kernels32fusedQKNormRopeKernelNTokenHeadsIN3c104HalfES3_Li64ELb1ELi4EEEvPviiifPKvS6_S6_PKlii,comdat
.Lfunc_end36:
	.size	_ZN12tensorrt_llm7kernels32fusedQKNormRopeKernelNTokenHeadsIN3c104HalfES3_Li64ELb1ELi4EEEvPviiifPKvS6_S6_PKlii, .Lfunc_end36-_ZN12tensorrt_llm7kernels32fusedQKNormRopeKernelNTokenHeadsIN3c104HalfES3_Li64ELb1ELi4EEEvPviiifPKvS6_S6_PKlii
                                        ; -- End function
	.section	.AMDGPU.csdata,"",@progbits
; Kernel info:
; codeLenInByte = 1580
; NumSgprs: 23
; NumVgprs: 21
; ScratchSize: 0
; MemoryBound: 0
; FloatMode: 240
; IeeeMode: 1
; LDSByteSize: 0 bytes/workgroup (compile time only)
; SGPRBlocks: 2
; VGPRBlocks: 2
; NumSGPRsForWavesPerEU: 23
; NumVGPRsForWavesPerEU: 21
; Occupancy: 16
; WaveLimiterHint : 0
; COMPUTE_PGM_RSRC2:SCRATCH_EN: 0
; COMPUTE_PGM_RSRC2:USER_SGPR: 15
; COMPUTE_PGM_RSRC2:TRAP_HANDLER: 0
; COMPUTE_PGM_RSRC2:TGID_X_EN: 1
; COMPUTE_PGM_RSRC2:TGID_Y_EN: 0
; COMPUTE_PGM_RSRC2:TGID_Z_EN: 0
; COMPUTE_PGM_RSRC2:TIDIG_COMP_CNT: 0
	.section	.text._ZN12tensorrt_llm7kernels32fusedQKNormRopeKernelNTokenHeadsIN3c104HalfES3_Li64ELb0ELi4EEEvPviiifPKvS6_S6_PKlii,"axG",@progbits,_ZN12tensorrt_llm7kernels32fusedQKNormRopeKernelNTokenHeadsIN3c104HalfES3_Li64ELb0ELi4EEEvPviiifPKvS6_S6_PKlii,comdat
	.protected	_ZN12tensorrt_llm7kernels32fusedQKNormRopeKernelNTokenHeadsIN3c104HalfES3_Li64ELb0ELi4EEEvPviiifPKvS6_S6_PKlii ; -- Begin function _ZN12tensorrt_llm7kernels32fusedQKNormRopeKernelNTokenHeadsIN3c104HalfES3_Li64ELb0ELi4EEEvPviiifPKvS6_S6_PKlii
	.globl	_ZN12tensorrt_llm7kernels32fusedQKNormRopeKernelNTokenHeadsIN3c104HalfES3_Li64ELb0ELi4EEEvPviiifPKvS6_S6_PKlii
	.p2align	8
	.type	_ZN12tensorrt_llm7kernels32fusedQKNormRopeKernelNTokenHeadsIN3c104HalfES3_Li64ELb0ELi4EEEvPviiifPKvS6_S6_PKlii,@function
_ZN12tensorrt_llm7kernels32fusedQKNormRopeKernelNTokenHeadsIN3c104HalfES3_Li64ELb0ELi4EEEvPviiifPKvS6_S6_PKlii: ; @_ZN12tensorrt_llm7kernels32fusedQKNormRopeKernelNTokenHeadsIN3c104HalfES3_Li64ELb0ELi4EEEvPviiifPKvS6_S6_PKlii
; %bb.0:
	s_clause 0x1
	s_load_b128 s[16:19], s[0:1], 0x8
	s_load_b64 s[2:3], s[0:1], 0x38
	v_lshrrev_b32_e32 v2, 5, v0
	s_waitcnt lgkmcnt(0)
	s_add_i32 s4, s17, s16
	s_delay_alu instid0(SALU_CYCLE_1) | instskip(NEXT) | instid1(SALU_CYCLE_1)
	s_add_i32 s5, s4, 3
	s_ashr_i32 s6, s5, 31
	s_delay_alu instid0(SALU_CYCLE_1) | instskip(NEXT) | instid1(SALU_CYCLE_1)
	s_lshr_b32 s6, s6, 30
	s_add_i32 s5, s5, s6
	s_delay_alu instid0(SALU_CYCLE_1) | instskip(SKIP_2) | instid1(SALU_CYCLE_1)
	s_ashr_i32 s14, s5, 2
	s_load_b32 s5, s[0:1], 0x4c
	s_abs_i32 s6, s14
	v_cvt_f32_u32_e32 v1, s6
	s_sub_i32 s7, 0, s6
	s_delay_alu instid0(VALU_DEP_1) | instskip(SKIP_4) | instid1(SALU_CYCLE_1)
	v_rcp_iflag_f32_e32 v1, v1
	s_waitcnt_depctr 0xfff
	v_mul_f32_e32 v1, 0x4f7ffffe, v1
	s_waitcnt lgkmcnt(0)
	s_bfe_u32 s5, s5, 0xb0005
	v_mad_u64_u32 v[3:4], null, s15, s5, v[2:3]
	s_delay_alu instid0(VALU_DEP_2) | instskip(NEXT) | instid1(VALU_DEP_1)
	v_cvt_u32_f32_e32 v1, v1
	v_mul_lo_u32 v5, s7, v1
	s_delay_alu instid0(VALU_DEP_1) | instskip(NEXT) | instid1(VALU_DEP_4)
	v_mul_hi_u32 v4, v1, v5
	v_sub_nc_u32_e32 v5, 0, v3
	s_delay_alu instid0(VALU_DEP_1) | instskip(NEXT) | instid1(VALU_DEP_3)
	v_max_i32_e32 v5, v3, v5
	v_add_nc_u32_e32 v1, v1, v4
	s_delay_alu instid0(VALU_DEP_1) | instskip(NEXT) | instid1(VALU_DEP_1)
	v_mul_hi_u32 v1, v5, v1
	v_mul_lo_u32 v4, v1, s6
	s_delay_alu instid0(VALU_DEP_1) | instskip(SKIP_1) | instid1(VALU_DEP_2)
	v_sub_nc_u32_e32 v4, v5, v4
	v_add_nc_u32_e32 v5, 1, v1
	v_subrev_nc_u32_e32 v6, s6, v4
	v_cmp_le_u32_e32 vcc_lo, s6, v4
	s_delay_alu instid0(VALU_DEP_2) | instskip(SKIP_1) | instid1(VALU_DEP_2)
	v_dual_cndmask_b32 v4, v4, v6 :: v_dual_cndmask_b32 v1, v1, v5
	v_xor_b32_e32 v5, s14, v3
	v_cmp_le_u32_e32 vcc_lo, s6, v4
	s_delay_alu instid0(VALU_DEP_3) | instskip(NEXT) | instid1(VALU_DEP_3)
	v_add_nc_u32_e32 v6, 1, v1
	v_ashrrev_i32_e32 v5, 31, v5
	s_delay_alu instid0(VALU_DEP_2) | instskip(NEXT) | instid1(VALU_DEP_1)
	v_cndmask_b32_e32 v1, v1, v6, vcc_lo
	v_xor_b32_e32 v1, v1, v5
	s_delay_alu instid0(VALU_DEP_1) | instskip(NEXT) | instid1(VALU_DEP_1)
	v_sub_nc_u32_e32 v1, v1, v5
	v_cmp_gt_i32_e32 vcc_lo, s2, v1
	s_and_saveexec_b32 s2, vcc_lo
	s_cbranch_execz .LBB37_12
; %bb.1:
	v_mul_lo_u32 v4, v1, s14
	s_load_b64 s[12:13], s[0:1], 0x0
	v_and_b32_e32 v0, 31, v0
	v_lshlrev_b32_e32 v9, 9, v2
	v_lshlrev_b32_e32 v8, 8, v3
	s_lshl_b32 s20, s3, 1
	s_delay_alu instid0(VALU_DEP_3) | instskip(SKIP_2) | instid1(VALU_DEP_1)
	v_lshlrev_b32_e32 v7, 2, v0
	v_sub_nc_u32_e32 v4, v3, v4
	s_mul_i32 s15, s20, s5
	v_lshlrev_b32_e32 v5, 2, v4
	s_delay_alu instid0(VALU_DEP_1) | instskip(SKIP_1) | instid1(VALU_DEP_2)
	v_add_nc_u32_e32 v4, 4, v5
	v_sub_nc_u32_e32 v6, s4, v5
	v_cmp_lt_i32_e32 vcc_lo, s4, v4
	s_delay_alu instid0(VALU_DEP_2) | instskip(NEXT) | instid1(VALU_DEP_1)
	v_cndmask_b32_e32 v6, 4, v6, vcc_lo
	v_cmp_lt_i32_e32 vcc_lo, 0, v6
	s_and_saveexec_b32 s4, vcc_lo
	s_cbranch_execz .LBB37_4
; %bb.2:
	s_add_i32 s2, s18, s17
	s_lshl_b32 s5, s14, 2
	s_add_i32 s2, s2, s16
	s_mov_b32 s6, 0
	s_sub_i32 s2, s2, s5
	s_mov_b32 s5, 0
	v_mul_lo_u32 v3, s2, v1
	s_add_i32 s2, s15, 0
	s_delay_alu instid0(SALU_CYCLE_1) | instskip(NEXT) | instid1(VALU_DEP_2)
	v_add3_u32 v10, s2, v9, v7
	v_lshl_add_u32 v3, v3, 6, v8
	s_delay_alu instid0(VALU_DEP_1)
	v_lshl_or_b32 v3, v0, 1, v3
	.p2align	6
.LBB37_3:                               ; =>This Inner Loop Header: Depth=1
	s_delay_alu instid0(VALU_DEP_1) | instskip(SKIP_1) | instid1(VALU_DEP_1)
	v_ashrrev_i32_e32 v4, 31, v3
	s_add_i32 s6, s6, 1
	v_lshlrev_b64 v[11:12], 1, v[3:4]
	v_add_nc_u32_e32 v3, 64, v3
	s_waitcnt lgkmcnt(0)
	s_delay_alu instid0(VALU_DEP_2) | instskip(NEXT) | instid1(VALU_DEP_1)
	v_add_co_u32 v11, s2, s12, v11
	v_add_co_ci_u32_e64 v12, s2, s13, v12, s2
	v_cmp_ge_i32_e64 s2, s6, v6
	global_load_b32 v4, v[11:12], off
	s_or_b32 s5, s2, s5
	s_waitcnt vmcnt(0)
	ds_store_b32 v10, v4
	v_add_nc_u32_e32 v10, 0x80, v10
	s_and_not1_b32 exec_lo, exec_lo, s5
	s_cbranch_execnz .LBB37_3
.LBB37_4:
	s_or_b32 exec_lo, exec_lo, s4
	s_load_b256 s[4:11], s[0:1], 0x18
	s_add_i32 s0, s20, 15
	v_mul_lo_u32 v4, v2, s3
	s_ashr_i32 s1, s0, 31
	s_mov_b32 s20, exec_lo
	s_lshr_b32 s1, s1, 28
	s_delay_alu instid0(SALU_CYCLE_1) | instskip(NEXT) | instid1(SALU_CYCLE_1)
	s_add_i32 s0, s0, s1
	s_ashr_i32 s2, s0, 4
	s_delay_alu instid0(SALU_CYCLE_1)
	v_cmpx_gt_i32_e64 s2, v0
	s_cbranch_execz .LBB37_7
; %bb.5:
	v_ashrrev_i32_e32 v2, 31, v1
	s_delay_alu instid0(VALU_DEP_1) | instskip(SKIP_1) | instid1(VALU_DEP_1)
	v_lshlrev_b64 v[2:3], 3, v[1:2]
	s_waitcnt lgkmcnt(0)
	v_add_co_u32 v2, s0, s10, v2
	s_delay_alu instid0(VALU_DEP_1)
	v_add_co_ci_u32_e64 v3, s0, s11, v3, s0
	s_ashr_i32 s0, s3, 31
	global_load_b64 v[2:3], v[2:3], off
	s_waitcnt vmcnt(0)
	v_mul_lo_u32 v3, v3, s3
	v_mul_lo_u32 v12, v2, s0
	v_mad_u64_u32 v[10:11], null, v2, s3, 0
	s_delay_alu instid0(VALU_DEP_1) | instskip(NEXT) | instid1(VALU_DEP_1)
	v_add3_u32 v11, v11, v12, v3
	v_lshlrev_b64 v[2:3], 1, v[10:11]
	v_lshlrev_b32_e32 v10, 4, v0
	v_lshlrev_b32_e32 v11, 1, v4
	s_delay_alu instid0(VALU_DEP_2) | instskip(NEXT) | instid1(VALU_DEP_1)
	v_add_co_u32 v2, s0, v2, v10
	v_add_co_ci_u32_e64 v3, s0, 0, v3, s0
	s_delay_alu instid0(VALU_DEP_3) | instskip(SKIP_1) | instid1(VALU_DEP_4)
	v_add3_u32 v10, v11, v10, 0
	v_mov_b32_e32 v11, v0
	v_add_co_u32 v2, s0, s8, v2
	s_delay_alu instid0(VALU_DEP_1)
	v_add_co_ci_u32_e64 v3, s0, s9, v3, s0
	s_mov_b32 s8, 0
	.p2align	6
.LBB37_6:                               ; =>This Inner Loop Header: Depth=1
	global_load_b128 v[12:15], v[2:3], off
	v_add_nc_u32_e32 v11, 32, v11
	v_add_co_u32 v2, s0, 0x200, v2
	s_delay_alu instid0(VALU_DEP_1) | instskip(NEXT) | instid1(VALU_DEP_3)
	v_add_co_ci_u32_e64 v3, s0, 0, v3, s0
	v_cmp_le_i32_e64 s1, s2, v11
	s_delay_alu instid0(VALU_DEP_1)
	s_or_b32 s8, s1, s8
	s_waitcnt vmcnt(0)
	ds_store_b128 v10, v[12:15]
	v_add_nc_u32_e32 v10, 0x200, v10
	s_and_not1_b32 exec_lo, exec_lo, s8
	s_cbranch_execnz .LBB37_6
.LBB37_7:
	s_or_b32 exec_lo, exec_lo, s20
	s_delay_alu instid0(SALU_CYCLE_1)
	s_and_b32 exec_lo, exec_lo, vcc_lo
	s_cbranch_execz .LBB37_12
; %bb.8:
	s_waitcnt lgkmcnt(0)
	s_clause 0x1
	global_load_b32 v2, v7, s[4:5]
	global_load_b32 v3, v7, s[6:7]
	s_abs_i32 s2, s3
	v_lshl_add_u32 v15, v4, 1, 0
	v_cvt_f32_u32_e32 v10, s2
	s_sub_i32 s0, 0, s2
	v_mbcnt_lo_u32_b32 v4, -1, 0
	v_or_b32_e32 v12, 2, v7
	s_add_i32 s1, s18, s17
	v_rcp_iflag_f32_e32 v10, v10
	s_lshl_b32 s4, s14, 2
	s_add_i32 s1, s1, s16
	v_xor_b32_e32 v13, 4, v4
	s_sub_i32 s1, s1, s4
	v_xor_b32_e32 v16, 2, v4
	v_mul_lo_u32 v1, s1, v1
	v_xor_b32_e32 v17, 1, v4
	s_mov_b32 s4, 0
	s_waitcnt_depctr 0xfff
	v_dual_mul_f32 v10, 0x4f7ffffe, v10 :: v_dual_add_nc_u32 v19, s15, v9
	v_lshl_add_u32 v1, v1, 6, v8
	s_delay_alu instid0(VALU_DEP_2) | instskip(NEXT) | instid1(VALU_DEP_1)
	v_cvt_u32_f32_e32 v10, v10
	v_mul_lo_u32 v11, s0, v10
	s_lshr_b32 s0, s3, 31
	s_delay_alu instid0(SALU_CYCLE_1) | instskip(NEXT) | instid1(SALU_CYCLE_1)
	s_add_i32 s0, s3, s0
	s_ashr_i32 s3, s0, 1
	s_and_b32 s0, s0, -2
	v_cmp_gt_i32_e32 vcc_lo, s3, v0
	s_delay_alu instid0(VALU_DEP_2)
	v_mul_hi_u32 v11, v10, v11
	v_add_nc_u32_e32 v18, s0, v15
	s_lshr_b32 s0, s3, 1
	s_mov_b32 s3, 0
	v_xor_b32_e32 v20, s0, v4
	v_cmp_gt_u32_e64 s0, s0, v0
	v_lshl_or_b32 v0, v0, 1, v1
	v_add_nc_u32_e32 v9, v10, v11
	v_xor_b32_e32 v10, 16, v4
	v_xor_b32_e32 v11, 8, v4
	s_delay_alu instid0(VALU_DEP_3) | instskip(SKIP_1) | instid1(VALU_DEP_4)
	v_mul_hi_u32 v14, v7, v9
	v_mul_hi_u32 v9, v12, v9
	v_cmp_gt_i32_e64 s1, 32, v10
	s_delay_alu instid0(VALU_DEP_1) | instskip(SKIP_1) | instid1(VALU_DEP_4)
	v_cndmask_b32_e64 v10, v4, v10, s1
	v_cmp_gt_i32_e64 s1, 32, v11
	v_mul_lo_u32 v9, v9, s2
	v_mul_lo_u32 v14, v14, s2
	s_delay_alu instid0(VALU_DEP_3) | instskip(SKIP_1) | instid1(VALU_DEP_4)
	v_cndmask_b32_e64 v11, v4, v11, s1
	v_cmp_gt_i32_e64 s1, 32, v13
	v_sub_nc_u32_e32 v9, v12, v9
	s_delay_alu instid0(VALU_DEP_4) | instskip(NEXT) | instid1(VALU_DEP_3)
	v_sub_nc_u32_e32 v14, v7, v14
	v_cndmask_b32_e64 v12, v4, v13, s1
	v_cmp_gt_i32_e64 s1, 32, v16
	v_lshlrev_b32_e32 v8, 2, v11
	v_subrev_nc_u32_e32 v21, s2, v9
	v_add3_u32 v7, v19, v7, 0
	s_delay_alu instid0(VALU_DEP_4) | instskip(SKIP_2) | instid1(VALU_DEP_2)
	v_cndmask_b32_e64 v13, v4, v16, s1
	v_cmp_gt_i32_e64 s1, 32, v17
	v_subrev_nc_u32_e32 v16, s2, v14
	v_cndmask_b32_e64 v17, v4, v17, s1
	v_cmp_le_u32_e64 s1, s2, v14
	s_delay_alu instid0(VALU_DEP_1) | instskip(SKIP_1) | instid1(VALU_DEP_1)
	v_cndmask_b32_e64 v14, v14, v16, s1
	v_cmp_le_u32_e64 s1, s2, v9
	v_cndmask_b32_e64 v9, v9, v21, s1
	v_cmp_gt_i32_e64 s1, 32, v20
	s_delay_alu instid0(VALU_DEP_1) | instskip(SKIP_4) | instid1(VALU_DEP_3)
	v_cndmask_b32_e64 v16, v4, v20, s1
	v_subrev_nc_u32_e32 v20, s2, v14
	v_cmp_le_u32_e64 s1, s2, v14
	v_lshlrev_b32_e32 v4, 2, v10
	v_subrev_nc_u32_e32 v10, s2, v9
	v_cndmask_b32_e64 v11, v14, v20, s1
	v_cmp_le_u32_e64 s1, s2, v9
	s_delay_alu instid0(VALU_DEP_2) | instskip(NEXT) | instid1(VALU_DEP_2)
	v_and_b32_e32 v20, -2, v11
	v_cndmask_b32_e64 v14, v9, v10, s1
	v_lshlrev_b32_e32 v11, 2, v17
	v_lshlrev_b32_e32 v9, 2, v12
	;; [unrolled: 1-line block ×4, first 2 shown]
	v_and_b32_e32 v17, -2, v14
	v_add_nc_u32_e32 v13, v15, v20
	v_add_nc_u32_e32 v14, v18, v20
	s_delay_alu instid0(VALU_DEP_3)
	v_add_nc_u32_e32 v15, v15, v17
	v_add_nc_u32_e32 v16, v18, v17
	s_waitcnt vmcnt(1)
	v_lshrrev_b32_e32 v17, 16, v2
	s_waitcnt vmcnt(0)
	v_lshrrev_b32_e32 v18, 16, v3
	s_branch .LBB37_10
.LBB37_9:                               ;   in Loop: Header=BB37_10 Depth=1
	s_or_b32 exec_lo, exec_lo, s1
	v_ashrrev_i32_e32 v1, 31, v0
	v_cvt_f16_f32_e32 v21, v19
	v_cvt_f16_f32_e32 v22, v20
	s_add_i32 s4, s4, 1
	v_add_nc_u32_e32 v7, 0x80, v7
	v_lshlrev_b64 v[19:20], 1, v[0:1]
	v_cmp_ge_i32_e64 s1, s4, v6
	v_pack_b32_f16 v1, v21, v22
	v_add_nc_u32_e32 v0, 64, v0
	s_delay_alu instid0(VALU_DEP_3) | instskip(NEXT) | instid1(VALU_DEP_4)
	s_or_b32 s3, s1, s3
	v_add_co_u32 v19, s2, s12, v19
	s_delay_alu instid0(VALU_DEP_1)
	v_add_co_ci_u32_e64 v20, s2, s13, v20, s2
	global_store_b32 v[19:20], v1, off
	s_and_not1_b32 exec_lo, exec_lo, s3
	s_cbranch_execz .LBB37_12
.LBB37_10:                              ; =>This Inner Loop Header: Depth=1
	ds_load_b32 v1, v7
	s_waitcnt lgkmcnt(0)
	v_cvt_f32_f16_e32 v19, v1
	s_delay_alu instid0(VALU_DEP_1) | instskip(NEXT) | instid1(VALU_DEP_1)
	v_mul_f32_e32 v20, v19, v19
	v_fma_mix_f32 v20, v1, v1, v20 op_sel:[1,1,0] op_sel_hi:[1,1,0]
	v_lshrrev_b32_e32 v1, 16, v1
	ds_bpermute_b32 v21, v4, v20
	v_cvt_f32_f16_e32 v1, v1
	s_waitcnt lgkmcnt(0)
	v_add_f32_e32 v20, v20, v21
	ds_bpermute_b32 v21, v8, v20
	s_waitcnt lgkmcnt(0)
	v_add_f32_e32 v20, v20, v21
	ds_bpermute_b32 v21, v9, v20
	;; [unrolled: 3-line block ×4, first 2 shown]
	s_waitcnt lgkmcnt(0)
	v_add_f32_e32 v20, v20, v21
	s_delay_alu instid0(VALU_DEP_1) | instskip(NEXT) | instid1(VALU_DEP_1)
	v_fma_f32 v20, 0x3c800000, v20, s19
	v_mul_f32_e32 v21, 0x4b800000, v20
	v_cmp_gt_f32_e64 s1, 0x800000, v20
	s_delay_alu instid0(VALU_DEP_1) | instskip(SKIP_1) | instid1(VALU_DEP_2)
	v_cndmask_b32_e64 v20, v20, v21, s1
	v_add_nc_u32_e32 v21, s4, v5
	v_rsq_f32_e32 v20, v20
	s_delay_alu instid0(VALU_DEP_1) | instskip(NEXT) | instid1(VALU_DEP_1)
	v_cmp_gt_i32_e64 s2, s16, v21
	v_cndmask_b32_e64 v21, v3, v2, s2
	v_cndmask_b32_e64 v23, v18, v17, s2
	s_delay_alu instid0(VALU_DEP_2) | instskip(SKIP_2) | instid1(VALU_DEP_1)
	v_cvt_f32_f16_e32 v21, v21
	s_waitcnt_depctr 0xfff
	v_mul_f32_e32 v22, 0x45800000, v20
	v_cndmask_b32_e64 v20, v20, v22, s1
	v_cvt_f32_f16_e32 v22, v23
	s_delay_alu instid0(VALU_DEP_2) | instskip(NEXT) | instid1(VALU_DEP_1)
	v_mul_f32_e32 v21, v20, v21
	v_dual_mul_f32 v20, v20, v22 :: v_dual_mul_f32 v19, v21, v19
	s_delay_alu instid0(VALU_DEP_1)
	v_mul_f32_e32 v20, v20, v1
	s_and_saveexec_b32 s1, vcc_lo
	s_cbranch_execz .LBB37_9
; %bb.11:                               ;   in Loop: Header=BB37_10 Depth=1
	; wave barrier
	ds_bpermute_b32 v1, v12, v19
	ds_load_u16 v21, v14
	ds_bpermute_b32 v22, v12, v20
	ds_load_u16 v23, v16
	ds_load_u16 v24, v13
	;; [unrolled: 1-line block ×3, first 2 shown]
	; wave barrier
	s_waitcnt lgkmcnt(5)
	v_cndmask_b32_e64 v1, v1, -v1, s0
	s_waitcnt lgkmcnt(4)
	v_cvt_f32_f16_e32 v21, v21
	s_waitcnt lgkmcnt(3)
	v_cndmask_b32_e64 v22, v22, -v22, s0
	s_waitcnt lgkmcnt(2)
	v_cvt_f32_f16_e32 v23, v23
	v_mul_f32_e32 v1, v1, v21
	s_delay_alu instid0(VALU_DEP_2) | instskip(SKIP_1) | instid1(VALU_DEP_2)
	v_mul_f32_e32 v21, v22, v23
	s_waitcnt lgkmcnt(1)
	v_fma_mix_f32 v19, v19, v24, v1 op_sel_hi:[0,1,0]
	s_waitcnt lgkmcnt(0)
	s_delay_alu instid0(VALU_DEP_2)
	v_fma_mix_f32 v20, v20, v25, v21 op_sel_hi:[0,1,0]
	s_branch .LBB37_9
.LBB37_12:
	s_nop 0
	s_sendmsg sendmsg(MSG_DEALLOC_VGPRS)
	s_endpgm
	.section	.rodata,"a",@progbits
	.p2align	6, 0x0
	.amdhsa_kernel _ZN12tensorrt_llm7kernels32fusedQKNormRopeKernelNTokenHeadsIN3c104HalfES3_Li64ELb0ELi4EEEvPviiifPKvS6_S6_PKlii
		.amdhsa_group_segment_fixed_size 0
		.amdhsa_private_segment_fixed_size 0
		.amdhsa_kernarg_size 320
		.amdhsa_user_sgpr_count 15
		.amdhsa_user_sgpr_dispatch_ptr 0
		.amdhsa_user_sgpr_queue_ptr 0
		.amdhsa_user_sgpr_kernarg_segment_ptr 1
		.amdhsa_user_sgpr_dispatch_id 0
		.amdhsa_user_sgpr_private_segment_size 0
		.amdhsa_wavefront_size32 1
		.amdhsa_uses_dynamic_stack 0
		.amdhsa_enable_private_segment 0
		.amdhsa_system_sgpr_workgroup_id_x 1
		.amdhsa_system_sgpr_workgroup_id_y 0
		.amdhsa_system_sgpr_workgroup_id_z 0
		.amdhsa_system_sgpr_workgroup_info 0
		.amdhsa_system_vgpr_workitem_id 0
		.amdhsa_next_free_vgpr 26
		.amdhsa_next_free_sgpr 21
		.amdhsa_reserve_vcc 1
		.amdhsa_float_round_mode_32 0
		.amdhsa_float_round_mode_16_64 0
		.amdhsa_float_denorm_mode_32 3
		.amdhsa_float_denorm_mode_16_64 3
		.amdhsa_dx10_clamp 1
		.amdhsa_ieee_mode 1
		.amdhsa_fp16_overflow 0
		.amdhsa_workgroup_processor_mode 1
		.amdhsa_memory_ordered 1
		.amdhsa_forward_progress 0
		.amdhsa_shared_vgpr_count 0
		.amdhsa_exception_fp_ieee_invalid_op 0
		.amdhsa_exception_fp_denorm_src 0
		.amdhsa_exception_fp_ieee_div_zero 0
		.amdhsa_exception_fp_ieee_overflow 0
		.amdhsa_exception_fp_ieee_underflow 0
		.amdhsa_exception_fp_ieee_inexact 0
		.amdhsa_exception_int_div_zero 0
	.end_amdhsa_kernel
	.section	.text._ZN12tensorrt_llm7kernels32fusedQKNormRopeKernelNTokenHeadsIN3c104HalfES3_Li64ELb0ELi4EEEvPviiifPKvS6_S6_PKlii,"axG",@progbits,_ZN12tensorrt_llm7kernels32fusedQKNormRopeKernelNTokenHeadsIN3c104HalfES3_Li64ELb0ELi4EEEvPviiifPKvS6_S6_PKlii,comdat
.Lfunc_end37:
	.size	_ZN12tensorrt_llm7kernels32fusedQKNormRopeKernelNTokenHeadsIN3c104HalfES3_Li64ELb0ELi4EEEvPviiifPKvS6_S6_PKlii, .Lfunc_end37-_ZN12tensorrt_llm7kernels32fusedQKNormRopeKernelNTokenHeadsIN3c104HalfES3_Li64ELb0ELi4EEEvPviiifPKvS6_S6_PKlii
                                        ; -- End function
	.section	.AMDGPU.csdata,"",@progbits
; Kernel info:
; codeLenInByte = 1912
; NumSgprs: 23
; NumVgprs: 26
; ScratchSize: 0
; MemoryBound: 0
; FloatMode: 240
; IeeeMode: 1
; LDSByteSize: 0 bytes/workgroup (compile time only)
; SGPRBlocks: 2
; VGPRBlocks: 3
; NumSGPRsForWavesPerEU: 23
; NumVGPRsForWavesPerEU: 26
; Occupancy: 16
; WaveLimiterHint : 0
; COMPUTE_PGM_RSRC2:SCRATCH_EN: 0
; COMPUTE_PGM_RSRC2:USER_SGPR: 15
; COMPUTE_PGM_RSRC2:TRAP_HANDLER: 0
; COMPUTE_PGM_RSRC2:TGID_X_EN: 1
; COMPUTE_PGM_RSRC2:TGID_Y_EN: 0
; COMPUTE_PGM_RSRC2:TGID_Z_EN: 0
; COMPUTE_PGM_RSRC2:TIDIG_COMP_CNT: 0
	.section	.text._ZN12tensorrt_llm7kernels32fusedQKNormRopeKernelNTokenHeadsIN3c104HalfES3_Li128ELb1ELi4EEEvPviiifPKvS6_S6_PKlii,"axG",@progbits,_ZN12tensorrt_llm7kernels32fusedQKNormRopeKernelNTokenHeadsIN3c104HalfES3_Li128ELb1ELi4EEEvPviiifPKvS6_S6_PKlii,comdat
	.protected	_ZN12tensorrt_llm7kernels32fusedQKNormRopeKernelNTokenHeadsIN3c104HalfES3_Li128ELb1ELi4EEEvPviiifPKvS6_S6_PKlii ; -- Begin function _ZN12tensorrt_llm7kernels32fusedQKNormRopeKernelNTokenHeadsIN3c104HalfES3_Li128ELb1ELi4EEEvPviiifPKvS6_S6_PKlii
	.globl	_ZN12tensorrt_llm7kernels32fusedQKNormRopeKernelNTokenHeadsIN3c104HalfES3_Li128ELb1ELi4EEEvPviiifPKvS6_S6_PKlii
	.p2align	8
	.type	_ZN12tensorrt_llm7kernels32fusedQKNormRopeKernelNTokenHeadsIN3c104HalfES3_Li128ELb1ELi4EEEvPviiifPKvS6_S6_PKlii,@function
_ZN12tensorrt_llm7kernels32fusedQKNormRopeKernelNTokenHeadsIN3c104HalfES3_Li128ELb1ELi4EEEvPviiifPKvS6_S6_PKlii: ; @_ZN12tensorrt_llm7kernels32fusedQKNormRopeKernelNTokenHeadsIN3c104HalfES3_Li128ELb1ELi4EEEvPviiifPKvS6_S6_PKlii
; %bb.0:
	s_clause 0x1
	s_load_b128 s[16:19], s[0:1], 0x8
	s_load_b64 s[2:3], s[0:1], 0x38
	v_lshrrev_b32_e32 v2, 5, v0
	s_waitcnt lgkmcnt(0)
	s_add_i32 s4, s17, s16
	s_delay_alu instid0(SALU_CYCLE_1) | instskip(NEXT) | instid1(SALU_CYCLE_1)
	s_add_i32 s5, s4, 3
	s_ashr_i32 s6, s5, 31
	s_delay_alu instid0(SALU_CYCLE_1) | instskip(NEXT) | instid1(SALU_CYCLE_1)
	s_lshr_b32 s6, s6, 30
	s_add_i32 s5, s5, s6
	s_delay_alu instid0(SALU_CYCLE_1) | instskip(SKIP_2) | instid1(SALU_CYCLE_1)
	s_ashr_i32 s14, s5, 2
	s_load_b32 s5, s[0:1], 0x4c
	s_abs_i32 s6, s14
	v_cvt_f32_u32_e32 v1, s6
	s_sub_i32 s7, 0, s6
	s_delay_alu instid0(VALU_DEP_1) | instskip(SKIP_4) | instid1(SALU_CYCLE_1)
	v_rcp_iflag_f32_e32 v1, v1
	s_waitcnt_depctr 0xfff
	v_mul_f32_e32 v1, 0x4f7ffffe, v1
	s_waitcnt lgkmcnt(0)
	s_bfe_u32 s5, s5, 0xb0005
	v_mad_u64_u32 v[3:4], null, s15, s5, v[2:3]
	s_delay_alu instid0(VALU_DEP_2) | instskip(NEXT) | instid1(VALU_DEP_1)
	v_cvt_u32_f32_e32 v1, v1
	v_mul_lo_u32 v5, s7, v1
	s_delay_alu instid0(VALU_DEP_1) | instskip(NEXT) | instid1(VALU_DEP_4)
	v_mul_hi_u32 v4, v1, v5
	v_sub_nc_u32_e32 v5, 0, v3
	s_delay_alu instid0(VALU_DEP_1) | instskip(NEXT) | instid1(VALU_DEP_3)
	v_max_i32_e32 v5, v3, v5
	v_add_nc_u32_e32 v1, v1, v4
	s_delay_alu instid0(VALU_DEP_1) | instskip(NEXT) | instid1(VALU_DEP_1)
	v_mul_hi_u32 v1, v5, v1
	v_mul_lo_u32 v4, v1, s6
	s_delay_alu instid0(VALU_DEP_1) | instskip(SKIP_1) | instid1(VALU_DEP_2)
	v_sub_nc_u32_e32 v4, v5, v4
	v_add_nc_u32_e32 v5, 1, v1
	v_subrev_nc_u32_e32 v6, s6, v4
	v_cmp_le_u32_e32 vcc_lo, s6, v4
	s_delay_alu instid0(VALU_DEP_2) | instskip(SKIP_1) | instid1(VALU_DEP_2)
	v_dual_cndmask_b32 v4, v4, v6 :: v_dual_cndmask_b32 v1, v1, v5
	v_xor_b32_e32 v5, s14, v3
	v_cmp_le_u32_e32 vcc_lo, s6, v4
	s_delay_alu instid0(VALU_DEP_3) | instskip(NEXT) | instid1(VALU_DEP_3)
	v_add_nc_u32_e32 v6, 1, v1
	v_ashrrev_i32_e32 v5, 31, v5
	s_delay_alu instid0(VALU_DEP_2) | instskip(NEXT) | instid1(VALU_DEP_1)
	v_cndmask_b32_e32 v1, v1, v6, vcc_lo
	v_xor_b32_e32 v1, v1, v5
	s_delay_alu instid0(VALU_DEP_1) | instskip(NEXT) | instid1(VALU_DEP_1)
	v_sub_nc_u32_e32 v1, v1, v5
	v_cmp_gt_i32_e32 vcc_lo, s2, v1
	s_and_saveexec_b32 s2, vcc_lo
	s_cbranch_execz .LBB38_12
; %bb.1:
	v_mul_lo_u32 v4, v1, s14
	s_load_b64 s[12:13], s[0:1], 0x0
	v_and_b32_e32 v8, 31, v0
	v_lshlrev_b32_e32 v10, 10, v2
	v_lshlrev_b32_e32 v0, 9, v3
	s_lshl_b32 s20, s3, 1
	s_delay_alu instid0(VALU_DEP_3) | instskip(SKIP_2) | instid1(VALU_DEP_1)
	v_lshlrev_b32_e32 v9, 3, v8
	v_sub_nc_u32_e32 v4, v3, v4
	s_mul_i32 s15, s20, s5
	v_lshlrev_b32_e32 v6, 2, v4
	s_delay_alu instid0(VALU_DEP_1) | instskip(SKIP_1) | instid1(VALU_DEP_2)
	v_add_nc_u32_e32 v4, 4, v6
	v_sub_nc_u32_e32 v5, s4, v6
	v_cmp_lt_i32_e32 vcc_lo, s4, v4
	s_delay_alu instid0(VALU_DEP_2) | instskip(NEXT) | instid1(VALU_DEP_1)
	v_cndmask_b32_e32 v7, 4, v5, vcc_lo
	v_cmp_lt_i32_e32 vcc_lo, 0, v7
	s_and_saveexec_b32 s4, vcc_lo
	s_cbranch_execz .LBB38_4
; %bb.2:
	s_add_i32 s2, s18, s17
	s_lshl_b32 s5, s14, 2
	s_add_i32 s2, s2, s16
	s_mov_b32 s6, 0
	s_sub_i32 s2, s2, s5
	s_mov_b32 s5, 0
	v_mul_lo_u32 v3, s2, v1
	s_add_i32 s2, s15, 0
	s_delay_alu instid0(SALU_CYCLE_1) | instskip(NEXT) | instid1(VALU_DEP_2)
	v_add3_u32 v5, s2, v10, v9
	v_lshl_add_u32 v3, v3, 7, v0
	s_delay_alu instid0(VALU_DEP_1)
	v_lshl_or_b32 v3, v8, 2, v3
	.p2align	6
.LBB38_3:                               ; =>This Inner Loop Header: Depth=1
	s_delay_alu instid0(VALU_DEP_1) | instskip(SKIP_1) | instid1(VALU_DEP_1)
	v_ashrrev_i32_e32 v4, 31, v3
	s_add_i32 s6, s6, 1
	v_lshlrev_b64 v[11:12], 1, v[3:4]
	v_add_nc_u32_e32 v3, 0x80, v3
	s_waitcnt lgkmcnt(0)
	s_delay_alu instid0(VALU_DEP_2) | instskip(NEXT) | instid1(VALU_DEP_1)
	v_add_co_u32 v11, s2, s12, v11
	v_add_co_ci_u32_e64 v12, s2, s13, v12, s2
	v_cmp_ge_i32_e64 s2, s6, v7
	global_load_b64 v[11:12], v[11:12], off
	s_or_b32 s5, s2, s5
	s_waitcnt vmcnt(0)
	ds_store_b64 v5, v[11:12]
	v_add_nc_u32_e32 v5, 0x100, v5
	s_and_not1_b32 exec_lo, exec_lo, s5
	s_cbranch_execnz .LBB38_3
.LBB38_4:
	s_or_b32 exec_lo, exec_lo, s4
	s_load_b256 s[4:11], s[0:1], 0x18
	v_mul_lo_u32 v2, v2, s3
	s_add_i32 s0, s20, 15
	s_mov_b32 s20, exec_lo
	s_ashr_i32 s1, s0, 31
	s_delay_alu instid0(SALU_CYCLE_1) | instskip(NEXT) | instid1(SALU_CYCLE_1)
	s_lshr_b32 s1, s1, 28
	s_add_i32 s0, s0, s1
	s_delay_alu instid0(VALU_DEP_1) | instskip(SKIP_1) | instid1(SALU_CYCLE_1)
	v_lshlrev_b32_e32 v11, 1, v2
	s_ashr_i32 s2, s0, 4
	v_cmpx_gt_i32_e64 s2, v8
	s_cbranch_execz .LBB38_7
; %bb.5:
	v_ashrrev_i32_e32 v2, 31, v1
	s_delay_alu instid0(VALU_DEP_1) | instskip(SKIP_1) | instid1(VALU_DEP_1)
	v_lshlrev_b64 v[2:3], 3, v[1:2]
	s_waitcnt lgkmcnt(0)
	v_add_co_u32 v2, s0, s10, v2
	s_delay_alu instid0(VALU_DEP_1)
	v_add_co_ci_u32_e64 v3, s0, s11, v3, s0
	s_ashr_i32 s0, s3, 31
	global_load_b64 v[2:3], v[2:3], off
	s_waitcnt vmcnt(0)
	v_mul_lo_u32 v5, v3, s3
	v_mul_lo_u32 v12, v2, s0
	v_mad_u64_u32 v[3:4], null, v2, s3, 0
	s_delay_alu instid0(VALU_DEP_1) | instskip(SKIP_1) | instid1(VALU_DEP_2)
	v_add3_u32 v4, v4, v12, v5
	v_mov_b32_e32 v5, v8
	v_lshlrev_b64 v[2:3], 1, v[3:4]
	v_lshlrev_b32_e32 v4, 4, v8
	s_delay_alu instid0(VALU_DEP_1) | instskip(NEXT) | instid1(VALU_DEP_1)
	v_add_co_u32 v2, s0, v2, v4
	v_add_co_ci_u32_e64 v3, s0, 0, v3, s0
	v_add3_u32 v4, v11, v4, 0
	s_delay_alu instid0(VALU_DEP_3) | instskip(NEXT) | instid1(VALU_DEP_1)
	v_add_co_u32 v2, s0, s8, v2
	v_add_co_ci_u32_e64 v3, s0, s9, v3, s0
	s_mov_b32 s8, 0
	.p2align	6
.LBB38_6:                               ; =>This Inner Loop Header: Depth=1
	global_load_b128 v[12:15], v[2:3], off
	v_add_nc_u32_e32 v5, 32, v5
	v_add_co_u32 v2, s0, 0x200, v2
	s_delay_alu instid0(VALU_DEP_1) | instskip(NEXT) | instid1(VALU_DEP_3)
	v_add_co_ci_u32_e64 v3, s0, 0, v3, s0
	v_cmp_le_i32_e64 s1, s2, v5
	s_delay_alu instid0(VALU_DEP_1)
	s_or_b32 s8, s1, s8
	s_waitcnt vmcnt(0)
	ds_store_b128 v4, v[12:15]
	v_add_nc_u32_e32 v4, 0x200, v4
	s_and_not1_b32 exec_lo, exec_lo, s8
	s_cbranch_execnz .LBB38_6
.LBB38_7:
	s_or_b32 exec_lo, exec_lo, s20
	s_delay_alu instid0(SALU_CYCLE_1)
	s_and_b32 exec_lo, exec_lo, vcc_lo
	s_cbranch_execz .LBB38_12
; %bb.8:
	s_waitcnt lgkmcnt(0)
	s_clause 0x1
	global_load_b64 v[2:3], v9, s[4:5]
	global_load_b64 v[4:5], v9, s[6:7]
	v_mbcnt_lo_u32_b32 v12, -1, 0
	s_lshr_b32 s0, s3, 31
	s_ashr_i32 s1, s3, 31
	s_add_i32 s0, s3, s0
	s_lshr_b32 s1, s1, 30
	v_xor_b32_e32 v14, 16, v12
	s_and_b32 s5, s0, -2
	s_add_i32 s0, s3, s1
	v_lshlrev_b32_e32 v16, 2, v8
	s_ashr_i32 s0, s0, 2
	v_xor_b32_e32 v15, 8, v12
	v_cmp_gt_i32_e32 vcc_lo, s0, v8
	v_cmp_gt_i32_e64 s0, 32, v14
	v_add_nc_u32_e32 v13, s15, v10
	v_xor_b32_e32 v17, 4, v12
	v_add3_u32 v10, 0, v11, v16
	v_xor_b32_e32 v18, 2, v12
	v_cndmask_b32_e64 v11, v12, v14, s0
	v_cmp_gt_i32_e64 s0, 32, v15
	v_add3_u32 v9, v13, v9, 0
	s_add_i32 s2, s18, s17
	s_lshl_b32 s4, s14, 2
	s_add_i32 s2, s2, s16
	v_cndmask_b32_e64 v13, v12, v15, s0
	v_cmp_gt_i32_e64 s0, 32, v17
	s_sub_i32 s1, s2, s4
	v_xor_b32_e32 v19, 1, v12
	v_mul_lo_u32 v1, s1, v1
	v_add_nc_u32_e32 v8, s5, v10
	v_cndmask_b32_e64 v14, v12, v17, s0
	v_cmp_gt_i32_e64 s0, 32, v18
	v_lshlrev_b32_e32 v11, 2, v11
	s_mov_b32 s2, 0
	s_mov_b32 s3, 0
	s_delay_alu instid0(VALU_DEP_2) | instskip(SKIP_2) | instid1(VALU_DEP_2)
	v_cndmask_b32_e64 v15, v12, v18, s0
	v_cmp_gt_i32_e64 s0, 32, v19
	v_lshl_add_u32 v0, v1, 7, v0
	v_cndmask_b32_e64 v17, v12, v19, s0
	v_lshlrev_b32_e32 v12, 2, v13
	v_lshlrev_b32_e32 v13, 2, v14
	;; [unrolled: 1-line block ×3, first 2 shown]
	v_or_b32_e32 v0, v0, v16
	v_lshlrev_b32_e32 v15, 2, v17
	s_waitcnt vmcnt(1)
	v_lshrrev_b32_e32 v16, 16, v2
	s_waitcnt vmcnt(0)
	v_lshrrev_b32_e32 v17, 16, v4
	v_lshrrev_b32_e32 v18, 16, v3
	;; [unrolled: 1-line block ×3, first 2 shown]
	s_branch .LBB38_10
.LBB38_9:                               ;   in Loop: Header=BB38_10 Depth=1
	s_or_b32 exec_lo, exec_lo, s0
	v_ashrrev_i32_e32 v1, 31, v0
	s_delay_alu instid0(VALU_DEP_2)
	v_cvt_f16_f32_e32 v24, v23
	v_cvt_f16_f32_e32 v25, v22
	s_add_i32 s3, s3, 1
	v_add_nc_u32_e32 v9, 0x100, v9
	v_lshlrev_b64 v[22:23], 1, v[0:1]
	v_cvt_f16_f32_e32 v1, v20
	v_cvt_f16_f32_e32 v20, v21
	v_pack_b32_f16 v21, v24, v25
	v_add_nc_u32_e32 v0, 0x80, v0
	v_add_co_u32 v22, s0, s12, v22
	s_delay_alu instid0(VALU_DEP_1) | instskip(SKIP_2) | instid1(VALU_DEP_2)
	v_add_co_ci_u32_e64 v23, s0, s13, v23, s0
	v_cmp_ge_i32_e64 s0, s3, v7
	v_pack_b32_f16 v20, v1, v20
	s_or_b32 s2, s0, s2
	global_store_b64 v[22:23], v[20:21], off
	s_and_not1_b32 exec_lo, exec_lo, s2
	s_cbranch_execz .LBB38_12
.LBB38_10:                              ; =>This Inner Loop Header: Depth=1
	ds_load_b64 v[20:21], v9
	s_waitcnt lgkmcnt(0)
	v_lshrrev_b32_e32 v1, 16, v20
	v_lshrrev_b32_e32 v28, 16, v21
	s_delay_alu instid0(VALU_DEP_2) | instskip(NEXT) | instid1(VALU_DEP_2)
	v_cvt_f32_f16_e32 v1, v1
	v_cvt_f32_f16_e32 v28, v28
	s_delay_alu instid0(VALU_DEP_2) | instskip(NEXT) | instid1(VALU_DEP_1)
	v_mul_f32_e32 v22, v1, v1
	v_fma_mix_f32 v22, v20, v20, v22 op_sel_hi:[1,1,0]
	v_cvt_f32_f16_e32 v20, v20
	s_delay_alu instid0(VALU_DEP_2) | instskip(NEXT) | instid1(VALU_DEP_1)
	v_fma_mix_f32 v22, v21, v21, v22 op_sel_hi:[1,1,0]
	v_fma_mix_f32 v22, v21, v21, v22 op_sel:[1,1,0] op_sel_hi:[1,1,0]
	ds_bpermute_b32 v23, v11, v22
	s_waitcnt lgkmcnt(0)
	v_add_f32_e32 v22, v22, v23
	ds_bpermute_b32 v23, v12, v22
	s_waitcnt lgkmcnt(0)
	v_add_f32_e32 v22, v22, v23
	;; [unrolled: 3-line block ×5, first 2 shown]
	s_delay_alu instid0(VALU_DEP_1) | instskip(NEXT) | instid1(VALU_DEP_1)
	v_fma_f32 v22, 0x3c000000, v22, s19
	v_mul_f32_e32 v23, 0x4b800000, v22
	v_cmp_gt_f32_e64 s0, 0x800000, v22
	s_delay_alu instid0(VALU_DEP_1) | instskip(SKIP_1) | instid1(VALU_DEP_2)
	v_cndmask_b32_e64 v22, v22, v23, s0
	v_add_nc_u32_e32 v23, s3, v6
	v_rsq_f32_e32 v22, v22
	s_delay_alu instid0(VALU_DEP_1) | instskip(NEXT) | instid1(VALU_DEP_1)
	v_cmp_gt_i32_e64 s1, s16, v23
	v_cndmask_b32_e64 v23, v17, v16, s1
	v_cndmask_b32_e64 v24, v4, v2, s1
	v_cndmask_b32_e64 v25, v19, v18, s1
	v_cndmask_b32_e64 v27, v5, v3, s1
	s_delay_alu instid0(VALU_DEP_4) | instskip(NEXT) | instid1(TRANS32_DEP_1)
	v_cvt_f32_f16_e32 v23, v23
	v_mul_f32_e32 v26, 0x45800000, v22
	v_cvt_f32_f16_e32 v24, v24
	v_cvt_f32_f16_e32 v25, v25
	s_delay_alu instid0(VALU_DEP_3) | instskip(SKIP_2) | instid1(VALU_DEP_3)
	v_cndmask_b32_e64 v22, v22, v26, s0
	v_cvt_f32_f16_e32 v26, v27
	v_cvt_f32_f16_e32 v27, v21
	v_mul_f32_e32 v21, v22, v23
	v_mul_f32_e32 v23, v22, v24
	;; [unrolled: 1-line block ×4, first 2 shown]
	s_delay_alu instid0(VALU_DEP_3) | instskip(NEXT) | instid1(VALU_DEP_2)
	v_dual_mul_f32 v21, v21, v1 :: v_dual_mul_f32 v20, v23, v20
	v_dual_mul_f32 v22, v24, v28 :: v_dual_mul_f32 v23, v25, v27
	s_and_saveexec_b32 s0, vcc_lo
	s_cbranch_execz .LBB38_9
; %bb.11:                               ;   in Loop: Header=BB38_10 Depth=1
	ds_load_u16 v1, v8
	ds_load_u16 v24, v8 offset:2
	ds_load_u16 v25, v10
	ds_load_u16 v26, v10 offset:2
	s_waitcnt lgkmcnt(3)
	v_cvt_f32_f16_e32 v27, v1
	s_waitcnt lgkmcnt(2)
	v_cvt_f32_f16_e32 v28, v24
	;; [unrolled: 2-line block ×4, first 2 shown]
	v_dual_mul_f32 v27, v21, v27 :: v_dual_mul_f32 v28, v22, v28
	s_delay_alu instid0(VALU_DEP_2) | instskip(NEXT) | instid1(VALU_DEP_2)
	v_dual_mul_f32 v21, v21, v29 :: v_dual_mul_f32 v22, v22, v30
	v_fma_mix_f32 v25, v20, v25, -v27 op_sel_hi:[0,1,0]
	s_delay_alu instid0(VALU_DEP_3) | instskip(NEXT) | instid1(VALU_DEP_3)
	v_fma_mix_f32 v26, v23, v26, -v28 op_sel_hi:[0,1,0]
	v_fma_mix_f32 v21, v20, v1, v21 op_sel_hi:[0,1,0]
	s_delay_alu instid0(VALU_DEP_4) | instskip(NEXT) | instid1(VALU_DEP_3)
	v_fma_mix_f32 v22, v23, v24, v22 op_sel_hi:[0,1,0]
	v_dual_mov_b32 v20, v25 :: v_dual_mov_b32 v23, v26
	s_branch .LBB38_9
.LBB38_12:
	s_nop 0
	s_sendmsg sendmsg(MSG_DEALLOC_VGPRS)
	s_endpgm
	.section	.rodata,"a",@progbits
	.p2align	6, 0x0
	.amdhsa_kernel _ZN12tensorrt_llm7kernels32fusedQKNormRopeKernelNTokenHeadsIN3c104HalfES3_Li128ELb1ELi4EEEvPviiifPKvS6_S6_PKlii
		.amdhsa_group_segment_fixed_size 0
		.amdhsa_private_segment_fixed_size 0
		.amdhsa_kernarg_size 320
		.amdhsa_user_sgpr_count 15
		.amdhsa_user_sgpr_dispatch_ptr 0
		.amdhsa_user_sgpr_queue_ptr 0
		.amdhsa_user_sgpr_kernarg_segment_ptr 1
		.amdhsa_user_sgpr_dispatch_id 0
		.amdhsa_user_sgpr_private_segment_size 0
		.amdhsa_wavefront_size32 1
		.amdhsa_uses_dynamic_stack 0
		.amdhsa_enable_private_segment 0
		.amdhsa_system_sgpr_workgroup_id_x 1
		.amdhsa_system_sgpr_workgroup_id_y 0
		.amdhsa_system_sgpr_workgroup_id_z 0
		.amdhsa_system_sgpr_workgroup_info 0
		.amdhsa_system_vgpr_workitem_id 0
		.amdhsa_next_free_vgpr 31
		.amdhsa_next_free_sgpr 21
		.amdhsa_reserve_vcc 1
		.amdhsa_float_round_mode_32 0
		.amdhsa_float_round_mode_16_64 0
		.amdhsa_float_denorm_mode_32 3
		.amdhsa_float_denorm_mode_16_64 3
		.amdhsa_dx10_clamp 1
		.amdhsa_ieee_mode 1
		.amdhsa_fp16_overflow 0
		.amdhsa_workgroup_processor_mode 1
		.amdhsa_memory_ordered 1
		.amdhsa_forward_progress 0
		.amdhsa_shared_vgpr_count 0
		.amdhsa_exception_fp_ieee_invalid_op 0
		.amdhsa_exception_fp_denorm_src 0
		.amdhsa_exception_fp_ieee_div_zero 0
		.amdhsa_exception_fp_ieee_overflow 0
		.amdhsa_exception_fp_ieee_underflow 0
		.amdhsa_exception_fp_ieee_inexact 0
		.amdhsa_exception_int_div_zero 0
	.end_amdhsa_kernel
	.section	.text._ZN12tensorrt_llm7kernels32fusedQKNormRopeKernelNTokenHeadsIN3c104HalfES3_Li128ELb1ELi4EEEvPviiifPKvS6_S6_PKlii,"axG",@progbits,_ZN12tensorrt_llm7kernels32fusedQKNormRopeKernelNTokenHeadsIN3c104HalfES3_Li128ELb1ELi4EEEvPviiifPKvS6_S6_PKlii,comdat
.Lfunc_end38:
	.size	_ZN12tensorrt_llm7kernels32fusedQKNormRopeKernelNTokenHeadsIN3c104HalfES3_Li128ELb1ELi4EEEvPviiifPKvS6_S6_PKlii, .Lfunc_end38-_ZN12tensorrt_llm7kernels32fusedQKNormRopeKernelNTokenHeadsIN3c104HalfES3_Li128ELb1ELi4EEEvPviiifPKvS6_S6_PKlii
                                        ; -- End function
	.section	.AMDGPU.csdata,"",@progbits
; Kernel info:
; codeLenInByte = 1748
; NumSgprs: 23
; NumVgprs: 31
; ScratchSize: 0
; MemoryBound: 0
; FloatMode: 240
; IeeeMode: 1
; LDSByteSize: 0 bytes/workgroup (compile time only)
; SGPRBlocks: 2
; VGPRBlocks: 3
; NumSGPRsForWavesPerEU: 23
; NumVGPRsForWavesPerEU: 31
; Occupancy: 16
; WaveLimiterHint : 0
; COMPUTE_PGM_RSRC2:SCRATCH_EN: 0
; COMPUTE_PGM_RSRC2:USER_SGPR: 15
; COMPUTE_PGM_RSRC2:TRAP_HANDLER: 0
; COMPUTE_PGM_RSRC2:TGID_X_EN: 1
; COMPUTE_PGM_RSRC2:TGID_Y_EN: 0
; COMPUTE_PGM_RSRC2:TGID_Z_EN: 0
; COMPUTE_PGM_RSRC2:TIDIG_COMP_CNT: 0
	.section	.text._ZN12tensorrt_llm7kernels32fusedQKNormRopeKernelNTokenHeadsIN3c104HalfES3_Li128ELb0ELi4EEEvPviiifPKvS6_S6_PKlii,"axG",@progbits,_ZN12tensorrt_llm7kernels32fusedQKNormRopeKernelNTokenHeadsIN3c104HalfES3_Li128ELb0ELi4EEEvPviiifPKvS6_S6_PKlii,comdat
	.protected	_ZN12tensorrt_llm7kernels32fusedQKNormRopeKernelNTokenHeadsIN3c104HalfES3_Li128ELb0ELi4EEEvPviiifPKvS6_S6_PKlii ; -- Begin function _ZN12tensorrt_llm7kernels32fusedQKNormRopeKernelNTokenHeadsIN3c104HalfES3_Li128ELb0ELi4EEEvPviiifPKvS6_S6_PKlii
	.globl	_ZN12tensorrt_llm7kernels32fusedQKNormRopeKernelNTokenHeadsIN3c104HalfES3_Li128ELb0ELi4EEEvPviiifPKvS6_S6_PKlii
	.p2align	8
	.type	_ZN12tensorrt_llm7kernels32fusedQKNormRopeKernelNTokenHeadsIN3c104HalfES3_Li128ELb0ELi4EEEvPviiifPKvS6_S6_PKlii,@function
_ZN12tensorrt_llm7kernels32fusedQKNormRopeKernelNTokenHeadsIN3c104HalfES3_Li128ELb0ELi4EEEvPviiifPKvS6_S6_PKlii: ; @_ZN12tensorrt_llm7kernels32fusedQKNormRopeKernelNTokenHeadsIN3c104HalfES3_Li128ELb0ELi4EEEvPviiifPKvS6_S6_PKlii
; %bb.0:
	s_clause 0x1
	s_load_b128 s[16:19], s[0:1], 0x8
	s_load_b64 s[2:3], s[0:1], 0x38
	s_waitcnt lgkmcnt(0)
	s_add_i32 s4, s17, s16
	s_delay_alu instid0(SALU_CYCLE_1) | instskip(NEXT) | instid1(SALU_CYCLE_1)
	s_add_i32 s5, s4, 3
	s_ashr_i32 s6, s5, 31
	s_delay_alu instid0(SALU_CYCLE_1) | instskip(NEXT) | instid1(SALU_CYCLE_1)
	s_lshr_b32 s6, s6, 30
	s_add_i32 s5, s5, s6
	s_delay_alu instid0(SALU_CYCLE_1) | instskip(SKIP_2) | instid1(SALU_CYCLE_1)
	s_ashr_i32 s14, s5, 2
	s_load_b32 s5, s[0:1], 0x4c
	s_abs_i32 s6, s14
	v_cvt_f32_u32_e32 v1, s6
	s_sub_i32 s7, 0, s6
	s_delay_alu instid0(VALU_DEP_1) | instskip(SKIP_4) | instid1(VALU_DEP_1)
	v_rcp_iflag_f32_e32 v1, v1
	s_waitcnt_depctr 0xfff
	v_mul_f32_e32 v1, 0x4f7ffffe, v1
	s_waitcnt lgkmcnt(0)
	s_bfe_u32 s5, s5, 0xb0005
	v_cvt_u32_f32_e32 v4, v1
	v_lshrrev_b32_e32 v1, 5, v0
	s_delay_alu instid0(VALU_DEP_2) | instskip(NEXT) | instid1(VALU_DEP_2)
	v_mul_lo_u32 v5, s7, v4
	v_mad_u64_u32 v[2:3], null, s15, s5, v[1:2]
	s_delay_alu instid0(VALU_DEP_2) | instskip(NEXT) | instid1(VALU_DEP_2)
	v_mul_hi_u32 v3, v4, v5
	v_sub_nc_u32_e32 v5, 0, v2
	s_delay_alu instid0(VALU_DEP_1) | instskip(NEXT) | instid1(VALU_DEP_3)
	v_max_i32_e32 v5, v2, v5
	v_add_nc_u32_e32 v3, v4, v3
	s_delay_alu instid0(VALU_DEP_1) | instskip(NEXT) | instid1(VALU_DEP_1)
	v_mul_hi_u32 v3, v5, v3
	v_mul_lo_u32 v4, v3, s6
	s_delay_alu instid0(VALU_DEP_1) | instskip(SKIP_1) | instid1(VALU_DEP_2)
	v_sub_nc_u32_e32 v4, v5, v4
	v_add_nc_u32_e32 v5, 1, v3
	v_subrev_nc_u32_e32 v6, s6, v4
	v_cmp_le_u32_e32 vcc_lo, s6, v4
	s_delay_alu instid0(VALU_DEP_2) | instskip(SKIP_1) | instid1(VALU_DEP_2)
	v_dual_cndmask_b32 v4, v4, v6 :: v_dual_cndmask_b32 v3, v3, v5
	v_xor_b32_e32 v5, s14, v2
	v_cmp_le_u32_e32 vcc_lo, s6, v4
	s_delay_alu instid0(VALU_DEP_3) | instskip(NEXT) | instid1(VALU_DEP_3)
	v_add_nc_u32_e32 v6, 1, v3
	v_ashrrev_i32_e32 v5, 31, v5
	s_delay_alu instid0(VALU_DEP_2) | instskip(NEXT) | instid1(VALU_DEP_1)
	v_cndmask_b32_e32 v3, v3, v6, vcc_lo
	v_xor_b32_e32 v3, v3, v5
	s_delay_alu instid0(VALU_DEP_1) | instskip(NEXT) | instid1(VALU_DEP_1)
	v_sub_nc_u32_e32 v4, v3, v5
	v_cmp_gt_i32_e32 vcc_lo, s2, v4
	s_and_saveexec_b32 s2, vcc_lo
	s_cbranch_execz .LBB39_12
; %bb.1:
	v_mul_lo_u32 v3, v4, s14
	s_load_b64 s[12:13], s[0:1], 0x0
	v_and_b32_e32 v9, 31, v0
	v_lshlrev_b32_e32 v11, 10, v1
	v_lshlrev_b32_e32 v10, 9, v2
	s_lshl_b32 s20, s3, 1
	s_delay_alu instid0(VALU_DEP_3) | instskip(SKIP_2) | instid1(VALU_DEP_1)
	v_lshlrev_b32_e32 v8, 3, v9
	v_sub_nc_u32_e32 v3, v2, v3
	s_mul_i32 s15, s20, s5
	v_lshlrev_b32_e32 v6, 2, v3
	s_delay_alu instid0(VALU_DEP_1) | instskip(SKIP_1) | instid1(VALU_DEP_2)
	v_add_nc_u32_e32 v3, 4, v6
	v_sub_nc_u32_e32 v5, s4, v6
	v_cmp_lt_i32_e32 vcc_lo, s4, v3
	s_delay_alu instid0(VALU_DEP_2) | instskip(NEXT) | instid1(VALU_DEP_1)
	v_cndmask_b32_e32 v7, 4, v5, vcc_lo
	v_cmp_lt_i32_e32 vcc_lo, 0, v7
	s_and_saveexec_b32 s4, vcc_lo
	s_cbranch_execz .LBB39_4
; %bb.2:
	s_add_i32 s2, s18, s17
	s_lshl_b32 s5, s14, 2
	s_add_i32 s2, s2, s16
	s_mov_b32 s6, 0
	s_sub_i32 s2, s2, s5
	s_mov_b32 s5, 0
	v_mul_lo_u32 v0, s2, v4
	s_add_i32 s2, s15, 0
	s_delay_alu instid0(VALU_DEP_1) | instskip(SKIP_1) | instid1(VALU_DEP_2)
	v_lshl_add_u32 v2, v0, 7, v10
	v_add3_u32 v0, s2, v11, v8
	v_lshl_or_b32 v2, v9, 2, v2
	.p2align	6
.LBB39_3:                               ; =>This Inner Loop Header: Depth=1
	s_delay_alu instid0(VALU_DEP_1) | instskip(SKIP_1) | instid1(VALU_DEP_1)
	v_ashrrev_i32_e32 v3, 31, v2
	s_add_i32 s6, s6, 1
	v_lshlrev_b64 v[12:13], 1, v[2:3]
	v_add_nc_u32_e32 v2, 0x80, v2
	s_waitcnt lgkmcnt(0)
	s_delay_alu instid0(VALU_DEP_2) | instskip(NEXT) | instid1(VALU_DEP_1)
	v_add_co_u32 v12, s2, s12, v12
	v_add_co_ci_u32_e64 v13, s2, s13, v13, s2
	v_cmp_ge_i32_e64 s2, s6, v7
	global_load_b64 v[12:13], v[12:13], off
	s_or_b32 s5, s2, s5
	s_waitcnt vmcnt(0)
	ds_store_b64 v0, v[12:13]
	v_add_nc_u32_e32 v0, 0x100, v0
	s_and_not1_b32 exec_lo, exec_lo, s5
	s_cbranch_execnz .LBB39_3
.LBB39_4:
	s_or_b32 exec_lo, exec_lo, s4
	s_load_b256 s[4:11], s[0:1], 0x18
	s_add_i32 s0, s20, 15
	v_mul_lo_u32 v12, v1, s3
	s_ashr_i32 s1, s0, 31
	s_mov_b32 s20, exec_lo
	s_lshr_b32 s1, s1, 28
	s_delay_alu instid0(SALU_CYCLE_1) | instskip(NEXT) | instid1(SALU_CYCLE_1)
	s_add_i32 s0, s0, s1
	s_ashr_i32 s2, s0, 4
	s_delay_alu instid0(SALU_CYCLE_1)
	v_cmpx_gt_i32_e64 s2, v9
	s_cbranch_execz .LBB39_7
; %bb.5:
	v_ashrrev_i32_e32 v5, 31, v4
	s_delay_alu instid0(VALU_DEP_1) | instskip(SKIP_1) | instid1(VALU_DEP_1)
	v_lshlrev_b64 v[0:1], 3, v[4:5]
	s_waitcnt lgkmcnt(0)
	v_add_co_u32 v0, s0, s10, v0
	s_delay_alu instid0(VALU_DEP_1)
	v_add_co_ci_u32_e64 v1, s0, s11, v1, s0
	s_ashr_i32 s0, s3, 31
	global_load_b64 v[0:1], v[0:1], off
	s_waitcnt vmcnt(0)
	v_mul_lo_u32 v3, v1, s3
	v_mul_lo_u32 v5, v0, s0
	v_mad_u64_u32 v[1:2], null, v0, s3, 0
	s_delay_alu instid0(VALU_DEP_1) | instskip(SKIP_1) | instid1(VALU_DEP_2)
	v_add3_u32 v2, v2, v5, v3
	v_lshlrev_b32_e32 v3, 1, v12
	v_lshlrev_b64 v[0:1], 1, v[1:2]
	v_lshlrev_b32_e32 v2, 4, v9
	s_delay_alu instid0(VALU_DEP_1) | instskip(NEXT) | instid1(VALU_DEP_1)
	v_add_co_u32 v0, s0, v0, v2
	v_add_co_ci_u32_e64 v1, s0, 0, v1, s0
	v_add3_u32 v2, v3, v2, 0
	v_mov_b32_e32 v3, v9
	s_delay_alu instid0(VALU_DEP_4) | instskip(NEXT) | instid1(VALU_DEP_1)
	v_add_co_u32 v0, s0, s8, v0
	v_add_co_ci_u32_e64 v1, s0, s9, v1, s0
	s_mov_b32 s8, 0
	.p2align	6
.LBB39_6:                               ; =>This Inner Loop Header: Depth=1
	global_load_b128 v[13:16], v[0:1], off
	v_add_nc_u32_e32 v3, 32, v3
	v_add_co_u32 v0, s0, 0x200, v0
	s_delay_alu instid0(VALU_DEP_1) | instskip(NEXT) | instid1(VALU_DEP_3)
	v_add_co_ci_u32_e64 v1, s0, 0, v1, s0
	v_cmp_le_i32_e64 s1, s2, v3
	s_delay_alu instid0(VALU_DEP_1)
	s_or_b32 s8, s1, s8
	s_waitcnt vmcnt(0)
	ds_store_b128 v2, v[13:16]
	v_add_nc_u32_e32 v2, 0x200, v2
	s_and_not1_b32 exec_lo, exec_lo, s8
	s_cbranch_execnz .LBB39_6
.LBB39_7:
	s_or_b32 exec_lo, exec_lo, s20
	s_delay_alu instid0(SALU_CYCLE_1)
	s_and_b32 exec_lo, exec_lo, vcc_lo
	s_cbranch_execz .LBB39_12
; %bb.8:
	s_waitcnt lgkmcnt(0)
	s_clause 0x1
	global_load_b64 v[0:1], v8, s[4:5]
	global_load_b64 v[2:3], v8, s[6:7]
	s_abs_i32 s2, s3
	v_lshl_add_u32 v21, v12, 1, 0
	v_cvt_f32_u32_e32 v5, s2
	v_mbcnt_lo_u32_b32 v12, -1, 0
	s_lshr_b32 s0, s3, 31
	s_ashr_i32 s1, s3, 31
	s_add_i32 s0, s3, s0
	s_lshr_b32 s6, s1, 30
	s_lshr_b32 s1, s1, 29
	v_rcp_iflag_f32_e32 v5, v5
	v_add_nc_u32_e32 v27, s15, v11
	v_xor_b32_e32 v11, 16, v12
	s_add_i32 s4, s18, s17
	s_and_b32 s0, s0, -2
	s_add_i32 s6, s3, s6
	s_add_i32 s1, s3, s1
	s_lshl_b32 s5, s14, 2
	s_add_i32 s4, s4, s16
	v_add_nc_u32_e32 v22, s0, v21
	s_ashr_i32 s0, s6, 2
	s_ashr_i32 s1, s1, 3
	s_sub_i32 s3, s4, s5
	v_cmp_gt_i32_e32 vcc_lo, s0, v9
	v_xor_b32_e32 v23, s1, v12
	v_cmp_gt_i32_e64 s0, s1, v9
	v_cmp_gt_i32_e64 s1, 32, v11
	v_mul_lo_u32 v4, s3, v4
	s_sub_i32 s7, 0, s2
	v_xor_b32_e32 v13, 8, v12
	v_xor_b32_e32 v18, 4, v12
	v_cndmask_b32_e64 v11, v12, v11, s1
	v_mul_f32_e32 v5, 0x4f7ffffe, v5
	v_xor_b32_e32 v19, 2, v12
	v_cmp_gt_i32_e64 s1, 32, v13
	v_lshl_add_u32 v4, v4, 7, v10
	v_lshlrev_b32_e32 v10, 2, v11
	v_cvt_u32_f32_e32 v5, v5
	v_or_b32_e32 v14, 2, v8
	v_cndmask_b32_e64 v13, v12, v13, s1
	v_cmp_gt_i32_e64 s1, 32, v18
	v_or_b32_e32 v15, 4, v8
	v_mul_lo_u32 v17, s7, v5
	v_or_b32_e32 v16, 6, v8
	v_xor_b32_e32 v20, 1, v12
	v_lshlrev_b32_e32 v11, 2, v13
	v_lshl_or_b32 v4, v9, 2, v4
	s_mov_b32 s3, 0
	s_mov_b32 s4, 0
	v_mul_hi_u32 v17, v5, v17
	s_delay_alu instid0(VALU_DEP_1) | instskip(SKIP_2) | instid1(VALU_DEP_3)
	v_add_nc_u32_e32 v5, v5, v17
	v_cndmask_b32_e64 v17, v12, v18, s1
	v_cmp_gt_i32_e64 s1, 32, v19
	v_mul_hi_u32 v24, v14, v5
	v_mul_hi_u32 v25, v15, v5
	s_delay_alu instid0(VALU_DEP_3) | instskip(SKIP_3) | instid1(VALU_DEP_4)
	v_cndmask_b32_e64 v18, v12, v19, s1
	v_mul_hi_u32 v19, v8, v5
	v_mul_hi_u32 v5, v16, v5
	v_cmp_gt_i32_e64 s1, 32, v20
	v_lshlrev_b32_e32 v13, 2, v18
	v_mul_lo_u32 v24, v24, s2
	v_mul_lo_u32 v25, v25, s2
	s_delay_alu instid0(VALU_DEP_4) | instskip(SKIP_4) | instid1(VALU_DEP_3)
	v_cndmask_b32_e64 v20, v12, v20, s1
	v_mul_lo_u32 v19, v19, s2
	v_cmp_gt_i32_e64 s1, 32, v23
	v_mul_lo_u32 v5, v5, s2
	v_sub_nc_u32_e32 v18, v14, v24
	v_cndmask_b32_e64 v23, v12, v23, s1
	v_lshlrev_b32_e32 v12, 2, v17
	v_sub_nc_u32_e32 v17, v8, v19
	v_sub_nc_u32_e32 v15, v15, v25
	;; [unrolled: 1-line block ×3, first 2 shown]
	v_subrev_nc_u32_e32 v19, s2, v18
	v_lshlrev_b32_e32 v14, 2, v20
	v_subrev_nc_u32_e32 v16, s2, v17
	v_cmp_le_u32_e64 s1, s2, v17
	v_subrev_nc_u32_e32 v20, s2, v15
	v_subrev_nc_u32_e32 v24, s2, v5
	v_add3_u32 v8, v27, v8, 0
	s_delay_alu instid0(VALU_DEP_4) | instskip(SKIP_1) | instid1(VALU_DEP_1)
	v_cndmask_b32_e64 v16, v17, v16, s1
	v_cmp_le_u32_e64 s1, s2, v18
	v_cndmask_b32_e64 v17, v18, v19, s1
	v_cmp_le_u32_e64 s1, s2, v15
	s_delay_alu instid0(VALU_DEP_4) | instskip(NEXT) | instid1(VALU_DEP_2)
	v_subrev_nc_u32_e32 v19, s2, v16
	v_cndmask_b32_e64 v18, v15, v20, s1
	v_cmp_le_u32_e64 s1, s2, v5
	v_subrev_nc_u32_e32 v20, s2, v17
	v_lshlrev_b32_e32 v15, 2, v23
	s_delay_alu instid0(VALU_DEP_4) | instskip(NEXT) | instid1(VALU_DEP_4)
	v_subrev_nc_u32_e32 v23, s2, v18
	v_cndmask_b32_e64 v5, v5, v24, s1
	v_cmp_le_u32_e64 s1, s2, v16
	s_delay_alu instid0(VALU_DEP_2) | instskip(NEXT) | instid1(VALU_DEP_2)
	v_subrev_nc_u32_e32 v24, s2, v5
	v_cndmask_b32_e64 v16, v16, v19, s1
	v_cmp_le_u32_e64 s1, s2, v17
	s_delay_alu instid0(VALU_DEP_2) | instskip(NEXT) | instid1(VALU_DEP_2)
	v_and_b32_e32 v16, -2, v16
	v_cndmask_b32_e64 v17, v17, v20, s1
	v_cmp_le_u32_e64 s1, s2, v18
	s_delay_alu instid0(VALU_DEP_3) | instskip(NEXT) | instid1(VALU_DEP_3)
	v_add_nc_u32_e32 v9, v21, v16
	v_and_b32_e32 v19, -2, v17
	s_delay_alu instid0(VALU_DEP_3) | instskip(SKIP_2) | instid1(VALU_DEP_4)
	v_cndmask_b32_e64 v18, v18, v23, s1
	v_cmp_le_u32_e64 s1, s2, v5
	v_add_nc_u32_e32 v16, v22, v16
	v_add_nc_u32_e32 v17, v21, v19
	s_delay_alu instid0(VALU_DEP_4) | instskip(NEXT) | instid1(VALU_DEP_4)
	v_and_b32_e32 v20, -2, v18
	v_cndmask_b32_e64 v5, v5, v24, s1
	v_add_nc_u32_e32 v18, v22, v19
	s_delay_alu instid0(VALU_DEP_3) | instskip(NEXT) | instid1(VALU_DEP_3)
	v_add_nc_u32_e32 v19, v21, v20
	v_and_b32_e32 v5, -2, v5
	v_add_nc_u32_e32 v20, v22, v20
	s_delay_alu instid0(VALU_DEP_2)
	v_add_nc_u32_e32 v21, v21, v5
	v_add_nc_u32_e32 v22, v22, v5
	s_waitcnt vmcnt(1)
	v_lshrrev_b32_e32 v23, 16, v0
	v_lshrrev_b32_e32 v24, 16, v1
	s_waitcnt vmcnt(0)
	v_lshrrev_b32_e32 v25, 16, v2
	v_lshrrev_b32_e32 v26, 16, v3
	s_branch .LBB39_10
.LBB39_9:                               ;   in Loop: Header=BB39_10 Depth=1
	s_or_b32 exec_lo, exec_lo, s1
	v_ashrrev_i32_e32 v5, 31, v4
	v_cvt_f16_f32_e32 v31, v29
	v_cvt_f16_f32_e32 v32, v30
	s_add_i32 s4, s4, 1
	v_add_nc_u32_e32 v8, 0x100, v8
	v_lshlrev_b64 v[29:30], 1, v[4:5]
	v_cvt_f16_f32_e32 v5, v27
	v_cvt_f16_f32_e32 v27, v28
	v_pack_b32_f16 v28, v31, v32
	v_add_nc_u32_e32 v4, 0x80, v4
	v_add_co_u32 v29, s1, s12, v29
	s_delay_alu instid0(VALU_DEP_1) | instskip(SKIP_2) | instid1(VALU_DEP_2)
	v_add_co_ci_u32_e64 v30, s1, s13, v30, s1
	v_cmp_ge_i32_e64 s1, s4, v7
	v_pack_b32_f16 v27, v5, v27
	s_or_b32 s3, s1, s3
	global_store_b64 v[29:30], v[27:28], off
	s_and_not1_b32 exec_lo, exec_lo, s3
	s_cbranch_execz .LBB39_12
.LBB39_10:                              ; =>This Inner Loop Header: Depth=1
	ds_load_b64 v[27:28], v8
	s_waitcnt lgkmcnt(0)
	v_lshrrev_b32_e32 v5, 16, v27
	v_lshrrev_b32_e32 v35, 16, v28
	s_delay_alu instid0(VALU_DEP_2) | instskip(NEXT) | instid1(VALU_DEP_2)
	v_cvt_f32_f16_e32 v5, v5
	v_cvt_f32_f16_e32 v35, v35
	s_delay_alu instid0(VALU_DEP_2) | instskip(NEXT) | instid1(VALU_DEP_1)
	v_mul_f32_e32 v29, v5, v5
	v_fma_mix_f32 v29, v27, v27, v29 op_sel_hi:[1,1,0]
	v_cvt_f32_f16_e32 v27, v27
	s_delay_alu instid0(VALU_DEP_2) | instskip(NEXT) | instid1(VALU_DEP_1)
	v_fma_mix_f32 v29, v28, v28, v29 op_sel_hi:[1,1,0]
	v_fma_mix_f32 v29, v28, v28, v29 op_sel:[1,1,0] op_sel_hi:[1,1,0]
	ds_bpermute_b32 v30, v10, v29
	s_waitcnt lgkmcnt(0)
	v_add_f32_e32 v29, v29, v30
	ds_bpermute_b32 v30, v11, v29
	s_waitcnt lgkmcnt(0)
	v_add_f32_e32 v29, v29, v30
	;; [unrolled: 3-line block ×5, first 2 shown]
	s_delay_alu instid0(VALU_DEP_1) | instskip(NEXT) | instid1(VALU_DEP_1)
	v_fma_f32 v29, 0x3c000000, v29, s19
	v_mul_f32_e32 v30, 0x4b800000, v29
	v_cmp_gt_f32_e64 s1, 0x800000, v29
	s_delay_alu instid0(VALU_DEP_1) | instskip(SKIP_1) | instid1(VALU_DEP_2)
	v_cndmask_b32_e64 v29, v29, v30, s1
	v_add_nc_u32_e32 v30, s4, v6
	v_rsq_f32_e32 v29, v29
	s_delay_alu instid0(VALU_DEP_1) | instskip(NEXT) | instid1(VALU_DEP_1)
	v_cmp_gt_i32_e64 s2, s16, v30
	v_cndmask_b32_e64 v30, v2, v0, s2
	v_cndmask_b32_e64 v31, v25, v23, s2
	;; [unrolled: 1-line block ×4, first 2 shown]
	s_delay_alu instid0(VALU_DEP_4) | instskip(NEXT) | instid1(TRANS32_DEP_1)
	v_cvt_f32_f16_e32 v30, v30
	v_mul_f32_e32 v33, 0x45800000, v29
	v_cvt_f32_f16_e32 v31, v31
	v_cvt_f32_f16_e32 v32, v32
	s_delay_alu instid0(VALU_DEP_3) | instskip(SKIP_2) | instid1(VALU_DEP_3)
	v_cndmask_b32_e64 v29, v29, v33, s1
	v_cvt_f32_f16_e32 v33, v34
	v_cvt_f32_f16_e32 v34, v28
	v_mul_f32_e32 v28, v29, v30
	v_mul_f32_e32 v30, v29, v31
	;; [unrolled: 1-line block ×3, first 2 shown]
	s_delay_alu instid0(VALU_DEP_3) | instskip(NEXT) | instid1(VALU_DEP_2)
	v_dual_mul_f32 v32, v29, v33 :: v_dual_mul_f32 v27, v28, v27
	v_dual_mul_f32 v29, v31, v34 :: v_dual_mul_f32 v28, v30, v5
	s_delay_alu instid0(VALU_DEP_2)
	v_mul_f32_e32 v30, v32, v35
	s_and_saveexec_b32 s1, vcc_lo
	s_cbranch_execz .LBB39_9
; %bb.11:                               ;   in Loop: Header=BB39_10 Depth=1
	; wave barrier
	ds_bpermute_b32 v5, v15, v27
	ds_load_u16 v31, v16
	ds_load_u16 v33, v18
	;; [unrolled: 1-line block ×3, first 2 shown]
	ds_bpermute_b32 v32, v15, v28
	ds_bpermute_b32 v34, v15, v29
	;; [unrolled: 1-line block ×3, first 2 shown]
	ds_load_u16 v37, v22
	ds_load_u16 v38, v9
	;; [unrolled: 1-line block ×5, first 2 shown]
	; wave barrier
	s_waitcnt lgkmcnt(11)
	v_cndmask_b32_e64 v5, v5, -v5, s0
	s_waitcnt lgkmcnt(10)
	v_cvt_f32_f16_e32 v31, v31
	s_waitcnt lgkmcnt(9)
	v_cvt_f32_f16_e32 v33, v33
	;; [unrolled: 2-line block ×3, first 2 shown]
	s_waitcnt lgkmcnt(7)
	v_cndmask_b32_e64 v32, v32, -v32, s0
	s_waitcnt lgkmcnt(6)
	v_cndmask_b32_e64 v34, v34, -v34, s0
	;; [unrolled: 2-line block ×3, first 2 shown]
	s_waitcnt lgkmcnt(4)
	v_cvt_f32_f16_e32 v37, v37
	v_mul_f32_e32 v5, v5, v31
	v_dual_mul_f32 v31, v32, v33 :: v_dual_mul_f32 v32, v34, v35
	s_delay_alu instid0(VALU_DEP_3) | instskip(SKIP_1) | instid1(VALU_DEP_3)
	v_mul_f32_e32 v33, v36, v37
	s_waitcnt lgkmcnt(3)
	v_fma_mix_f32 v27, v27, v38, v5 op_sel_hi:[0,1,0]
	s_waitcnt lgkmcnt(2)
	v_fma_mix_f32 v28, v28, v39, v31 op_sel_hi:[0,1,0]
	;; [unrolled: 2-line block ×4, first 2 shown]
	s_branch .LBB39_9
.LBB39_12:
	s_nop 0
	s_sendmsg sendmsg(MSG_DEALLOC_VGPRS)
	s_endpgm
	.section	.rodata,"a",@progbits
	.p2align	6, 0x0
	.amdhsa_kernel _ZN12tensorrt_llm7kernels32fusedQKNormRopeKernelNTokenHeadsIN3c104HalfES3_Li128ELb0ELi4EEEvPviiifPKvS6_S6_PKlii
		.amdhsa_group_segment_fixed_size 0
		.amdhsa_private_segment_fixed_size 0
		.amdhsa_kernarg_size 320
		.amdhsa_user_sgpr_count 15
		.amdhsa_user_sgpr_dispatch_ptr 0
		.amdhsa_user_sgpr_queue_ptr 0
		.amdhsa_user_sgpr_kernarg_segment_ptr 1
		.amdhsa_user_sgpr_dispatch_id 0
		.amdhsa_user_sgpr_private_segment_size 0
		.amdhsa_wavefront_size32 1
		.amdhsa_uses_dynamic_stack 0
		.amdhsa_enable_private_segment 0
		.amdhsa_system_sgpr_workgroup_id_x 1
		.amdhsa_system_sgpr_workgroup_id_y 0
		.amdhsa_system_sgpr_workgroup_id_z 0
		.amdhsa_system_sgpr_workgroup_info 0
		.amdhsa_system_vgpr_workitem_id 0
		.amdhsa_next_free_vgpr 42
		.amdhsa_next_free_sgpr 21
		.amdhsa_reserve_vcc 1
		.amdhsa_float_round_mode_32 0
		.amdhsa_float_round_mode_16_64 0
		.amdhsa_float_denorm_mode_32 3
		.amdhsa_float_denorm_mode_16_64 3
		.amdhsa_dx10_clamp 1
		.amdhsa_ieee_mode 1
		.amdhsa_fp16_overflow 0
		.amdhsa_workgroup_processor_mode 1
		.amdhsa_memory_ordered 1
		.amdhsa_forward_progress 0
		.amdhsa_shared_vgpr_count 0
		.amdhsa_exception_fp_ieee_invalid_op 0
		.amdhsa_exception_fp_denorm_src 0
		.amdhsa_exception_fp_ieee_div_zero 0
		.amdhsa_exception_fp_ieee_overflow 0
		.amdhsa_exception_fp_ieee_underflow 0
		.amdhsa_exception_fp_ieee_inexact 0
		.amdhsa_exception_int_div_zero 0
	.end_amdhsa_kernel
	.section	.text._ZN12tensorrt_llm7kernels32fusedQKNormRopeKernelNTokenHeadsIN3c104HalfES3_Li128ELb0ELi4EEEvPviiifPKvS6_S6_PKlii,"axG",@progbits,_ZN12tensorrt_llm7kernels32fusedQKNormRopeKernelNTokenHeadsIN3c104HalfES3_Li128ELb0ELi4EEEvPviiifPKvS6_S6_PKlii,comdat
.Lfunc_end39:
	.size	_ZN12tensorrt_llm7kernels32fusedQKNormRopeKernelNTokenHeadsIN3c104HalfES3_Li128ELb0ELi4EEEvPviiifPKvS6_S6_PKlii, .Lfunc_end39-_ZN12tensorrt_llm7kernels32fusedQKNormRopeKernelNTokenHeadsIN3c104HalfES3_Li128ELb0ELi4EEEvPviiifPKvS6_S6_PKlii
                                        ; -- End function
	.section	.AMDGPU.csdata,"",@progbits
; Kernel info:
; codeLenInByte = 2296
; NumSgprs: 23
; NumVgprs: 42
; ScratchSize: 0
; MemoryBound: 0
; FloatMode: 240
; IeeeMode: 1
; LDSByteSize: 0 bytes/workgroup (compile time only)
; SGPRBlocks: 2
; VGPRBlocks: 5
; NumSGPRsForWavesPerEU: 23
; NumVGPRsForWavesPerEU: 42
; Occupancy: 16
; WaveLimiterHint : 0
; COMPUTE_PGM_RSRC2:SCRATCH_EN: 0
; COMPUTE_PGM_RSRC2:USER_SGPR: 15
; COMPUTE_PGM_RSRC2:TRAP_HANDLER: 0
; COMPUTE_PGM_RSRC2:TGID_X_EN: 1
; COMPUTE_PGM_RSRC2:TGID_Y_EN: 0
; COMPUTE_PGM_RSRC2:TGID_Z_EN: 0
; COMPUTE_PGM_RSRC2:TIDIG_COMP_CNT: 0
	.section	.text._ZN12tensorrt_llm7kernels32fusedQKNormRopeKernelNTokenHeadsIN3c104HalfES3_Li256ELb1ELi4EEEvPviiifPKvS6_S6_PKlii,"axG",@progbits,_ZN12tensorrt_llm7kernels32fusedQKNormRopeKernelNTokenHeadsIN3c104HalfES3_Li256ELb1ELi4EEEvPviiifPKvS6_S6_PKlii,comdat
	.protected	_ZN12tensorrt_llm7kernels32fusedQKNormRopeKernelNTokenHeadsIN3c104HalfES3_Li256ELb1ELi4EEEvPviiifPKvS6_S6_PKlii ; -- Begin function _ZN12tensorrt_llm7kernels32fusedQKNormRopeKernelNTokenHeadsIN3c104HalfES3_Li256ELb1ELi4EEEvPviiifPKvS6_S6_PKlii
	.globl	_ZN12tensorrt_llm7kernels32fusedQKNormRopeKernelNTokenHeadsIN3c104HalfES3_Li256ELb1ELi4EEEvPviiifPKvS6_S6_PKlii
	.p2align	8
	.type	_ZN12tensorrt_llm7kernels32fusedQKNormRopeKernelNTokenHeadsIN3c104HalfES3_Li256ELb1ELi4EEEvPviiifPKvS6_S6_PKlii,@function
_ZN12tensorrt_llm7kernels32fusedQKNormRopeKernelNTokenHeadsIN3c104HalfES3_Li256ELb1ELi4EEEvPviiifPKvS6_S6_PKlii: ; @_ZN12tensorrt_llm7kernels32fusedQKNormRopeKernelNTokenHeadsIN3c104HalfES3_Li256ELb1ELi4EEEvPviiifPKvS6_S6_PKlii
; %bb.0:
	s_clause 0x1
	s_load_b128 s[16:19], s[0:1], 0x8
	s_load_b64 s[2:3], s[0:1], 0x38
	s_waitcnt lgkmcnt(0)
	s_add_i32 s4, s17, s16
	s_delay_alu instid0(SALU_CYCLE_1) | instskip(NEXT) | instid1(SALU_CYCLE_1)
	s_add_i32 s5, s4, 3
	s_ashr_i32 s6, s5, 31
	s_delay_alu instid0(SALU_CYCLE_1) | instskip(NEXT) | instid1(SALU_CYCLE_1)
	s_lshr_b32 s6, s6, 30
	s_add_i32 s5, s5, s6
	s_delay_alu instid0(SALU_CYCLE_1) | instskip(SKIP_2) | instid1(SALU_CYCLE_1)
	s_ashr_i32 s14, s5, 2
	s_load_b32 s5, s[0:1], 0x4c
	s_abs_i32 s6, s14
	v_cvt_f32_u32_e32 v1, s6
	s_sub_i32 s7, 0, s6
	s_delay_alu instid0(VALU_DEP_1) | instskip(SKIP_4) | instid1(VALU_DEP_1)
	v_rcp_iflag_f32_e32 v1, v1
	s_waitcnt_depctr 0xfff
	v_mul_f32_e32 v1, 0x4f7ffffe, v1
	s_waitcnt lgkmcnt(0)
	s_bfe_u32 s5, s5, 0xb0005
	v_cvt_u32_f32_e32 v4, v1
	v_lshrrev_b32_e32 v1, 5, v0
	s_delay_alu instid0(VALU_DEP_2) | instskip(NEXT) | instid1(VALU_DEP_2)
	v_mul_lo_u32 v5, s7, v4
	v_mad_u64_u32 v[2:3], null, s15, s5, v[1:2]
	s_delay_alu instid0(VALU_DEP_2) | instskip(NEXT) | instid1(VALU_DEP_2)
	v_mul_hi_u32 v3, v4, v5
	v_sub_nc_u32_e32 v5, 0, v2
	s_delay_alu instid0(VALU_DEP_1) | instskip(NEXT) | instid1(VALU_DEP_3)
	v_max_i32_e32 v5, v2, v5
	v_add_nc_u32_e32 v3, v4, v3
	s_delay_alu instid0(VALU_DEP_1) | instskip(NEXT) | instid1(VALU_DEP_1)
	v_mul_hi_u32 v3, v5, v3
	v_mul_lo_u32 v4, v3, s6
	s_delay_alu instid0(VALU_DEP_1) | instskip(SKIP_1) | instid1(VALU_DEP_2)
	v_sub_nc_u32_e32 v4, v5, v4
	v_add_nc_u32_e32 v5, 1, v3
	v_subrev_nc_u32_e32 v6, s6, v4
	v_cmp_le_u32_e32 vcc_lo, s6, v4
	s_delay_alu instid0(VALU_DEP_2) | instskip(SKIP_1) | instid1(VALU_DEP_2)
	v_dual_cndmask_b32 v4, v4, v6 :: v_dual_cndmask_b32 v3, v3, v5
	v_xor_b32_e32 v5, s14, v2
	v_cmp_le_u32_e32 vcc_lo, s6, v4
	s_delay_alu instid0(VALU_DEP_3) | instskip(NEXT) | instid1(VALU_DEP_3)
	v_add_nc_u32_e32 v6, 1, v3
	v_ashrrev_i32_e32 v5, 31, v5
	s_delay_alu instid0(VALU_DEP_2) | instskip(NEXT) | instid1(VALU_DEP_1)
	v_cndmask_b32_e32 v3, v3, v6, vcc_lo
	v_xor_b32_e32 v3, v3, v5
	s_delay_alu instid0(VALU_DEP_1) | instskip(NEXT) | instid1(VALU_DEP_1)
	v_sub_nc_u32_e32 v4, v3, v5
	v_cmp_gt_i32_e32 vcc_lo, s2, v4
	s_and_saveexec_b32 s2, vcc_lo
	s_cbranch_execz .LBB40_12
; %bb.1:
	v_mul_lo_u32 v3, v4, s14
	s_load_b64 s[12:13], s[0:1], 0x0
	v_and_b32_e32 v14, 31, v0
	v_lshlrev_b32_e32 v12, 11, v1
	v_lshlrev_b32_e32 v15, 10, v2
	s_lshl_b32 s20, s3, 1
	s_delay_alu instid0(VALU_DEP_3) | instskip(SKIP_2) | instid1(VALU_DEP_1)
	v_lshlrev_b32_e32 v13, 4, v14
	v_sub_nc_u32_e32 v3, v2, v3
	s_mul_i32 s15, s20, s5
	v_lshlrev_b32_e32 v6, 2, v3
	s_delay_alu instid0(VALU_DEP_1) | instskip(SKIP_1) | instid1(VALU_DEP_2)
	v_add_nc_u32_e32 v3, 4, v6
	v_sub_nc_u32_e32 v5, s4, v6
	v_cmp_lt_i32_e32 vcc_lo, s4, v3
	s_delay_alu instid0(VALU_DEP_2) | instskip(NEXT) | instid1(VALU_DEP_1)
	v_cndmask_b32_e32 v7, 4, v5, vcc_lo
	v_cmp_lt_i32_e32 vcc_lo, 0, v7
	s_and_saveexec_b32 s4, vcc_lo
	s_cbranch_execz .LBB40_4
; %bb.2:
	s_add_i32 s2, s18, s17
	s_lshl_b32 s5, s14, 2
	s_add_i32 s2, s2, s16
	s_mov_b32 s6, 0
	s_sub_i32 s2, s2, s5
	s_mov_b32 s5, 0
	v_mul_lo_u32 v2, s2, v4
	s_add_i32 s2, s15, 0
	s_delay_alu instid0(SALU_CYCLE_1) | instskip(NEXT) | instid1(VALU_DEP_2)
	v_add3_u32 v5, s2, v12, v13
	v_lshl_add_u32 v2, v2, 8, v15
	s_delay_alu instid0(VALU_DEP_1)
	v_lshl_or_b32 v2, v14, 3, v2
	.p2align	6
.LBB40_3:                               ; =>This Inner Loop Header: Depth=1
	s_delay_alu instid0(VALU_DEP_1) | instskip(SKIP_1) | instid1(VALU_DEP_1)
	v_ashrrev_i32_e32 v3, 31, v2
	s_add_i32 s6, s6, 1
	v_lshlrev_b64 v[8:9], 1, v[2:3]
	v_add_nc_u32_e32 v2, 0x100, v2
	s_waitcnt lgkmcnt(0)
	s_delay_alu instid0(VALU_DEP_2) | instskip(NEXT) | instid1(VALU_DEP_1)
	v_add_co_u32 v8, s2, s12, v8
	v_add_co_ci_u32_e64 v9, s2, s13, v9, s2
	v_cmp_ge_i32_e64 s2, s6, v7
	global_load_b128 v[8:11], v[8:9], off
	s_or_b32 s5, s2, s5
	s_waitcnt vmcnt(0)
	ds_store_b128 v5, v[8:11]
	v_add_nc_u32_e32 v5, 0x200, v5
	s_and_not1_b32 exec_lo, exec_lo, s5
	s_cbranch_execnz .LBB40_3
.LBB40_4:
	s_or_b32 exec_lo, exec_lo, s4
	s_load_b256 s[4:11], s[0:1], 0x18
	v_mul_lo_u32 v1, v1, s3
	s_add_i32 s0, s20, 15
	s_mov_b32 s20, exec_lo
	s_ashr_i32 s1, s0, 31
	s_delay_alu instid0(SALU_CYCLE_1) | instskip(NEXT) | instid1(SALU_CYCLE_1)
	s_lshr_b32 s1, s1, 28
	s_add_i32 s0, s0, s1
	s_delay_alu instid0(VALU_DEP_1) | instskip(SKIP_1) | instid1(SALU_CYCLE_1)
	v_lshlrev_b32_e32 v16, 1, v1
	s_ashr_i32 s2, s0, 4
	v_cmpx_gt_i32_e64 s2, v14
	s_cbranch_execz .LBB40_7
; %bb.5:
	v_ashrrev_i32_e32 v5, 31, v4
	s_delay_alu instid0(VALU_DEP_1) | instskip(SKIP_1) | instid1(VALU_DEP_1)
	v_lshlrev_b64 v[1:2], 3, v[4:5]
	s_waitcnt lgkmcnt(0)
	v_add_co_u32 v1, s0, s10, v1
	s_delay_alu instid0(VALU_DEP_1)
	v_add_co_ci_u32_e64 v2, s0, s11, v2, s0
	s_ashr_i32 s0, s3, 31
	global_load_b64 v[1:2], v[1:2], off
	s_waitcnt vmcnt(0)
	v_mul_lo_u32 v5, v2, s3
	v_mul_lo_u32 v8, v1, s0
	v_mad_u64_u32 v[2:3], null, v1, s3, 0
	s_delay_alu instid0(VALU_DEP_1) | instskip(SKIP_1) | instid1(VALU_DEP_2)
	v_add3_u32 v3, v3, v8, v5
	v_and_b32_e32 v5, 31, v0
	v_lshlrev_b64 v[0:1], 1, v[2:3]
	s_delay_alu instid0(VALU_DEP_2) | instskip(NEXT) | instid1(VALU_DEP_1)
	v_dual_mov_b32 v3, v14 :: v_dual_lshlrev_b32 v2, 4, v5
	v_add_co_u32 v0, s0, v0, v2
	s_delay_alu instid0(VALU_DEP_1) | instskip(SKIP_1) | instid1(VALU_DEP_3)
	v_add_co_ci_u32_e64 v1, s0, 0, v1, s0
	v_add3_u32 v2, v16, v13, 0
	v_add_co_u32 v0, s0, s8, v0
	s_delay_alu instid0(VALU_DEP_1)
	v_add_co_ci_u32_e64 v1, s0, s9, v1, s0
	s_mov_b32 s8, 0
	.p2align	6
.LBB40_6:                               ; =>This Inner Loop Header: Depth=1
	global_load_b128 v[8:11], v[0:1], off
	v_add_nc_u32_e32 v3, 32, v3
	v_add_co_u32 v0, s0, 0x200, v0
	s_delay_alu instid0(VALU_DEP_1) | instskip(NEXT) | instid1(VALU_DEP_3)
	v_add_co_ci_u32_e64 v1, s0, 0, v1, s0
	v_cmp_le_i32_e64 s1, s2, v3
	s_delay_alu instid0(VALU_DEP_1)
	s_or_b32 s8, s1, s8
	s_waitcnt vmcnt(0)
	ds_store_b128 v2, v[8:11]
	v_add_nc_u32_e32 v2, 0x200, v2
	s_and_not1_b32 exec_lo, exec_lo, s8
	s_cbranch_execnz .LBB40_6
.LBB40_7:
	s_or_b32 exec_lo, exec_lo, s20
	s_delay_alu instid0(SALU_CYCLE_1)
	s_and_b32 exec_lo, exec_lo, vcc_lo
	s_cbranch_execz .LBB40_12
; %bb.8:
	s_waitcnt lgkmcnt(0)
	s_clause 0x5
	global_load_b32 v8, v13, s[6:7] offset:2
	global_load_b64 v[0:1], v13, s[4:5] offset:8
	global_load_u16 v9, v13, s[4:5]
	global_load_u16 v10, v13, s[6:7]
	global_load_b32 v11, v13, s[4:5] offset:2
	global_load_b64 v[2:3], v13, s[6:7] offset:8
	v_mbcnt_lo_u32_b32 v17, -1, 0
	s_lshr_b32 s0, s3, 31
	s_ashr_i32 s1, s3, 31
	s_add_i32 s0, s3, s0
	s_lshr_b32 s1, s1, 29
	v_xor_b32_e32 v19, 16, v17
	v_lshlrev_b32_e32 v5, 3, v14
	v_xor_b32_e32 v20, 8, v17
	v_add_nc_u32_e32 v18, s15, v12
	v_xor_b32_e32 v21, 4, v17
	v_xor_b32_e32 v22, 2, v17
	v_add3_u32 v12, 0, v16, v5
	s_add_i32 s2, s18, s17
	v_xor_b32_e32 v23, 1, v17
	s_add_i32 s2, s2, s16
	s_clause 0x1
	global_load_d16_hi_b16 v9, v13, s[4:5] offset:6
	global_load_d16_hi_b16 v10, v13, s[6:7] offset:6
	s_and_b32 s5, s0, -2
	s_add_i32 s0, s3, s1
	v_add3_u32 v13, v18, v13, 0
	s_ashr_i32 s0, s0, 3
	s_lshl_b32 s4, s14, 2
	v_cmp_gt_i32_e32 vcc_lo, s0, v14
	v_cmp_gt_i32_e64 s0, 32, v19
	s_sub_i32 s1, s2, s4
	v_add_nc_u32_e32 v14, s5, v12
	v_mul_lo_u32 v4, s1, v4
	s_waitcnt vmcnt(6)
	v_lshrrev_b32_e32 v24, 16, v1
	v_cndmask_b32_e64 v16, v17, v19, s0
	v_cmp_gt_i32_e64 s0, 32, v20
	s_waitcnt vmcnt(2)
	v_lshrrev_b32_e32 v27, 16, v3
	s_mov_b32 s2, 0
	s_mov_b32 s3, 0
	v_cndmask_b32_e64 v18, v17, v20, s0
	v_cmp_gt_i32_e64 s0, 32, v21
	v_lshl_add_u32 v4, v4, 8, v15
	v_lshlrev_b32_e32 v15, 2, v16
	s_delay_alu instid0(VALU_DEP_4) | instskip(NEXT) | instid1(VALU_DEP_4)
	v_lshlrev_b32_e32 v16, 2, v18
	v_cndmask_b32_e64 v19, v17, v21, s0
	v_cmp_gt_i32_e64 s0, 32, v22
	v_or_b32_e32 v4, v4, v5
	s_delay_alu instid0(VALU_DEP_2) | instskip(SKIP_2) | instid1(VALU_DEP_3)
	v_cndmask_b32_e64 v20, v17, v22, s0
	v_cmp_gt_i32_e64 s0, 32, v23
	v_lshrrev_b32_e32 v22, 16, v0
	v_lshlrev_b32_e32 v18, 2, v20
	s_delay_alu instid0(VALU_DEP_3) | instskip(SKIP_3) | instid1(VALU_DEP_4)
	v_cndmask_b32_e64 v21, v17, v23, s0
	v_lshlrev_b32_e32 v17, 2, v19
	v_lshrrev_b32_e32 v20, 16, v11
	v_lshrrev_b32_e32 v23, 16, v2
	v_lshlrev_b32_e32 v19, 2, v21
	v_lshrrev_b32_e32 v21, 16, v8
	s_waitcnt vmcnt(1)
	v_lshrrev_b32_e32 v25, 16, v9
	s_waitcnt vmcnt(0)
	v_lshrrev_b32_e32 v26, 16, v10
	s_branch .LBB40_10
.LBB40_9:                               ;   in Loop: Header=BB40_10 Depth=1
	s_or_b32 exec_lo, exec_lo, s0
	v_ashrrev_i32_e32 v5, 31, v4
	v_cvt_f16_f32_e32 v38, v35
	v_cvt_f16_f32_e32 v37, v31
	;; [unrolled: 1-line block ×4, first 2 shown]
	v_lshlrev_b64 v[35:36], 1, v[4:5]
	v_cvt_f16_f32_e32 v5, v34
	v_cvt_f16_f32_e32 v30, v30
	;; [unrolled: 1-line block ×4, first 2 shown]
	s_add_i32 s3, s3, 1
	v_add_co_u32 v32, s0, s12, v35
	s_delay_alu instid0(VALU_DEP_1)
	v_add_co_ci_u32_e64 v33, s0, s13, v36, s0
	v_cmp_ge_i32_e64 s0, s3, v7
	v_pack_b32_f16 v31, v31, v29
	v_pack_b32_f16 v30, v5, v30
	;; [unrolled: 1-line block ×4, first 2 shown]
	v_add_nc_u32_e32 v4, 0x100, v4
	v_add_nc_u32_e32 v13, 0x200, v13
	s_or_b32 s2, s0, s2
	global_store_b128 v[32:33], v[28:31], off
	s_and_not1_b32 exec_lo, exec_lo, s2
	s_cbranch_execz .LBB40_12
.LBB40_10:                              ; =>This Inner Loop Header: Depth=1
	ds_load_b128 v[28:31], v13
	s_waitcnt lgkmcnt(0)
	v_lshrrev_b32_e32 v5, 16, v28
	v_lshrrev_b32_e32 v42, 16, v31
	v_cvt_f32_f16_e32 v44, v31
	v_lshrrev_b32_e32 v41, 16, v29
	s_delay_alu instid0(VALU_DEP_4) | instskip(NEXT) | instid1(VALU_DEP_4)
	v_cvt_f32_f16_e32 v5, v5
	v_cvt_f32_f16_e32 v42, v42
	s_delay_alu instid0(VALU_DEP_2) | instskip(NEXT) | instid1(VALU_DEP_1)
	v_mul_f32_e32 v32, v5, v5
	v_fma_mix_f32 v32, v28, v28, v32 op_sel_hi:[1,1,0]
	s_delay_alu instid0(VALU_DEP_1) | instskip(NEXT) | instid1(VALU_DEP_1)
	v_fma_mix_f32 v32, v29, v29, v32 op_sel_hi:[1,1,0]
	v_fma_mix_f32 v32, v29, v29, v32 op_sel:[1,1,0] op_sel_hi:[1,1,0]
	v_cvt_f32_f16_e32 v29, v29
	s_delay_alu instid0(VALU_DEP_2) | instskip(NEXT) | instid1(VALU_DEP_1)
	v_fma_mix_f32 v32, v30, v30, v32 op_sel_hi:[1,1,0]
	v_fma_mix_f32 v32, v30, v30, v32 op_sel:[1,1,0] op_sel_hi:[1,1,0]
	s_delay_alu instid0(VALU_DEP_1) | instskip(NEXT) | instid1(VALU_DEP_1)
	v_fma_mix_f32 v32, v31, v31, v32 op_sel_hi:[1,1,0]
	v_fma_mix_f32 v32, v31, v31, v32 op_sel:[1,1,0] op_sel_hi:[1,1,0]
	v_cvt_f32_f16_e32 v31, v28
	v_lshrrev_b32_e32 v28, 16, v30
	ds_bpermute_b32 v33, v15, v32
	s_waitcnt lgkmcnt(0)
	v_add_f32_e32 v32, v32, v33
	ds_bpermute_b32 v33, v16, v32
	s_waitcnt lgkmcnt(0)
	v_add_f32_e32 v32, v32, v33
	;; [unrolled: 3-line block ×5, first 2 shown]
	s_delay_alu instid0(VALU_DEP_1) | instskip(NEXT) | instid1(VALU_DEP_1)
	v_fma_f32 v32, 0x3b800000, v32, s19
	v_dual_mul_f32 v35, 0x4b800000, v32 :: v_dual_add_nc_u32 v34, s3, v6
	v_cmp_gt_f32_e64 s1, 0x800000, v32
	s_delay_alu instid0(VALU_DEP_2) | instskip(NEXT) | instid1(VALU_DEP_2)
	v_cmp_gt_i32_e64 s0, s16, v34
	v_cndmask_b32_e64 v32, v32, v35, s1
	s_delay_alu instid0(VALU_DEP_2)
	v_cndmask_b32_e64 v34, v8, v11, s0
	v_cndmask_b32_e64 v33, v21, v20, s0
	;; [unrolled: 1-line block ×4, first 2 shown]
	v_rsq_f32_e32 v32, v32
	v_cndmask_b32_e64 v35, v23, v22, s0
	v_cndmask_b32_e64 v38, v2, v0, s0
	;; [unrolled: 1-line block ×4, first 2 shown]
	v_cvt_f32_f16_e32 v34, v34
	v_cvt_f32_f16_e32 v33, v33
	;; [unrolled: 1-line block ×5, first 2 shown]
	v_mul_f32_e32 v43, 0x45800000, v32
	v_cvt_f32_f16_e32 v38, v38
	v_cvt_f32_f16_e32 v39, v39
	;; [unrolled: 1-line block ×3, first 2 shown]
	s_delay_alu instid0(VALU_DEP_4) | instskip(SKIP_3) | instid1(VALU_DEP_4)
	v_cndmask_b32_e64 v32, v32, v43, s1
	v_cvt_f32_f16_e32 v43, v30
	v_cvt_f32_f16_e32 v30, v41
	v_cvt_f32_f16_e32 v41, v28
	v_mul_f32_e32 v34, v32, v34
	v_mul_f32_e32 v37, v32, v37
	;; [unrolled: 1-line block ×5, first 2 shown]
	v_dual_mul_f32 v38, v32, v35 :: v_dual_mul_f32 v35, v34, v5
	v_mul_f32_e32 v40, v32, v40
	v_mul_f32_e32 v32, v32, v39
	;; [unrolled: 1-line block ×3, first 2 shown]
	v_dual_mul_f32 v33, v33, v29 :: v_dual_mul_f32 v28, v28, v30
	s_delay_alu instid0(VALU_DEP_3)
	v_dual_mul_f32 v30, v38, v41 :: v_dual_mul_f32 v29, v32, v42
	v_mul_f32_e32 v34, v36, v43
	v_mul_f32_e32 v32, v40, v44
	s_and_saveexec_b32 s0, vcc_lo
	s_cbranch_execz .LBB40_9
; %bb.11:                               ;   in Loop: Header=BB40_10 Depth=1
	ds_load_b64 v[36:37], v12
	ds_load_b64 v[38:39], v14
	s_waitcnt lgkmcnt(1)
	v_lshrrev_b32_e32 v5, 16, v37
	v_cvt_f32_f16_e32 v40, v36
	s_waitcnt lgkmcnt(0)
	v_lshrrev_b32_e32 v41, 16, v38
	v_cvt_f32_f16_e32 v42, v38
	v_lshrrev_b32_e32 v43, 16, v39
	v_cvt_f32_f16_e32 v44, v39
	v_cvt_f32_f16_e32 v45, v37
	;; [unrolled: 1-line block ×3, first 2 shown]
	v_mul_f32_e32 v42, v35, v42
	v_mul_f32_e32 v35, v35, v40
	v_cvt_f32_f16_e32 v5, v5
	v_mul_f32_e32 v40, v30, v44
	v_mul_f32_e32 v30, v30, v45
	v_cvt_f32_f16_e32 v43, v43
	v_mul_f32_e32 v44, v28, v41
	v_mul_f32_e32 v41, v33, v41
	v_fma_mix_f32 v42, v31, v36, -v42 op_sel_hi:[0,1,0]
	v_fma_mix_f32 v30, v34, v39, v30 op_sel_hi:[0,1,0]
	v_mul_f32_e32 v5, v29, v5
	v_fma_mix_f32 v40, v34, v37, -v40 op_sel_hi:[0,1,0]
	v_mul_f32_e32 v34, v29, v43
	v_fma_mix_f32 v35, v31, v38, v35 op_sel_hi:[0,1,0]
	v_mov_b32_e32 v31, v42
	v_fma_mix_f32 v33, v33, v36, -v44 op_sel:[0,1,0] op_sel_hi:[0,1,0]
	v_fma_mix_f32 v28, v28, v36, v41 op_sel:[0,1,0] op_sel_hi:[0,1,0]
	v_fma_mix_f32 v36, v32, v37, -v34 op_sel:[0,1,0] op_sel_hi:[0,1,0]
	v_fma_mix_f32 v29, v32, v39, v5 op_sel:[0,1,0] op_sel_hi:[0,1,0]
	v_mov_b32_e32 v34, v40
	s_delay_alu instid0(VALU_DEP_3)
	v_mov_b32_e32 v32, v36
	s_branch .LBB40_9
.LBB40_12:
	s_nop 0
	s_sendmsg sendmsg(MSG_DEALLOC_VGPRS)
	s_endpgm
	.section	.rodata,"a",@progbits
	.p2align	6, 0x0
	.amdhsa_kernel _ZN12tensorrt_llm7kernels32fusedQKNormRopeKernelNTokenHeadsIN3c104HalfES3_Li256ELb1ELi4EEEvPviiifPKvS6_S6_PKlii
		.amdhsa_group_segment_fixed_size 0
		.amdhsa_private_segment_fixed_size 0
		.amdhsa_kernarg_size 320
		.amdhsa_user_sgpr_count 15
		.amdhsa_user_sgpr_dispatch_ptr 0
		.amdhsa_user_sgpr_queue_ptr 0
		.amdhsa_user_sgpr_kernarg_segment_ptr 1
		.amdhsa_user_sgpr_dispatch_id 0
		.amdhsa_user_sgpr_private_segment_size 0
		.amdhsa_wavefront_size32 1
		.amdhsa_uses_dynamic_stack 0
		.amdhsa_enable_private_segment 0
		.amdhsa_system_sgpr_workgroup_id_x 1
		.amdhsa_system_sgpr_workgroup_id_y 0
		.amdhsa_system_sgpr_workgroup_id_z 0
		.amdhsa_system_sgpr_workgroup_info 0
		.amdhsa_system_vgpr_workitem_id 0
		.amdhsa_next_free_vgpr 46
		.amdhsa_next_free_sgpr 21
		.amdhsa_reserve_vcc 1
		.amdhsa_float_round_mode_32 0
		.amdhsa_float_round_mode_16_64 0
		.amdhsa_float_denorm_mode_32 3
		.amdhsa_float_denorm_mode_16_64 3
		.amdhsa_dx10_clamp 1
		.amdhsa_ieee_mode 1
		.amdhsa_fp16_overflow 0
		.amdhsa_workgroup_processor_mode 1
		.amdhsa_memory_ordered 1
		.amdhsa_forward_progress 0
		.amdhsa_shared_vgpr_count 0
		.amdhsa_exception_fp_ieee_invalid_op 0
		.amdhsa_exception_fp_denorm_src 0
		.amdhsa_exception_fp_ieee_div_zero 0
		.amdhsa_exception_fp_ieee_overflow 0
		.amdhsa_exception_fp_ieee_underflow 0
		.amdhsa_exception_fp_ieee_inexact 0
		.amdhsa_exception_int_div_zero 0
	.end_amdhsa_kernel
	.section	.text._ZN12tensorrt_llm7kernels32fusedQKNormRopeKernelNTokenHeadsIN3c104HalfES3_Li256ELb1ELi4EEEvPviiifPKvS6_S6_PKlii,"axG",@progbits,_ZN12tensorrt_llm7kernels32fusedQKNormRopeKernelNTokenHeadsIN3c104HalfES3_Li256ELb1ELi4EEEvPviiifPKvS6_S6_PKlii,comdat
.Lfunc_end40:
	.size	_ZN12tensorrt_llm7kernels32fusedQKNormRopeKernelNTokenHeadsIN3c104HalfES3_Li256ELb1ELi4EEEvPviiifPKvS6_S6_PKlii, .Lfunc_end40-_ZN12tensorrt_llm7kernels32fusedQKNormRopeKernelNTokenHeadsIN3c104HalfES3_Li256ELb1ELi4EEEvPviiifPKvS6_S6_PKlii
                                        ; -- End function
	.section	.AMDGPU.csdata,"",@progbits
; Kernel info:
; codeLenInByte = 2052
; NumSgprs: 23
; NumVgprs: 46
; ScratchSize: 0
; MemoryBound: 0
; FloatMode: 240
; IeeeMode: 1
; LDSByteSize: 0 bytes/workgroup (compile time only)
; SGPRBlocks: 2
; VGPRBlocks: 5
; NumSGPRsForWavesPerEU: 23
; NumVGPRsForWavesPerEU: 46
; Occupancy: 16
; WaveLimiterHint : 0
; COMPUTE_PGM_RSRC2:SCRATCH_EN: 0
; COMPUTE_PGM_RSRC2:USER_SGPR: 15
; COMPUTE_PGM_RSRC2:TRAP_HANDLER: 0
; COMPUTE_PGM_RSRC2:TGID_X_EN: 1
; COMPUTE_PGM_RSRC2:TGID_Y_EN: 0
; COMPUTE_PGM_RSRC2:TGID_Z_EN: 0
; COMPUTE_PGM_RSRC2:TIDIG_COMP_CNT: 0
	.section	.text._ZN12tensorrt_llm7kernels32fusedQKNormRopeKernelNTokenHeadsIN3c104HalfES3_Li256ELb0ELi4EEEvPviiifPKvS6_S6_PKlii,"axG",@progbits,_ZN12tensorrt_llm7kernels32fusedQKNormRopeKernelNTokenHeadsIN3c104HalfES3_Li256ELb0ELi4EEEvPviiifPKvS6_S6_PKlii,comdat
	.protected	_ZN12tensorrt_llm7kernels32fusedQKNormRopeKernelNTokenHeadsIN3c104HalfES3_Li256ELb0ELi4EEEvPviiifPKvS6_S6_PKlii ; -- Begin function _ZN12tensorrt_llm7kernels32fusedQKNormRopeKernelNTokenHeadsIN3c104HalfES3_Li256ELb0ELi4EEEvPviiifPKvS6_S6_PKlii
	.globl	_ZN12tensorrt_llm7kernels32fusedQKNormRopeKernelNTokenHeadsIN3c104HalfES3_Li256ELb0ELi4EEEvPviiifPKvS6_S6_PKlii
	.p2align	8
	.type	_ZN12tensorrt_llm7kernels32fusedQKNormRopeKernelNTokenHeadsIN3c104HalfES3_Li256ELb0ELi4EEEvPviiifPKvS6_S6_PKlii,@function
_ZN12tensorrt_llm7kernels32fusedQKNormRopeKernelNTokenHeadsIN3c104HalfES3_Li256ELb0ELi4EEEvPviiifPKvS6_S6_PKlii: ; @_ZN12tensorrt_llm7kernels32fusedQKNormRopeKernelNTokenHeadsIN3c104HalfES3_Li256ELb0ELi4EEEvPviiifPKvS6_S6_PKlii
; %bb.0:
	s_clause 0x1
	s_load_b128 s[16:19], s[0:1], 0x8
	s_load_b64 s[2:3], s[0:1], 0x38
	s_waitcnt lgkmcnt(0)
	s_add_i32 s4, s17, s16
	s_delay_alu instid0(SALU_CYCLE_1) | instskip(NEXT) | instid1(SALU_CYCLE_1)
	s_add_i32 s5, s4, 3
	s_ashr_i32 s6, s5, 31
	s_delay_alu instid0(SALU_CYCLE_1) | instskip(NEXT) | instid1(SALU_CYCLE_1)
	s_lshr_b32 s6, s6, 30
	s_add_i32 s5, s5, s6
	s_delay_alu instid0(SALU_CYCLE_1) | instskip(SKIP_2) | instid1(SALU_CYCLE_1)
	s_ashr_i32 s14, s5, 2
	s_load_b32 s5, s[0:1], 0x4c
	s_abs_i32 s6, s14
	v_cvt_f32_u32_e32 v1, s6
	s_sub_i32 s7, 0, s6
	s_delay_alu instid0(VALU_DEP_1) | instskip(SKIP_4) | instid1(VALU_DEP_1)
	v_rcp_iflag_f32_e32 v1, v1
	s_waitcnt_depctr 0xfff
	v_mul_f32_e32 v1, 0x4f7ffffe, v1
	s_waitcnt lgkmcnt(0)
	s_bfe_u32 s5, s5, 0xb0005
	v_cvt_u32_f32_e32 v4, v1
	v_lshrrev_b32_e32 v1, 5, v0
	s_delay_alu instid0(VALU_DEP_2) | instskip(NEXT) | instid1(VALU_DEP_2)
	v_mul_lo_u32 v5, s7, v4
	v_mad_u64_u32 v[2:3], null, s15, s5, v[1:2]
	s_delay_alu instid0(VALU_DEP_2) | instskip(NEXT) | instid1(VALU_DEP_2)
	v_mul_hi_u32 v3, v4, v5
	v_sub_nc_u32_e32 v5, 0, v2
	s_delay_alu instid0(VALU_DEP_1) | instskip(NEXT) | instid1(VALU_DEP_3)
	v_max_i32_e32 v5, v2, v5
	v_add_nc_u32_e32 v3, v4, v3
	s_delay_alu instid0(VALU_DEP_1) | instskip(NEXT) | instid1(VALU_DEP_1)
	v_mul_hi_u32 v3, v5, v3
	v_mul_lo_u32 v4, v3, s6
	s_delay_alu instid0(VALU_DEP_1) | instskip(SKIP_1) | instid1(VALU_DEP_2)
	v_sub_nc_u32_e32 v4, v5, v4
	v_add_nc_u32_e32 v5, 1, v3
	v_subrev_nc_u32_e32 v6, s6, v4
	v_cmp_le_u32_e32 vcc_lo, s6, v4
	s_delay_alu instid0(VALU_DEP_2) | instskip(SKIP_1) | instid1(VALU_DEP_2)
	v_dual_cndmask_b32 v4, v4, v6 :: v_dual_cndmask_b32 v3, v3, v5
	v_xor_b32_e32 v5, s14, v2
	v_cmp_le_u32_e32 vcc_lo, s6, v4
	s_delay_alu instid0(VALU_DEP_3) | instskip(NEXT) | instid1(VALU_DEP_3)
	v_add_nc_u32_e32 v6, 1, v3
	v_ashrrev_i32_e32 v5, 31, v5
	s_delay_alu instid0(VALU_DEP_2) | instskip(NEXT) | instid1(VALU_DEP_1)
	v_cndmask_b32_e32 v3, v3, v6, vcc_lo
	v_xor_b32_e32 v3, v3, v5
	s_delay_alu instid0(VALU_DEP_1) | instskip(NEXT) | instid1(VALU_DEP_1)
	v_sub_nc_u32_e32 v8, v3, v5
	v_cmp_gt_i32_e32 vcc_lo, s2, v8
	s_and_saveexec_b32 s2, vcc_lo
	s_cbranch_execz .LBB41_12
; %bb.1:
	v_mul_lo_u32 v3, v8, s14
	s_load_b64 s[12:13], s[0:1], 0x0
	v_and_b32_e32 v19, 31, v0
	v_lshlrev_b32_e32 v14, 11, v1
	v_lshlrev_b32_e32 v13, 10, v2
	s_lshl_b32 s20, s3, 1
	s_delay_alu instid0(VALU_DEP_3) | instskip(SKIP_2) | instid1(VALU_DEP_1)
	v_lshlrev_b32_e32 v12, 4, v19
	v_sub_nc_u32_e32 v3, v2, v3
	s_mul_i32 s15, s20, s5
	v_lshlrev_b32_e32 v10, 2, v3
	s_delay_alu instid0(VALU_DEP_1) | instskip(SKIP_1) | instid1(VALU_DEP_2)
	v_add_nc_u32_e32 v3, 4, v10
	v_sub_nc_u32_e32 v4, s4, v10
	v_cmp_lt_i32_e32 vcc_lo, s4, v3
	s_delay_alu instid0(VALU_DEP_2) | instskip(NEXT) | instid1(VALU_DEP_1)
	v_cndmask_b32_e32 v11, 4, v4, vcc_lo
	v_cmp_lt_i32_e32 vcc_lo, 0, v11
	s_and_saveexec_b32 s4, vcc_lo
	s_cbranch_execz .LBB41_4
; %bb.2:
	s_add_i32 s2, s18, s17
	s_lshl_b32 s5, s14, 2
	s_add_i32 s2, s2, s16
	s_mov_b32 s6, 0
	s_sub_i32 s2, s2, s5
	s_mov_b32 s5, 0
	v_mul_lo_u32 v2, s2, v8
	s_add_i32 s2, s15, 0
	s_delay_alu instid0(SALU_CYCLE_1) | instskip(NEXT) | instid1(VALU_DEP_2)
	v_add3_u32 v4, s2, v14, v12
	v_lshl_add_u32 v2, v2, 8, v13
	s_delay_alu instid0(VALU_DEP_1)
	v_lshl_or_b32 v2, v19, 3, v2
	.p2align	6
.LBB41_3:                               ; =>This Inner Loop Header: Depth=1
	s_delay_alu instid0(VALU_DEP_1) | instskip(SKIP_1) | instid1(VALU_DEP_1)
	v_ashrrev_i32_e32 v3, 31, v2
	s_add_i32 s6, s6, 1
	v_lshlrev_b64 v[5:6], 1, v[2:3]
	v_add_nc_u32_e32 v2, 0x100, v2
	s_waitcnt lgkmcnt(0)
	s_delay_alu instid0(VALU_DEP_2) | instskip(NEXT) | instid1(VALU_DEP_1)
	v_add_co_u32 v5, s2, s12, v5
	v_add_co_ci_u32_e64 v6, s2, s13, v6, s2
	v_cmp_ge_i32_e64 s2, s6, v11
	global_load_b128 v[15:18], v[5:6], off
	s_or_b32 s5, s2, s5
	s_waitcnt vmcnt(0)
	ds_store_b128 v4, v[15:18]
	v_add_nc_u32_e32 v4, 0x200, v4
	s_and_not1_b32 exec_lo, exec_lo, s5
	s_cbranch_execnz .LBB41_3
.LBB41_4:
	s_or_b32 exec_lo, exec_lo, s4
	s_load_b256 s[4:11], s[0:1], 0x18
	s_add_i32 s0, s20, 15
	v_mul_lo_u32 v15, v1, s3
	s_ashr_i32 s1, s0, 31
	s_mov_b32 s20, exec_lo
	s_lshr_b32 s1, s1, 28
	s_delay_alu instid0(SALU_CYCLE_1) | instskip(NEXT) | instid1(SALU_CYCLE_1)
	s_add_i32 s0, s0, s1
	s_ashr_i32 s2, s0, 4
	s_delay_alu instid0(SALU_CYCLE_1)
	v_cmpx_gt_i32_e64 s2, v19
	s_cbranch_execz .LBB41_7
; %bb.5:
	v_ashrrev_i32_e32 v9, 31, v8
	s_delay_alu instid0(VALU_DEP_1) | instskip(SKIP_1) | instid1(VALU_DEP_1)
	v_lshlrev_b64 v[1:2], 3, v[8:9]
	s_waitcnt lgkmcnt(0)
	v_add_co_u32 v1, s0, s10, v1
	s_delay_alu instid0(VALU_DEP_1)
	v_add_co_ci_u32_e64 v2, s0, s11, v2, s0
	s_ashr_i32 s0, s3, 31
	global_load_b64 v[1:2], v[1:2], off
	s_waitcnt vmcnt(0)
	v_mul_lo_u32 v4, v2, s3
	v_mul_lo_u32 v5, v1, s0
	v_mad_u64_u32 v[2:3], null, v1, s3, 0
	s_delay_alu instid0(VALU_DEP_1) | instskip(SKIP_1) | instid1(VALU_DEP_2)
	v_add3_u32 v3, v3, v5, v4
	v_and_b32_e32 v4, 31, v0
	v_lshlrev_b64 v[0:1], 1, v[2:3]
	s_delay_alu instid0(VALU_DEP_2) | instskip(SKIP_1) | instid1(VALU_DEP_2)
	v_lshlrev_b32_e32 v2, 4, v4
	v_lshlrev_b32_e32 v3, 1, v15
	v_add_co_u32 v0, s0, v0, v2
	s_delay_alu instid0(VALU_DEP_1) | instskip(NEXT) | instid1(VALU_DEP_3)
	v_add_co_ci_u32_e64 v1, s0, 0, v1, s0
	v_add3_u32 v2, v3, v12, 0
	v_mov_b32_e32 v3, v19
	s_delay_alu instid0(VALU_DEP_4) | instskip(NEXT) | instid1(VALU_DEP_1)
	v_add_co_u32 v0, s0, s8, v0
	v_add_co_ci_u32_e64 v1, s0, s9, v1, s0
	s_mov_b32 s8, 0
	.p2align	6
.LBB41_6:                               ; =>This Inner Loop Header: Depth=1
	global_load_b128 v[4:7], v[0:1], off
	v_add_nc_u32_e32 v3, 32, v3
	v_add_co_u32 v0, s0, 0x200, v0
	s_delay_alu instid0(VALU_DEP_1) | instskip(NEXT) | instid1(VALU_DEP_3)
	v_add_co_ci_u32_e64 v1, s0, 0, v1, s0
	v_cmp_le_i32_e64 s1, s2, v3
	s_delay_alu instid0(VALU_DEP_1)
	s_or_b32 s8, s1, s8
	s_waitcnt vmcnt(0)
	ds_store_b128 v2, v[4:7]
	v_add_nc_u32_e32 v2, 0x200, v2
	s_and_not1_b32 exec_lo, exec_lo, s8
	s_cbranch_execnz .LBB41_6
.LBB41_7:
	s_or_b32 exec_lo, exec_lo, s20
	s_delay_alu instid0(SALU_CYCLE_1)
	s_and_b32 exec_lo, exec_lo, vcc_lo
	s_cbranch_execz .LBB41_12
; %bb.8:
	s_waitcnt lgkmcnt(0)
	s_clause 0x1
	global_load_b128 v[0:3], v12, s[4:5]
	global_load_b128 v[4:7], v12, s[6:7]
	s_abs_i32 s2, s3
	v_add_nc_u32_e32 v43, s15, v14
	v_cvt_f32_u32_e32 v14, s2
	v_lshl_add_u32 v9, v15, 1, 0
	v_mbcnt_lo_u32_b32 v15, -1, 0
	s_lshr_b32 s0, s3, 31
	s_ashr_i32 s1, s3, 31
	v_rcp_iflag_f32_e32 v14, v14
	s_add_i32 s0, s3, s0
	s_lshr_b32 s6, s1, 29
	s_lshr_b32 s1, s1, 28
	v_xor_b32_e32 v16, 16, v15
	s_and_b32 s0, s0, -2
	s_add_i32 s6, s3, s6
	s_add_i32 s1, s3, s1
	s_sub_i32 s7, 0, s2
	v_add_nc_u32_e32 v34, s0, v9
	s_waitcnt_depctr 0xfff
	v_mul_f32_e32 v14, 0x4f7ffffe, v14
	s_ashr_i32 s0, s6, 3
	s_ashr_i32 s1, s1, 4
	v_xor_b32_e32 v17, 8, v15
	v_cmp_gt_i32_e32 vcc_lo, s0, v19
	v_cvt_u32_f32_e32 v29, v14
	v_xor_b32_e32 v14, s1, v15
	v_cmp_gt_i32_e64 s0, s1, v19
	v_cmp_gt_i32_e64 s1, 32, v16
	s_add_i32 s4, s18, s17
	v_mul_lo_u32 v30, s7, v29
	s_lshl_b32 s5, s14, 2
	s_add_i32 s4, s4, s16
	v_xor_b32_e32 v18, 4, v15
	s_sub_i32 s3, s4, s5
	v_cndmask_b32_e64 v16, v15, v16, s1
	v_cmp_gt_i32_e64 s1, 32, v17
	v_mul_lo_u32 v8, s3, v8
	v_mul_hi_u32 v30, v29, v30
	v_xor_b32_e32 v27, 2, v15
	v_xor_b32_e32 v28, 1, v15
	v_cndmask_b32_e64 v17, v15, v17, s1
	v_cmp_gt_i32_e64 s1, 32, v18
	v_or_b32_e32 v20, 2, v12
	v_or_b32_e32 v21, 4, v12
	v_lshl_add_u32 v8, v8, 8, v13
	v_lshlrev_b32_e32 v13, 2, v16
	v_cndmask_b32_e64 v18, v15, v18, s1
	v_cmp_gt_i32_e64 s1, 32, v27
	v_add_nc_u32_e32 v29, v29, v30
	v_lshl_or_b32 v8, v19, 3, v8
	v_or_b32_e32 v22, 6, v12
	v_or_b32_e32 v23, 8, v12
	v_cndmask_b32_e64 v27, v15, v27, s1
	v_cmp_gt_i32_e64 s1, 32, v28
	v_mul_hi_u32 v19, v12, v29
	v_or_b32_e32 v24, 10, v12
	v_or_b32_e32 v25, 12, v12
	v_lshlrev_b32_e32 v16, 2, v27
	v_cndmask_b32_e64 v28, v15, v28, s1
	v_cmp_gt_i32_e64 s1, 32, v14
	v_mul_hi_u32 v27, v20, v29
	v_or_b32_e32 v26, 14, v12
	v_mul_lo_u32 v19, v19, s2
	v_mul_hi_u32 v30, v22, v29
	v_cndmask_b32_e64 v31, v15, v14, s1
	v_lshlrev_b32_e32 v14, 2, v17
	v_lshlrev_b32_e32 v17, 2, v28
	v_mul_hi_u32 v28, v21, v29
	v_mul_lo_u32 v27, v27, s2
	v_lshlrev_b32_e32 v15, 2, v18
	v_lshlrev_b32_e32 v18, 2, v31
	v_mul_hi_u32 v31, v23, v29
	v_mul_hi_u32 v32, v24, v29
	;; [unrolled: 1-line block ×4, first 2 shown]
	v_sub_nc_u32_e32 v19, v12, v19
	v_mul_lo_u32 v28, v28, s2
	v_sub_nc_u32_e32 v20, v20, v27
	v_mul_lo_u32 v30, v30, s2
	v_mul_lo_u32 v31, v31, s2
	v_subrev_nc_u32_e32 v27, s2, v19
	v_cmp_le_u32_e64 s1, s2, v19
	v_mul_lo_u32 v29, v29, s2
	v_mul_lo_u32 v32, v32, s2
	v_sub_nc_u32_e32 v21, v21, v28
	v_subrev_nc_u32_e32 v28, s2, v20
	v_cndmask_b32_e64 v19, v19, v27, s1
	v_cmp_le_u32_e64 s1, s2, v20
	v_sub_nc_u32_e32 v22, v22, v30
	v_sub_nc_u32_e32 v23, v23, v31
	;; [unrolled: 1-line block ×3, first 2 shown]
	v_subrev_nc_u32_e32 v29, s2, v21
	v_cndmask_b32_e64 v20, v20, v28, s1
	v_cmp_le_u32_e64 s1, s2, v21
	v_subrev_nc_u32_e32 v30, s2, v22
	v_mul_lo_u32 v33, v33, s2
	v_sub_nc_u32_e32 v24, v24, v32
	v_subrev_nc_u32_e32 v31, s2, v23
	v_cndmask_b32_e64 v21, v21, v29, s1
	v_cmp_le_u32_e64 s1, s2, v22
	v_subrev_nc_u32_e32 v35, s2, v26
	v_subrev_nc_u32_e32 v32, s2, v24
	;; [unrolled: 1-line block ×3, first 2 shown]
	v_sub_nc_u32_e32 v25, v25, v33
	v_cndmask_b32_e64 v22, v22, v30, s1
	v_cmp_le_u32_e64 s1, s2, v23
	v_subrev_nc_u32_e32 v28, s2, v20
	v_subrev_nc_u32_e32 v29, s2, v21
	;; [unrolled: 1-line block ×4, first 2 shown]
	v_cndmask_b32_e64 v23, v23, v31, s1
	v_cmp_le_u32_e64 s1, s2, v24
	v_add3_u32 v12, v43, v12, 0
	s_mov_b32 s3, 0
	s_mov_b32 s4, 0
	v_subrev_nc_u32_e32 v31, s2, v23
	v_cndmask_b32_e64 v24, v24, v32, s1
	v_cmp_le_u32_e64 s1, s2, v25
	s_delay_alu instid0(VALU_DEP_2) | instskip(NEXT) | instid1(VALU_DEP_2)
	v_subrev_nc_u32_e32 v32, s2, v24
	v_cndmask_b32_e64 v25, v25, v33, s1
	v_cmp_le_u32_e64 s1, s2, v26
	s_delay_alu instid0(VALU_DEP_2) | instskip(NEXT) | instid1(VALU_DEP_2)
	;; [unrolled: 4-line block ×4, first 2 shown]
	v_and_b32_e32 v27, -2, v19
	v_cndmask_b32_e64 v20, v20, v28, s1
	v_cmp_le_u32_e64 s1, s2, v21
	s_delay_alu instid0(VALU_DEP_3) | instskip(NEXT) | instid1(VALU_DEP_3)
	v_add_nc_u32_e32 v19, v9, v27
	v_and_b32_e32 v28, -2, v20
	s_delay_alu instid0(VALU_DEP_3) | instskip(SKIP_2) | instid1(VALU_DEP_3)
	v_cndmask_b32_e64 v21, v21, v29, s1
	v_cmp_le_u32_e64 s1, s2, v22
	v_add_nc_u32_e32 v20, v34, v27
	v_and_b32_e32 v29, -2, v21
	s_delay_alu instid0(VALU_DEP_3) | instskip(SKIP_2) | instid1(VALU_DEP_3)
	v_cndmask_b32_e64 v22, v22, v30, s1
	v_cmp_le_u32_e64 s1, s2, v23
	;; [unrolled: 5-line block ×3, first 2 shown]
	v_add_nc_u32_e32 v22, v34, v28
	v_and_b32_e32 v31, -2, v23
	s_delay_alu instid0(VALU_DEP_3) | instskip(SKIP_2) | instid1(VALU_DEP_4)
	v_cndmask_b32_e64 v24, v24, v32, s1
	v_cmp_le_u32_e64 s1, s2, v25
	v_add_nc_u32_e32 v23, v9, v29
	v_add_nc_u32_e32 v27, v9, v31
	s_delay_alu instid0(VALU_DEP_4) | instskip(NEXT) | instid1(VALU_DEP_4)
	v_and_b32_e32 v32, -2, v24
	v_cndmask_b32_e64 v25, v25, v33, s1
	v_cmp_le_u32_e64 s1, s2, v26
	v_add_nc_u32_e32 v24, v34, v29
	v_add_nc_u32_e32 v28, v34, v31
	;; [unrolled: 1-line block ×3, first 2 shown]
	v_and_b32_e32 v33, -2, v25
	v_cndmask_b32_e64 v26, v26, v35, s1
	v_add_nc_u32_e32 v25, v9, v30
	s_delay_alu instid0(VALU_DEP_3) | instskip(NEXT) | instid1(VALU_DEP_3)
	v_add_nc_u32_e32 v31, v9, v33
	v_and_b32_e32 v35, -2, v26
	v_add_nc_u32_e32 v26, v34, v30
	v_add_nc_u32_e32 v30, v34, v32
	v_add_nc_u32_e32 v32, v34, v33
	s_delay_alu instid0(VALU_DEP_4)
	v_add_nc_u32_e32 v33, v9, v35
	v_add_nc_u32_e32 v34, v34, v35
	s_waitcnt vmcnt(1)
	v_lshrrev_b32_e32 v35, 16, v0
	v_lshrrev_b32_e32 v36, 16, v1
	;; [unrolled: 1-line block ×4, first 2 shown]
	s_waitcnt vmcnt(0)
	v_lshrrev_b32_e32 v39, 16, v4
	v_lshrrev_b32_e32 v40, 16, v5
	;; [unrolled: 1-line block ×4, first 2 shown]
	s_branch .LBB41_10
.LBB41_9:                               ;   in Loop: Header=BB41_10 Depth=1
	s_or_b32 exec_lo, exec_lo, s1
	v_ashrrev_i32_e32 v9, 31, v8
	v_cvt_f16_f32_e32 v51, v47
	v_cvt_f16_f32_e32 v52, v48
	;; [unrolled: 1-line block ×4, first 2 shown]
	v_lshlrev_b64 v[47:48], 1, v[8:9]
	v_cvt_f16_f32_e32 v9, v43
	v_cvt_f16_f32_e32 v43, v44
	;; [unrolled: 1-line block ×4, first 2 shown]
	s_add_i32 s4, s4, 1
	v_add_co_u32 v47, s1, s12, v47
	s_delay_alu instid0(VALU_DEP_1)
	v_add_co_ci_u32_e64 v48, s1, s13, v48, s1
	v_cmp_ge_i32_e64 s1, s4, v11
	v_pack_b32_f16 v46, v44, v45
	v_pack_b32_f16 v45, v9, v43
	;; [unrolled: 1-line block ×4, first 2 shown]
	v_add_nc_u32_e32 v8, 0x100, v8
	v_add_nc_u32_e32 v12, 0x200, v12
	s_or_b32 s3, s1, s3
	global_store_b128 v[47:48], v[43:46], off
	s_and_not1_b32 exec_lo, exec_lo, s3
	s_cbranch_execz .LBB41_12
.LBB41_10:                              ; =>This Inner Loop Header: Depth=1
	ds_load_b128 v[43:46], v12
	v_add_nc_u32_e32 v49, s4, v10
	s_delay_alu instid0(VALU_DEP_1) | instskip(NEXT) | instid1(VALU_DEP_1)
	v_cmp_gt_i32_e64 s1, s16, v49
	v_cndmask_b32_e64 v50, v39, v35, s1
	v_cndmask_b32_e64 v52, v40, v36, s1
	;; [unrolled: 1-line block ×5, first 2 shown]
	v_cvt_f32_f16_e32 v50, v50
	v_cndmask_b32_e64 v55, v42, v38, s1
	v_cvt_f32_f16_e32 v52, v52
	v_cvt_f32_f16_e32 v51, v51
	s_waitcnt lgkmcnt(0)
	v_lshrrev_b32_e32 v9, 16, v43
	v_cvt_f32_f16_e32 v58, v45
	v_cvt_f32_f16_e32 v53, v53
	;; [unrolled: 1-line block ×6, first 2 shown]
	v_lshrrev_b32_e32 v59, 16, v46
	s_delay_alu instid0(VALU_DEP_3) | instskip(NEXT) | instid1(VALU_DEP_1)
	v_mul_f32_e32 v47, v9, v9
	v_fma_mix_f32 v47, v43, v43, v47 op_sel_hi:[1,1,0]
	v_cvt_f32_f16_e32 v43, v43
	s_delay_alu instid0(VALU_DEP_2) | instskip(NEXT) | instid1(VALU_DEP_1)
	v_fma_mix_f32 v47, v44, v44, v47 op_sel_hi:[1,1,0]
	v_fma_mix_f32 v47, v44, v44, v47 op_sel:[1,1,0] op_sel_hi:[1,1,0]
	v_lshrrev_b32_e32 v44, 16, v44
	s_delay_alu instid0(VALU_DEP_2) | instskip(NEXT) | instid1(VALU_DEP_2)
	v_fma_mix_f32 v47, v45, v45, v47 op_sel_hi:[1,1,0]
	v_cvt_f32_f16_e32 v44, v44
	s_delay_alu instid0(VALU_DEP_2) | instskip(SKIP_1) | instid1(VALU_DEP_2)
	v_fma_mix_f32 v47, v45, v45, v47 op_sel:[1,1,0] op_sel_hi:[1,1,0]
	v_lshrrev_b32_e32 v45, 16, v45
	v_fma_mix_f32 v47, v46, v46, v47 op_sel_hi:[1,1,0]
	s_delay_alu instid0(VALU_DEP_2) | instskip(NEXT) | instid1(VALU_DEP_2)
	v_cvt_f32_f16_e32 v45, v45
	v_fma_mix_f32 v47, v46, v46, v47 op_sel:[1,1,0] op_sel_hi:[1,1,0]
	v_cvt_f32_f16_e32 v46, v46
	ds_bpermute_b32 v48, v13, v47
	s_waitcnt lgkmcnt(0)
	v_add_f32_e32 v47, v47, v48
	ds_bpermute_b32 v48, v14, v47
	s_waitcnt lgkmcnt(0)
	v_add_f32_e32 v47, v47, v48
	;; [unrolled: 3-line block ×5, first 2 shown]
	v_cndmask_b32_e64 v48, v4, v0, s1
	s_delay_alu instid0(VALU_DEP_2) | instskip(NEXT) | instid1(VALU_DEP_2)
	v_fma_f32 v47, 0x3b800000, v47, s19
	v_cvt_f32_f16_e32 v48, v48
	s_delay_alu instid0(VALU_DEP_2) | instskip(SKIP_1) | instid1(VALU_DEP_1)
	v_mul_f32_e32 v49, 0x4b800000, v47
	v_cmp_gt_f32_e64 s2, 0x800000, v47
	v_cndmask_b32_e64 v47, v47, v49, s2
	v_cndmask_b32_e64 v49, v6, v2, s1
	s_delay_alu instid0(VALU_DEP_2) | instskip(NEXT) | instid1(VALU_DEP_1)
	v_rsq_f32_e32 v47, v47
	v_cvt_f32_f16_e32 v49, v49
	s_waitcnt_depctr 0xfff
	v_mul_f32_e32 v57, 0x45800000, v47
	s_delay_alu instid0(VALU_DEP_1) | instskip(SKIP_1) | instid1(VALU_DEP_2)
	v_cndmask_b32_e64 v47, v47, v57, s2
	v_cvt_f32_f16_e32 v57, v59
	v_mul_f32_e32 v52, v47, v52
	v_mul_f32_e32 v48, v47, v48
	;; [unrolled: 1-line block ×8, first 2 shown]
	v_dual_mul_f32 v47, v48, v43 :: v_dual_mul_f32 v48, v50, v9
	v_mul_f32_e32 v49, v51, v56
	v_dual_mul_f32 v50, v52, v44 :: v_dual_mul_f32 v43, v59, v58
	v_dual_mul_f32 v44, v53, v45 :: v_dual_mul_f32 v45, v54, v46
	v_mul_f32_e32 v46, v55, v57
	s_and_saveexec_b32 s1, vcc_lo
	s_cbranch_execz .LBB41_9
; %bb.11:                               ;   in Loop: Header=BB41_10 Depth=1
	; wave barrier
	ds_bpermute_b32 v9, v18, v47
	ds_load_u16 v51, v20
	ds_load_u16 v53, v22
	ds_bpermute_b32 v52, v18, v48
	ds_bpermute_b32 v54, v18, v49
	ds_load_u16 v55, v24
	ds_load_u16 v56, v19
	;; [unrolled: 1-line block ×4, first 2 shown]
	ds_bpermute_b32 v59, v18, v50
	ds_load_u16 v60, v25
	ds_load_u16 v61, v26
	ds_bpermute_b32 v62, v18, v43
	ds_load_u16 v63, v28
	ds_load_u16 v65, v30
	;; [unrolled: 1-line block ×3, first 2 shown]
	ds_bpermute_b32 v64, v18, v44
	ds_bpermute_b32 v66, v18, v45
	;; [unrolled: 1-line block ×3, first 2 shown]
	ds_load_u16 v69, v34
	ds_load_u16 v70, v27
	;; [unrolled: 1-line block ×3, first 2 shown]
	s_waitcnt lgkmcnt(21)
	v_cndmask_b32_e64 v9, v9, -v9, s0
	s_waitcnt lgkmcnt(20)
	v_cvt_f32_f16_e32 v51, v51
	s_waitcnt lgkmcnt(19)
	v_cvt_f32_f16_e32 v53, v53
	s_waitcnt lgkmcnt(18)
	v_cndmask_b32_e64 v52, v52, -v52, s0
	s_waitcnt lgkmcnt(17)
	v_cndmask_b32_e64 v54, v54, -v54, s0
	s_waitcnt lgkmcnt(16)
	v_cvt_f32_f16_e32 v55, v55
	v_mul_f32_e32 v9, v9, v51
	s_delay_alu instid0(VALU_DEP_2)
	v_dual_mul_f32 v51, v52, v53 :: v_dual_mul_f32 v52, v54, v55
	ds_load_u16 v53, v31
	ds_load_u16 v54, v33
	s_waitcnt lgkmcnt(17)
	v_fma_mix_f32 v47, v47, v56, v9 op_sel_hi:[0,1,0]
	s_waitcnt lgkmcnt(16)
	v_fma_mix_f32 v48, v48, v57, v51 op_sel_hi:[0,1,0]
	s_waitcnt lgkmcnt(14)
	v_cndmask_b32_e64 v9, v59, -v59, s0
	v_fma_mix_f32 v49, v49, v58, v52 op_sel_hi:[0,1,0]
	s_waitcnt lgkmcnt(12)
	v_cvt_f32_f16_e32 v51, v61
	s_waitcnt lgkmcnt(11)
	v_cndmask_b32_e64 v52, v62, -v62, s0
	s_waitcnt lgkmcnt(10)
	v_cvt_f32_f16_e32 v55, v63
	s_waitcnt lgkmcnt(7)
	v_cndmask_b32_e64 v56, v64, -v64, s0
	v_cvt_f32_f16_e32 v57, v65
	s_waitcnt lgkmcnt(6)
	v_cndmask_b32_e64 v58, v66, -v66, s0
	v_cvt_f32_f16_e32 v59, v67
	s_waitcnt lgkmcnt(5)
	v_cndmask_b32_e64 v61, v68, -v68, s0
	s_waitcnt lgkmcnt(4)
	v_cvt_f32_f16_e32 v62, v69
	v_mul_f32_e32 v9, v9, v51
	v_mul_f32_e32 v51, v52, v55
	v_dual_mul_f32 v52, v56, v57 :: v_dual_mul_f32 v55, v58, v59
	s_delay_alu instid0(VALU_DEP_4) | instskip(NEXT) | instid1(VALU_DEP_4)
	v_mul_f32_e32 v56, v61, v62
	v_fma_mix_f32 v50, v50, v60, v9 op_sel_hi:[0,1,0]
	s_waitcnt lgkmcnt(3)
	v_fma_mix_f32 v43, v43, v70, v51 op_sel_hi:[0,1,0]
	s_waitcnt lgkmcnt(2)
	;; [unrolled: 2-line block ×4, first 2 shown]
	v_fma_mix_f32 v46, v46, v54, v56 op_sel_hi:[0,1,0]
	; wave barrier
	s_branch .LBB41_9
.LBB41_12:
	s_nop 0
	s_sendmsg sendmsg(MSG_DEALLOC_VGPRS)
	s_endpgm
	.section	.rodata,"a",@progbits
	.p2align	6, 0x0
	.amdhsa_kernel _ZN12tensorrt_llm7kernels32fusedQKNormRopeKernelNTokenHeadsIN3c104HalfES3_Li256ELb0ELi4EEEvPviiifPKvS6_S6_PKlii
		.amdhsa_group_segment_fixed_size 0
		.amdhsa_private_segment_fixed_size 0
		.amdhsa_kernarg_size 320
		.amdhsa_user_sgpr_count 15
		.amdhsa_user_sgpr_dispatch_ptr 0
		.amdhsa_user_sgpr_queue_ptr 0
		.amdhsa_user_sgpr_kernarg_segment_ptr 1
		.amdhsa_user_sgpr_dispatch_id 0
		.amdhsa_user_sgpr_private_segment_size 0
		.amdhsa_wavefront_size32 1
		.amdhsa_uses_dynamic_stack 0
		.amdhsa_enable_private_segment 0
		.amdhsa_system_sgpr_workgroup_id_x 1
		.amdhsa_system_sgpr_workgroup_id_y 0
		.amdhsa_system_sgpr_workgroup_id_z 0
		.amdhsa_system_sgpr_workgroup_info 0
		.amdhsa_system_vgpr_workitem_id 0
		.amdhsa_next_free_vgpr 72
		.amdhsa_next_free_sgpr 21
		.amdhsa_reserve_vcc 1
		.amdhsa_float_round_mode_32 0
		.amdhsa_float_round_mode_16_64 0
		.amdhsa_float_denorm_mode_32 3
		.amdhsa_float_denorm_mode_16_64 3
		.amdhsa_dx10_clamp 1
		.amdhsa_ieee_mode 1
		.amdhsa_fp16_overflow 0
		.amdhsa_workgroup_processor_mode 1
		.amdhsa_memory_ordered 1
		.amdhsa_forward_progress 0
		.amdhsa_shared_vgpr_count 0
		.amdhsa_exception_fp_ieee_invalid_op 0
		.amdhsa_exception_fp_denorm_src 0
		.amdhsa_exception_fp_ieee_div_zero 0
		.amdhsa_exception_fp_ieee_overflow 0
		.amdhsa_exception_fp_ieee_underflow 0
		.amdhsa_exception_fp_ieee_inexact 0
		.amdhsa_exception_int_div_zero 0
	.end_amdhsa_kernel
	.section	.text._ZN12tensorrt_llm7kernels32fusedQKNormRopeKernelNTokenHeadsIN3c104HalfES3_Li256ELb0ELi4EEEvPviiifPKvS6_S6_PKlii,"axG",@progbits,_ZN12tensorrt_llm7kernels32fusedQKNormRopeKernelNTokenHeadsIN3c104HalfES3_Li256ELb0ELi4EEEvPviiifPKvS6_S6_PKlii,comdat
.Lfunc_end41:
	.size	_ZN12tensorrt_llm7kernels32fusedQKNormRopeKernelNTokenHeadsIN3c104HalfES3_Li256ELb0ELi4EEEvPviiifPKvS6_S6_PKlii, .Lfunc_end41-_ZN12tensorrt_llm7kernels32fusedQKNormRopeKernelNTokenHeadsIN3c104HalfES3_Li256ELb0ELi4EEEvPviiifPKvS6_S6_PKlii
                                        ; -- End function
	.section	.AMDGPU.csdata,"",@progbits
; Kernel info:
; codeLenInByte = 3028
; NumSgprs: 23
; NumVgprs: 72
; ScratchSize: 0
; MemoryBound: 0
; FloatMode: 240
; IeeeMode: 1
; LDSByteSize: 0 bytes/workgroup (compile time only)
; SGPRBlocks: 2
; VGPRBlocks: 8
; NumSGPRsForWavesPerEU: 23
; NumVGPRsForWavesPerEU: 72
; Occupancy: 16
; WaveLimiterHint : 0
; COMPUTE_PGM_RSRC2:SCRATCH_EN: 0
; COMPUTE_PGM_RSRC2:USER_SGPR: 15
; COMPUTE_PGM_RSRC2:TRAP_HANDLER: 0
; COMPUTE_PGM_RSRC2:TGID_X_EN: 1
; COMPUTE_PGM_RSRC2:TGID_Y_EN: 0
; COMPUTE_PGM_RSRC2:TGID_Z_EN: 0
; COMPUTE_PGM_RSRC2:TIDIG_COMP_CNT: 0
	.section	.text._ZN12tensorrt_llm7kernels32fusedQKNormRopeKernelNTokenHeadsIN3c104HalfES3_Li64ELb1ELi8EEEvPviiifPKvS6_S6_PKlii,"axG",@progbits,_ZN12tensorrt_llm7kernels32fusedQKNormRopeKernelNTokenHeadsIN3c104HalfES3_Li64ELb1ELi8EEEvPviiifPKvS6_S6_PKlii,comdat
	.protected	_ZN12tensorrt_llm7kernels32fusedQKNormRopeKernelNTokenHeadsIN3c104HalfES3_Li64ELb1ELi8EEEvPviiifPKvS6_S6_PKlii ; -- Begin function _ZN12tensorrt_llm7kernels32fusedQKNormRopeKernelNTokenHeadsIN3c104HalfES3_Li64ELb1ELi8EEEvPviiifPKvS6_S6_PKlii
	.globl	_ZN12tensorrt_llm7kernels32fusedQKNormRopeKernelNTokenHeadsIN3c104HalfES3_Li64ELb1ELi8EEEvPviiifPKvS6_S6_PKlii
	.p2align	8
	.type	_ZN12tensorrt_llm7kernels32fusedQKNormRopeKernelNTokenHeadsIN3c104HalfES3_Li64ELb1ELi8EEEvPviiifPKvS6_S6_PKlii,@function
_ZN12tensorrt_llm7kernels32fusedQKNormRopeKernelNTokenHeadsIN3c104HalfES3_Li64ELb1ELi8EEEvPviiifPKvS6_S6_PKlii: ; @_ZN12tensorrt_llm7kernels32fusedQKNormRopeKernelNTokenHeadsIN3c104HalfES3_Li64ELb1ELi8EEEvPviiifPKvS6_S6_PKlii
; %bb.0:
	s_clause 0x1
	s_load_b128 s[16:19], s[0:1], 0x8
	s_load_b64 s[2:3], s[0:1], 0x38
	v_lshrrev_b32_e32 v2, 5, v0
	s_waitcnt lgkmcnt(0)
	s_add_i32 s4, s17, s16
	s_delay_alu instid0(SALU_CYCLE_1) | instskip(NEXT) | instid1(SALU_CYCLE_1)
	s_add_i32 s5, s4, 7
	s_ashr_i32 s6, s5, 31
	s_delay_alu instid0(SALU_CYCLE_1) | instskip(NEXT) | instid1(SALU_CYCLE_1)
	s_lshr_b32 s6, s6, 29
	s_add_i32 s5, s5, s6
	s_delay_alu instid0(SALU_CYCLE_1) | instskip(SKIP_2) | instid1(SALU_CYCLE_1)
	s_ashr_i32 s14, s5, 3
	s_load_b32 s5, s[0:1], 0x4c
	s_abs_i32 s6, s14
	v_cvt_f32_u32_e32 v1, s6
	s_sub_i32 s7, 0, s6
	s_delay_alu instid0(VALU_DEP_1) | instskip(SKIP_4) | instid1(SALU_CYCLE_1)
	v_rcp_iflag_f32_e32 v1, v1
	s_waitcnt_depctr 0xfff
	v_mul_f32_e32 v1, 0x4f7ffffe, v1
	s_waitcnt lgkmcnt(0)
	s_bfe_u32 s5, s5, 0xb0005
	v_mad_u64_u32 v[3:4], null, s15, s5, v[2:3]
	s_delay_alu instid0(VALU_DEP_2) | instskip(NEXT) | instid1(VALU_DEP_1)
	v_cvt_u32_f32_e32 v1, v1
	v_mul_lo_u32 v5, s7, v1
	s_delay_alu instid0(VALU_DEP_1) | instskip(NEXT) | instid1(VALU_DEP_4)
	v_mul_hi_u32 v4, v1, v5
	v_sub_nc_u32_e32 v5, 0, v3
	s_delay_alu instid0(VALU_DEP_1) | instskip(NEXT) | instid1(VALU_DEP_3)
	v_max_i32_e32 v5, v3, v5
	v_add_nc_u32_e32 v1, v1, v4
	s_delay_alu instid0(VALU_DEP_1) | instskip(NEXT) | instid1(VALU_DEP_1)
	v_mul_hi_u32 v1, v5, v1
	v_mul_lo_u32 v4, v1, s6
	s_delay_alu instid0(VALU_DEP_1) | instskip(SKIP_1) | instid1(VALU_DEP_2)
	v_sub_nc_u32_e32 v4, v5, v4
	v_add_nc_u32_e32 v5, 1, v1
	v_subrev_nc_u32_e32 v6, s6, v4
	v_cmp_le_u32_e32 vcc_lo, s6, v4
	s_delay_alu instid0(VALU_DEP_2) | instskip(SKIP_1) | instid1(VALU_DEP_2)
	v_dual_cndmask_b32 v4, v4, v6 :: v_dual_cndmask_b32 v1, v1, v5
	v_xor_b32_e32 v5, s14, v3
	v_cmp_le_u32_e32 vcc_lo, s6, v4
	s_delay_alu instid0(VALU_DEP_3) | instskip(NEXT) | instid1(VALU_DEP_3)
	v_add_nc_u32_e32 v6, 1, v1
	v_ashrrev_i32_e32 v5, 31, v5
	s_delay_alu instid0(VALU_DEP_2) | instskip(NEXT) | instid1(VALU_DEP_1)
	v_cndmask_b32_e32 v1, v1, v6, vcc_lo
	v_xor_b32_e32 v1, v1, v5
	s_delay_alu instid0(VALU_DEP_1) | instskip(NEXT) | instid1(VALU_DEP_1)
	v_sub_nc_u32_e32 v1, v1, v5
	v_cmp_gt_i32_e32 vcc_lo, s2, v1
	s_and_saveexec_b32 s2, vcc_lo
	s_cbranch_execz .LBB42_12
; %bb.1:
	v_mul_lo_u32 v4, v1, s14
	s_load_b64 s[12:13], s[0:1], 0x0
	v_and_b32_e32 v7, 31, v0
	v_lshlrev_b32_e32 v9, 10, v2
	v_lshlrev_b32_e32 v0, 9, v3
	s_lshl_b32 s20, s3, 1
	s_delay_alu instid0(VALU_DEP_3) | instskip(SKIP_2) | instid1(VALU_DEP_1)
	v_lshlrev_b32_e32 v8, 2, v7
	v_sub_nc_u32_e32 v4, v3, v4
	s_mul_i32 s15, s20, s5
	v_lshlrev_b32_e32 v5, 3, v4
	s_delay_alu instid0(VALU_DEP_1) | instskip(SKIP_1) | instid1(VALU_DEP_2)
	v_add_nc_u32_e32 v4, 8, v5
	v_sub_nc_u32_e32 v6, s4, v5
	v_cmp_lt_i32_e32 vcc_lo, s4, v4
	s_delay_alu instid0(VALU_DEP_2) | instskip(NEXT) | instid1(VALU_DEP_1)
	v_cndmask_b32_e32 v6, 8, v6, vcc_lo
	v_cmp_lt_i32_e32 vcc_lo, 0, v6
	s_and_saveexec_b32 s4, vcc_lo
	s_cbranch_execz .LBB42_4
; %bb.2:
	s_add_i32 s2, s18, s17
	s_lshl_b32 s5, s14, 3
	s_add_i32 s2, s2, s16
	s_mov_b32 s6, 0
	s_sub_i32 s2, s2, s5
	s_mov_b32 s5, 0
	v_mul_lo_u32 v3, s2, v1
	s_add_i32 s2, s15, 0
	s_delay_alu instid0(SALU_CYCLE_1) | instskip(NEXT) | instid1(VALU_DEP_2)
	v_add3_u32 v10, s2, v9, v8
	v_lshl_add_u32 v3, v3, 6, v0
	s_delay_alu instid0(VALU_DEP_1)
	v_lshl_or_b32 v3, v7, 1, v3
	.p2align	6
.LBB42_3:                               ; =>This Inner Loop Header: Depth=1
	s_delay_alu instid0(VALU_DEP_1) | instskip(SKIP_1) | instid1(VALU_DEP_1)
	v_ashrrev_i32_e32 v4, 31, v3
	s_add_i32 s6, s6, 1
	v_lshlrev_b64 v[11:12], 1, v[3:4]
	v_add_nc_u32_e32 v3, 64, v3
	s_waitcnt lgkmcnt(0)
	s_delay_alu instid0(VALU_DEP_2) | instskip(NEXT) | instid1(VALU_DEP_1)
	v_add_co_u32 v11, s2, s12, v11
	v_add_co_ci_u32_e64 v12, s2, s13, v12, s2
	v_cmp_ge_i32_e64 s2, s6, v6
	global_load_b32 v4, v[11:12], off
	s_or_b32 s5, s2, s5
	s_waitcnt vmcnt(0)
	ds_store_b32 v10, v4
	v_add_nc_u32_e32 v10, 0x80, v10
	s_and_not1_b32 exec_lo, exec_lo, s5
	s_cbranch_execnz .LBB42_3
.LBB42_4:
	s_or_b32 exec_lo, exec_lo, s4
	s_load_b256 s[4:11], s[0:1], 0x18
	v_mul_lo_u32 v2, v2, s3
	s_add_i32 s0, s20, 15
	s_mov_b32 s20, exec_lo
	s_ashr_i32 s1, s0, 31
	s_delay_alu instid0(SALU_CYCLE_1) | instskip(NEXT) | instid1(SALU_CYCLE_1)
	s_lshr_b32 s1, s1, 28
	s_add_i32 s0, s0, s1
	s_delay_alu instid0(VALU_DEP_1) | instskip(SKIP_1) | instid1(SALU_CYCLE_1)
	v_lshlrev_b32_e32 v4, 1, v2
	s_ashr_i32 s2, s0, 4
	v_cmpx_gt_i32_e64 s2, v7
	s_cbranch_execz .LBB42_7
; %bb.5:
	v_ashrrev_i32_e32 v2, 31, v1
	s_delay_alu instid0(VALU_DEP_1) | instskip(SKIP_1) | instid1(VALU_DEP_1)
	v_lshlrev_b64 v[2:3], 3, v[1:2]
	s_waitcnt lgkmcnt(0)
	v_add_co_u32 v2, s0, s10, v2
	s_delay_alu instid0(VALU_DEP_1)
	v_add_co_ci_u32_e64 v3, s0, s11, v3, s0
	s_ashr_i32 s0, s3, 31
	global_load_b64 v[2:3], v[2:3], off
	s_waitcnt vmcnt(0)
	v_mul_lo_u32 v3, v3, s3
	v_mul_lo_u32 v12, v2, s0
	v_mad_u64_u32 v[10:11], null, v2, s3, 0
	s_delay_alu instid0(VALU_DEP_1) | instskip(NEXT) | instid1(VALU_DEP_1)
	v_add3_u32 v11, v11, v12, v3
	v_lshlrev_b64 v[2:3], 1, v[10:11]
	v_dual_mov_b32 v11, v7 :: v_dual_lshlrev_b32 v10, 4, v7
	s_delay_alu instid0(VALU_DEP_1) | instskip(NEXT) | instid1(VALU_DEP_1)
	v_add_co_u32 v2, s0, v2, v10
	v_add_co_ci_u32_e64 v3, s0, 0, v3, s0
	v_add3_u32 v10, v4, v10, 0
	s_delay_alu instid0(VALU_DEP_3) | instskip(NEXT) | instid1(VALU_DEP_1)
	v_add_co_u32 v2, s0, s8, v2
	v_add_co_ci_u32_e64 v3, s0, s9, v3, s0
	s_mov_b32 s8, 0
	.p2align	6
.LBB42_6:                               ; =>This Inner Loop Header: Depth=1
	global_load_b128 v[12:15], v[2:3], off
	v_add_nc_u32_e32 v11, 32, v11
	v_add_co_u32 v2, s0, 0x200, v2
	s_delay_alu instid0(VALU_DEP_1) | instskip(NEXT) | instid1(VALU_DEP_3)
	v_add_co_ci_u32_e64 v3, s0, 0, v3, s0
	v_cmp_le_i32_e64 s1, s2, v11
	s_delay_alu instid0(VALU_DEP_1)
	s_or_b32 s8, s1, s8
	s_waitcnt vmcnt(0)
	ds_store_b128 v10, v[12:15]
	v_add_nc_u32_e32 v10, 0x200, v10
	s_and_not1_b32 exec_lo, exec_lo, s8
	s_cbranch_execnz .LBB42_6
.LBB42_7:
	s_or_b32 exec_lo, exec_lo, s20
	s_delay_alu instid0(SALU_CYCLE_1)
	s_and_b32 exec_lo, exec_lo, vcc_lo
	s_cbranch_execz .LBB42_12
; %bb.8:
	s_waitcnt lgkmcnt(0)
	s_clause 0x1
	global_load_b32 v2, v8, s[4:5]
	global_load_b32 v3, v8, s[6:7]
	v_mbcnt_lo_u32_b32 v10, -1, 0
	s_lshr_b32 s0, s3, 31
	s_add_i32 s1, s18, s17
	s_lshl_b32 s2, s14, 3
	s_add_i32 s0, s3, s0
	v_xor_b32_e32 v11, 16, v10
	s_add_i32 s1, s1, s16
	s_ashr_i32 s3, s0, 1
	s_and_b32 s4, s0, -2
	s_sub_i32 s0, s1, s2
	v_add_nc_u32_e32 v9, s15, v9
	v_xor_b32_e32 v12, 8, v10
	v_mul_lo_u32 v1, s0, v1
	v_cmp_gt_i32_e64 s0, 32, v11
	v_xor_b32_e32 v13, 4, v10
	v_add3_u32 v8, v9, v8, 0
	v_xor_b32_e32 v15, 2, v10
	v_xor_b32_e32 v16, 1, v10
	v_cndmask_b32_e64 v9, v10, v11, s0
	v_cmp_gt_i32_e64 s0, 32, v12
	v_lshlrev_b32_e32 v14, 1, v7
	v_lshl_add_u32 v0, v1, 6, v0
	v_cmp_gt_i32_e32 vcc_lo, s3, v7
	v_lshlrev_b32_e32 v9, 2, v9
	v_cndmask_b32_e64 v11, v10, v12, s0
	v_cmp_gt_i32_e64 s0, 32, v13
	v_add3_u32 v4, 0, v4, v14
	v_or_b32_e32 v0, v0, v14
	s_mov_b32 s2, 0
	s_mov_b32 s3, 0
	v_cndmask_b32_e64 v12, v10, v13, s0
	v_cmp_gt_i32_e64 s0, 32, v15
	v_add_nc_u32_e32 v7, s4, v4
	s_delay_alu instid0(VALU_DEP_2) | instskip(SKIP_1) | instid1(VALU_DEP_1)
	v_cndmask_b32_e64 v13, v10, v15, s0
	v_cmp_gt_i32_e64 s0, 32, v16
	v_cndmask_b32_e64 v15, v10, v16, s0
	v_lshlrev_b32_e32 v10, 2, v11
	v_lshlrev_b32_e32 v11, 2, v12
	;; [unrolled: 1-line block ×3, first 2 shown]
	s_delay_alu instid0(VALU_DEP_4)
	v_lshlrev_b32_e32 v13, 2, v15
	s_waitcnt vmcnt(1)
	v_lshrrev_b32_e32 v14, 16, v2
	s_waitcnt vmcnt(0)
	v_lshrrev_b32_e32 v15, 16, v3
	s_branch .LBB42_10
.LBB42_9:                               ;   in Loop: Header=BB42_10 Depth=1
	s_or_b32 exec_lo, exec_lo, s0
	v_ashrrev_i32_e32 v1, 31, v0
	s_delay_alu instid0(VALU_DEP_2)
	v_cvt_f16_f32_e32 v18, v17
	v_cvt_f16_f32_e32 v19, v16
	s_add_i32 s3, s3, 1
	v_add_nc_u32_e32 v8, 0x80, v8
	v_lshlrev_b64 v[16:17], 1, v[0:1]
	v_cmp_ge_i32_e64 s0, s3, v6
	v_pack_b32_f16 v1, v18, v19
	v_add_nc_u32_e32 v0, 64, v0
	s_delay_alu instid0(VALU_DEP_3) | instskip(NEXT) | instid1(VALU_DEP_4)
	s_or_b32 s2, s0, s2
	v_add_co_u32 v16, s1, s12, v16
	s_delay_alu instid0(VALU_DEP_1)
	v_add_co_ci_u32_e64 v17, s1, s13, v17, s1
	global_store_b32 v[16:17], v1, off
	s_and_not1_b32 exec_lo, exec_lo, s2
	s_cbranch_execz .LBB42_12
.LBB42_10:                              ; =>This Inner Loop Header: Depth=1
	ds_load_b32 v1, v8
	s_waitcnt lgkmcnt(0)
	v_cvt_f32_f16_e32 v17, v1
	s_delay_alu instid0(VALU_DEP_1) | instskip(NEXT) | instid1(VALU_DEP_1)
	v_mul_f32_e32 v16, v17, v17
	v_fma_mix_f32 v16, v1, v1, v16 op_sel:[1,1,0] op_sel_hi:[1,1,0]
	v_lshrrev_b32_e32 v1, 16, v1
	ds_bpermute_b32 v18, v9, v16
	v_cvt_f32_f16_e32 v1, v1
	s_waitcnt lgkmcnt(0)
	v_add_f32_e32 v16, v16, v18
	ds_bpermute_b32 v18, v10, v16
	s_waitcnt lgkmcnt(0)
	v_add_f32_e32 v16, v16, v18
	ds_bpermute_b32 v18, v11, v16
	;; [unrolled: 3-line block ×4, first 2 shown]
	s_waitcnt lgkmcnt(0)
	v_add_f32_e32 v16, v16, v18
	s_delay_alu instid0(VALU_DEP_1) | instskip(NEXT) | instid1(VALU_DEP_1)
	v_fma_f32 v16, 0x3c800000, v16, s19
	v_mul_f32_e32 v18, 0x4b800000, v16
	v_cmp_gt_f32_e64 s0, 0x800000, v16
	s_delay_alu instid0(VALU_DEP_1) | instskip(NEXT) | instid1(VALU_DEP_1)
	v_cndmask_b32_e64 v16, v16, v18, s0
	v_rsq_f32_e32 v16, v16
	s_waitcnt_depctr 0xfff
	v_dual_mul_f32 v19, 0x45800000, v16 :: v_dual_add_nc_u32 v18, s3, v5
	s_delay_alu instid0(VALU_DEP_1) | instskip(NEXT) | instid1(VALU_DEP_2)
	v_cmp_gt_i32_e64 s1, s16, v18
	v_cndmask_b32_e64 v16, v16, v19, s0
	s_delay_alu instid0(VALU_DEP_2) | instskip(SKIP_1) | instid1(VALU_DEP_2)
	v_cndmask_b32_e64 v18, v15, v14, s1
	v_cndmask_b32_e64 v20, v3, v2, s1
	v_cvt_f32_f16_e32 v18, v18
	s_delay_alu instid0(VALU_DEP_2) | instskip(NEXT) | instid1(VALU_DEP_2)
	v_cvt_f32_f16_e32 v19, v20
	v_mul_f32_e32 v18, v16, v18
	s_delay_alu instid0(VALU_DEP_1) | instskip(NEXT) | instid1(VALU_DEP_1)
	v_dual_mul_f32 v19, v16, v19 :: v_dual_mul_f32 v16, v18, v1
	v_mul_f32_e32 v17, v19, v17
	s_and_saveexec_b32 s0, vcc_lo
	s_cbranch_execz .LBB42_9
; %bb.11:                               ;   in Loop: Header=BB42_10 Depth=1
	ds_load_u16 v1, v7
	ds_load_u16 v18, v4
	s_waitcnt lgkmcnt(1)
	v_cvt_f32_f16_e32 v19, v1
	s_waitcnt lgkmcnt(0)
	v_cvt_f32_f16_e32 v20, v18
	s_delay_alu instid0(VALU_DEP_2) | instskip(NEXT) | instid1(VALU_DEP_1)
	v_mul_f32_e32 v19, v16, v19
	v_fma_mix_f32 v18, v17, v18, -v19 op_sel_hi:[0,1,0]
	s_delay_alu instid0(VALU_DEP_3) | instskip(NEXT) | instid1(VALU_DEP_1)
	v_mul_f32_e32 v16, v16, v20
	v_fma_mix_f32 v16, v17, v1, v16 op_sel_hi:[0,1,0]
	s_delay_alu instid0(VALU_DEP_3)
	v_mov_b32_e32 v17, v18
	s_branch .LBB42_9
.LBB42_12:
	s_nop 0
	s_sendmsg sendmsg(MSG_DEALLOC_VGPRS)
	s_endpgm
	.section	.rodata,"a",@progbits
	.p2align	6, 0x0
	.amdhsa_kernel _ZN12tensorrt_llm7kernels32fusedQKNormRopeKernelNTokenHeadsIN3c104HalfES3_Li64ELb1ELi8EEEvPviiifPKvS6_S6_PKlii
		.amdhsa_group_segment_fixed_size 0
		.amdhsa_private_segment_fixed_size 0
		.amdhsa_kernarg_size 320
		.amdhsa_user_sgpr_count 15
		.amdhsa_user_sgpr_dispatch_ptr 0
		.amdhsa_user_sgpr_queue_ptr 0
		.amdhsa_user_sgpr_kernarg_segment_ptr 1
		.amdhsa_user_sgpr_dispatch_id 0
		.amdhsa_user_sgpr_private_segment_size 0
		.amdhsa_wavefront_size32 1
		.amdhsa_uses_dynamic_stack 0
		.amdhsa_enable_private_segment 0
		.amdhsa_system_sgpr_workgroup_id_x 1
		.amdhsa_system_sgpr_workgroup_id_y 0
		.amdhsa_system_sgpr_workgroup_id_z 0
		.amdhsa_system_sgpr_workgroup_info 0
		.amdhsa_system_vgpr_workitem_id 0
		.amdhsa_next_free_vgpr 21
		.amdhsa_next_free_sgpr 21
		.amdhsa_reserve_vcc 1
		.amdhsa_float_round_mode_32 0
		.amdhsa_float_round_mode_16_64 0
		.amdhsa_float_denorm_mode_32 3
		.amdhsa_float_denorm_mode_16_64 3
		.amdhsa_dx10_clamp 1
		.amdhsa_ieee_mode 1
		.amdhsa_fp16_overflow 0
		.amdhsa_workgroup_processor_mode 1
		.amdhsa_memory_ordered 1
		.amdhsa_forward_progress 0
		.amdhsa_shared_vgpr_count 0
		.amdhsa_exception_fp_ieee_invalid_op 0
		.amdhsa_exception_fp_denorm_src 0
		.amdhsa_exception_fp_ieee_div_zero 0
		.amdhsa_exception_fp_ieee_overflow 0
		.amdhsa_exception_fp_ieee_underflow 0
		.amdhsa_exception_fp_ieee_inexact 0
		.amdhsa_exception_int_div_zero 0
	.end_amdhsa_kernel
	.section	.text._ZN12tensorrt_llm7kernels32fusedQKNormRopeKernelNTokenHeadsIN3c104HalfES3_Li64ELb1ELi8EEEvPviiifPKvS6_S6_PKlii,"axG",@progbits,_ZN12tensorrt_llm7kernels32fusedQKNormRopeKernelNTokenHeadsIN3c104HalfES3_Li64ELb1ELi8EEEvPviiifPKvS6_S6_PKlii,comdat
.Lfunc_end42:
	.size	_ZN12tensorrt_llm7kernels32fusedQKNormRopeKernelNTokenHeadsIN3c104HalfES3_Li64ELb1ELi8EEEvPviiifPKvS6_S6_PKlii, .Lfunc_end42-_ZN12tensorrt_llm7kernels32fusedQKNormRopeKernelNTokenHeadsIN3c104HalfES3_Li64ELb1ELi8EEEvPviiifPKvS6_S6_PKlii
                                        ; -- End function
	.section	.AMDGPU.csdata,"",@progbits
; Kernel info:
; codeLenInByte = 1580
; NumSgprs: 23
; NumVgprs: 21
; ScratchSize: 0
; MemoryBound: 0
; FloatMode: 240
; IeeeMode: 1
; LDSByteSize: 0 bytes/workgroup (compile time only)
; SGPRBlocks: 2
; VGPRBlocks: 2
; NumSGPRsForWavesPerEU: 23
; NumVGPRsForWavesPerEU: 21
; Occupancy: 16
; WaveLimiterHint : 0
; COMPUTE_PGM_RSRC2:SCRATCH_EN: 0
; COMPUTE_PGM_RSRC2:USER_SGPR: 15
; COMPUTE_PGM_RSRC2:TRAP_HANDLER: 0
; COMPUTE_PGM_RSRC2:TGID_X_EN: 1
; COMPUTE_PGM_RSRC2:TGID_Y_EN: 0
; COMPUTE_PGM_RSRC2:TGID_Z_EN: 0
; COMPUTE_PGM_RSRC2:TIDIG_COMP_CNT: 0
	.section	.text._ZN12tensorrt_llm7kernels32fusedQKNormRopeKernelNTokenHeadsIN3c104HalfES3_Li64ELb0ELi8EEEvPviiifPKvS6_S6_PKlii,"axG",@progbits,_ZN12tensorrt_llm7kernels32fusedQKNormRopeKernelNTokenHeadsIN3c104HalfES3_Li64ELb0ELi8EEEvPviiifPKvS6_S6_PKlii,comdat
	.protected	_ZN12tensorrt_llm7kernels32fusedQKNormRopeKernelNTokenHeadsIN3c104HalfES3_Li64ELb0ELi8EEEvPviiifPKvS6_S6_PKlii ; -- Begin function _ZN12tensorrt_llm7kernels32fusedQKNormRopeKernelNTokenHeadsIN3c104HalfES3_Li64ELb0ELi8EEEvPviiifPKvS6_S6_PKlii
	.globl	_ZN12tensorrt_llm7kernels32fusedQKNormRopeKernelNTokenHeadsIN3c104HalfES3_Li64ELb0ELi8EEEvPviiifPKvS6_S6_PKlii
	.p2align	8
	.type	_ZN12tensorrt_llm7kernels32fusedQKNormRopeKernelNTokenHeadsIN3c104HalfES3_Li64ELb0ELi8EEEvPviiifPKvS6_S6_PKlii,@function
_ZN12tensorrt_llm7kernels32fusedQKNormRopeKernelNTokenHeadsIN3c104HalfES3_Li64ELb0ELi8EEEvPviiifPKvS6_S6_PKlii: ; @_ZN12tensorrt_llm7kernels32fusedQKNormRopeKernelNTokenHeadsIN3c104HalfES3_Li64ELb0ELi8EEEvPviiifPKvS6_S6_PKlii
; %bb.0:
	s_clause 0x1
	s_load_b128 s[16:19], s[0:1], 0x8
	s_load_b64 s[2:3], s[0:1], 0x38
	v_lshrrev_b32_e32 v2, 5, v0
	s_waitcnt lgkmcnt(0)
	s_add_i32 s4, s17, s16
	s_delay_alu instid0(SALU_CYCLE_1) | instskip(NEXT) | instid1(SALU_CYCLE_1)
	s_add_i32 s5, s4, 7
	s_ashr_i32 s6, s5, 31
	s_delay_alu instid0(SALU_CYCLE_1) | instskip(NEXT) | instid1(SALU_CYCLE_1)
	s_lshr_b32 s6, s6, 29
	s_add_i32 s5, s5, s6
	s_delay_alu instid0(SALU_CYCLE_1) | instskip(SKIP_2) | instid1(SALU_CYCLE_1)
	s_ashr_i32 s14, s5, 3
	s_load_b32 s5, s[0:1], 0x4c
	s_abs_i32 s6, s14
	v_cvt_f32_u32_e32 v1, s6
	s_sub_i32 s7, 0, s6
	s_delay_alu instid0(VALU_DEP_1) | instskip(SKIP_4) | instid1(SALU_CYCLE_1)
	v_rcp_iflag_f32_e32 v1, v1
	s_waitcnt_depctr 0xfff
	v_mul_f32_e32 v1, 0x4f7ffffe, v1
	s_waitcnt lgkmcnt(0)
	s_bfe_u32 s5, s5, 0xb0005
	v_mad_u64_u32 v[3:4], null, s15, s5, v[2:3]
	s_delay_alu instid0(VALU_DEP_2) | instskip(NEXT) | instid1(VALU_DEP_1)
	v_cvt_u32_f32_e32 v1, v1
	v_mul_lo_u32 v5, s7, v1
	s_delay_alu instid0(VALU_DEP_1) | instskip(NEXT) | instid1(VALU_DEP_4)
	v_mul_hi_u32 v4, v1, v5
	v_sub_nc_u32_e32 v5, 0, v3
	s_delay_alu instid0(VALU_DEP_1) | instskip(NEXT) | instid1(VALU_DEP_3)
	v_max_i32_e32 v5, v3, v5
	v_add_nc_u32_e32 v1, v1, v4
	s_delay_alu instid0(VALU_DEP_1) | instskip(NEXT) | instid1(VALU_DEP_1)
	v_mul_hi_u32 v1, v5, v1
	v_mul_lo_u32 v4, v1, s6
	s_delay_alu instid0(VALU_DEP_1) | instskip(SKIP_1) | instid1(VALU_DEP_2)
	v_sub_nc_u32_e32 v4, v5, v4
	v_add_nc_u32_e32 v5, 1, v1
	v_subrev_nc_u32_e32 v6, s6, v4
	v_cmp_le_u32_e32 vcc_lo, s6, v4
	s_delay_alu instid0(VALU_DEP_2) | instskip(SKIP_1) | instid1(VALU_DEP_2)
	v_dual_cndmask_b32 v4, v4, v6 :: v_dual_cndmask_b32 v1, v1, v5
	v_xor_b32_e32 v5, s14, v3
	v_cmp_le_u32_e32 vcc_lo, s6, v4
	s_delay_alu instid0(VALU_DEP_3) | instskip(NEXT) | instid1(VALU_DEP_3)
	v_add_nc_u32_e32 v6, 1, v1
	v_ashrrev_i32_e32 v5, 31, v5
	s_delay_alu instid0(VALU_DEP_2) | instskip(NEXT) | instid1(VALU_DEP_1)
	v_cndmask_b32_e32 v1, v1, v6, vcc_lo
	v_xor_b32_e32 v1, v1, v5
	s_delay_alu instid0(VALU_DEP_1) | instskip(NEXT) | instid1(VALU_DEP_1)
	v_sub_nc_u32_e32 v1, v1, v5
	v_cmp_gt_i32_e32 vcc_lo, s2, v1
	s_and_saveexec_b32 s2, vcc_lo
	s_cbranch_execz .LBB43_12
; %bb.1:
	v_mul_lo_u32 v4, v1, s14
	s_load_b64 s[12:13], s[0:1], 0x0
	v_and_b32_e32 v0, 31, v0
	v_lshlrev_b32_e32 v9, 10, v2
	v_lshlrev_b32_e32 v8, 9, v3
	s_lshl_b32 s20, s3, 1
	s_delay_alu instid0(VALU_DEP_3) | instskip(SKIP_2) | instid1(VALU_DEP_1)
	v_lshlrev_b32_e32 v7, 2, v0
	v_sub_nc_u32_e32 v4, v3, v4
	s_mul_i32 s15, s20, s5
	v_lshlrev_b32_e32 v5, 3, v4
	s_delay_alu instid0(VALU_DEP_1) | instskip(SKIP_1) | instid1(VALU_DEP_2)
	v_add_nc_u32_e32 v4, 8, v5
	v_sub_nc_u32_e32 v6, s4, v5
	v_cmp_lt_i32_e32 vcc_lo, s4, v4
	s_delay_alu instid0(VALU_DEP_2) | instskip(NEXT) | instid1(VALU_DEP_1)
	v_cndmask_b32_e32 v6, 8, v6, vcc_lo
	v_cmp_lt_i32_e32 vcc_lo, 0, v6
	s_and_saveexec_b32 s4, vcc_lo
	s_cbranch_execz .LBB43_4
; %bb.2:
	s_add_i32 s2, s18, s17
	s_lshl_b32 s5, s14, 3
	s_add_i32 s2, s2, s16
	s_mov_b32 s6, 0
	s_sub_i32 s2, s2, s5
	s_mov_b32 s5, 0
	v_mul_lo_u32 v3, s2, v1
	s_add_i32 s2, s15, 0
	s_delay_alu instid0(SALU_CYCLE_1) | instskip(NEXT) | instid1(VALU_DEP_2)
	v_add3_u32 v10, s2, v9, v7
	v_lshl_add_u32 v3, v3, 6, v8
	s_delay_alu instid0(VALU_DEP_1)
	v_lshl_or_b32 v3, v0, 1, v3
	.p2align	6
.LBB43_3:                               ; =>This Inner Loop Header: Depth=1
	s_delay_alu instid0(VALU_DEP_1) | instskip(SKIP_1) | instid1(VALU_DEP_1)
	v_ashrrev_i32_e32 v4, 31, v3
	s_add_i32 s6, s6, 1
	v_lshlrev_b64 v[11:12], 1, v[3:4]
	v_add_nc_u32_e32 v3, 64, v3
	s_waitcnt lgkmcnt(0)
	s_delay_alu instid0(VALU_DEP_2) | instskip(NEXT) | instid1(VALU_DEP_1)
	v_add_co_u32 v11, s2, s12, v11
	v_add_co_ci_u32_e64 v12, s2, s13, v12, s2
	v_cmp_ge_i32_e64 s2, s6, v6
	global_load_b32 v4, v[11:12], off
	s_or_b32 s5, s2, s5
	s_waitcnt vmcnt(0)
	ds_store_b32 v10, v4
	v_add_nc_u32_e32 v10, 0x80, v10
	s_and_not1_b32 exec_lo, exec_lo, s5
	s_cbranch_execnz .LBB43_3
.LBB43_4:
	s_or_b32 exec_lo, exec_lo, s4
	s_load_b256 s[4:11], s[0:1], 0x18
	s_add_i32 s0, s20, 15
	v_mul_lo_u32 v4, v2, s3
	s_ashr_i32 s1, s0, 31
	s_mov_b32 s20, exec_lo
	s_lshr_b32 s1, s1, 28
	s_delay_alu instid0(SALU_CYCLE_1) | instskip(NEXT) | instid1(SALU_CYCLE_1)
	s_add_i32 s0, s0, s1
	s_ashr_i32 s2, s0, 4
	s_delay_alu instid0(SALU_CYCLE_1)
	v_cmpx_gt_i32_e64 s2, v0
	s_cbranch_execz .LBB43_7
; %bb.5:
	v_ashrrev_i32_e32 v2, 31, v1
	s_delay_alu instid0(VALU_DEP_1) | instskip(SKIP_1) | instid1(VALU_DEP_1)
	v_lshlrev_b64 v[2:3], 3, v[1:2]
	s_waitcnt lgkmcnt(0)
	v_add_co_u32 v2, s0, s10, v2
	s_delay_alu instid0(VALU_DEP_1)
	v_add_co_ci_u32_e64 v3, s0, s11, v3, s0
	s_ashr_i32 s0, s3, 31
	global_load_b64 v[2:3], v[2:3], off
	s_waitcnt vmcnt(0)
	v_mul_lo_u32 v3, v3, s3
	v_mul_lo_u32 v12, v2, s0
	v_mad_u64_u32 v[10:11], null, v2, s3, 0
	s_delay_alu instid0(VALU_DEP_1) | instskip(NEXT) | instid1(VALU_DEP_1)
	v_add3_u32 v11, v11, v12, v3
	v_lshlrev_b64 v[2:3], 1, v[10:11]
	v_lshlrev_b32_e32 v10, 4, v0
	v_lshlrev_b32_e32 v11, 1, v4
	s_delay_alu instid0(VALU_DEP_2) | instskip(NEXT) | instid1(VALU_DEP_1)
	v_add_co_u32 v2, s0, v2, v10
	v_add_co_ci_u32_e64 v3, s0, 0, v3, s0
	s_delay_alu instid0(VALU_DEP_3) | instskip(SKIP_1) | instid1(VALU_DEP_4)
	v_add3_u32 v10, v11, v10, 0
	v_mov_b32_e32 v11, v0
	v_add_co_u32 v2, s0, s8, v2
	s_delay_alu instid0(VALU_DEP_1)
	v_add_co_ci_u32_e64 v3, s0, s9, v3, s0
	s_mov_b32 s8, 0
	.p2align	6
.LBB43_6:                               ; =>This Inner Loop Header: Depth=1
	global_load_b128 v[12:15], v[2:3], off
	v_add_nc_u32_e32 v11, 32, v11
	v_add_co_u32 v2, s0, 0x200, v2
	s_delay_alu instid0(VALU_DEP_1) | instskip(NEXT) | instid1(VALU_DEP_3)
	v_add_co_ci_u32_e64 v3, s0, 0, v3, s0
	v_cmp_le_i32_e64 s1, s2, v11
	s_delay_alu instid0(VALU_DEP_1)
	s_or_b32 s8, s1, s8
	s_waitcnt vmcnt(0)
	ds_store_b128 v10, v[12:15]
	v_add_nc_u32_e32 v10, 0x200, v10
	s_and_not1_b32 exec_lo, exec_lo, s8
	s_cbranch_execnz .LBB43_6
.LBB43_7:
	s_or_b32 exec_lo, exec_lo, s20
	s_delay_alu instid0(SALU_CYCLE_1)
	s_and_b32 exec_lo, exec_lo, vcc_lo
	s_cbranch_execz .LBB43_12
; %bb.8:
	s_waitcnt lgkmcnt(0)
	s_clause 0x1
	global_load_b32 v2, v7, s[4:5]
	global_load_b32 v3, v7, s[6:7]
	s_abs_i32 s2, s3
	v_lshl_add_u32 v15, v4, 1, 0
	v_cvt_f32_u32_e32 v10, s2
	s_sub_i32 s0, 0, s2
	v_mbcnt_lo_u32_b32 v4, -1, 0
	v_or_b32_e32 v12, 2, v7
	s_add_i32 s1, s18, s17
	v_rcp_iflag_f32_e32 v10, v10
	s_lshl_b32 s4, s14, 3
	s_add_i32 s1, s1, s16
	v_xor_b32_e32 v13, 4, v4
	s_sub_i32 s1, s1, s4
	v_xor_b32_e32 v16, 2, v4
	v_mul_lo_u32 v1, s1, v1
	v_xor_b32_e32 v17, 1, v4
	s_mov_b32 s4, 0
	s_waitcnt_depctr 0xfff
	v_dual_mul_f32 v10, 0x4f7ffffe, v10 :: v_dual_add_nc_u32 v19, s15, v9
	v_lshl_add_u32 v1, v1, 6, v8
	s_delay_alu instid0(VALU_DEP_2) | instskip(NEXT) | instid1(VALU_DEP_1)
	v_cvt_u32_f32_e32 v10, v10
	v_mul_lo_u32 v11, s0, v10
	s_lshr_b32 s0, s3, 31
	s_delay_alu instid0(SALU_CYCLE_1) | instskip(NEXT) | instid1(SALU_CYCLE_1)
	s_add_i32 s0, s3, s0
	s_ashr_i32 s3, s0, 1
	s_and_b32 s0, s0, -2
	v_cmp_gt_i32_e32 vcc_lo, s3, v0
	s_delay_alu instid0(VALU_DEP_2)
	v_mul_hi_u32 v11, v10, v11
	v_add_nc_u32_e32 v18, s0, v15
	s_lshr_b32 s0, s3, 1
	s_mov_b32 s3, 0
	v_xor_b32_e32 v20, s0, v4
	v_cmp_gt_u32_e64 s0, s0, v0
	v_lshl_or_b32 v0, v0, 1, v1
	v_add_nc_u32_e32 v9, v10, v11
	v_xor_b32_e32 v10, 16, v4
	v_xor_b32_e32 v11, 8, v4
	s_delay_alu instid0(VALU_DEP_3) | instskip(SKIP_1) | instid1(VALU_DEP_4)
	v_mul_hi_u32 v14, v7, v9
	v_mul_hi_u32 v9, v12, v9
	v_cmp_gt_i32_e64 s1, 32, v10
	s_delay_alu instid0(VALU_DEP_1) | instskip(SKIP_1) | instid1(VALU_DEP_4)
	v_cndmask_b32_e64 v10, v4, v10, s1
	v_cmp_gt_i32_e64 s1, 32, v11
	v_mul_lo_u32 v9, v9, s2
	v_mul_lo_u32 v14, v14, s2
	s_delay_alu instid0(VALU_DEP_3) | instskip(SKIP_1) | instid1(VALU_DEP_4)
	v_cndmask_b32_e64 v11, v4, v11, s1
	v_cmp_gt_i32_e64 s1, 32, v13
	v_sub_nc_u32_e32 v9, v12, v9
	s_delay_alu instid0(VALU_DEP_4) | instskip(NEXT) | instid1(VALU_DEP_3)
	v_sub_nc_u32_e32 v14, v7, v14
	v_cndmask_b32_e64 v12, v4, v13, s1
	v_cmp_gt_i32_e64 s1, 32, v16
	v_lshlrev_b32_e32 v8, 2, v11
	v_subrev_nc_u32_e32 v21, s2, v9
	v_add3_u32 v7, v19, v7, 0
	s_delay_alu instid0(VALU_DEP_4) | instskip(SKIP_2) | instid1(VALU_DEP_2)
	v_cndmask_b32_e64 v13, v4, v16, s1
	v_cmp_gt_i32_e64 s1, 32, v17
	v_subrev_nc_u32_e32 v16, s2, v14
	v_cndmask_b32_e64 v17, v4, v17, s1
	v_cmp_le_u32_e64 s1, s2, v14
	s_delay_alu instid0(VALU_DEP_1) | instskip(SKIP_1) | instid1(VALU_DEP_1)
	v_cndmask_b32_e64 v14, v14, v16, s1
	v_cmp_le_u32_e64 s1, s2, v9
	v_cndmask_b32_e64 v9, v9, v21, s1
	v_cmp_gt_i32_e64 s1, 32, v20
	s_delay_alu instid0(VALU_DEP_1) | instskip(SKIP_4) | instid1(VALU_DEP_3)
	v_cndmask_b32_e64 v16, v4, v20, s1
	v_subrev_nc_u32_e32 v20, s2, v14
	v_cmp_le_u32_e64 s1, s2, v14
	v_lshlrev_b32_e32 v4, 2, v10
	v_subrev_nc_u32_e32 v10, s2, v9
	v_cndmask_b32_e64 v11, v14, v20, s1
	v_cmp_le_u32_e64 s1, s2, v9
	s_delay_alu instid0(VALU_DEP_2) | instskip(NEXT) | instid1(VALU_DEP_2)
	v_and_b32_e32 v20, -2, v11
	v_cndmask_b32_e64 v14, v9, v10, s1
	v_lshlrev_b32_e32 v11, 2, v17
	v_lshlrev_b32_e32 v9, 2, v12
	;; [unrolled: 1-line block ×4, first 2 shown]
	v_and_b32_e32 v17, -2, v14
	v_add_nc_u32_e32 v13, v15, v20
	v_add_nc_u32_e32 v14, v18, v20
	s_delay_alu instid0(VALU_DEP_3)
	v_add_nc_u32_e32 v15, v15, v17
	v_add_nc_u32_e32 v16, v18, v17
	s_waitcnt vmcnt(1)
	v_lshrrev_b32_e32 v17, 16, v2
	s_waitcnt vmcnt(0)
	v_lshrrev_b32_e32 v18, 16, v3
	s_branch .LBB43_10
.LBB43_9:                               ;   in Loop: Header=BB43_10 Depth=1
	s_or_b32 exec_lo, exec_lo, s1
	v_ashrrev_i32_e32 v1, 31, v0
	v_cvt_f16_f32_e32 v21, v19
	v_cvt_f16_f32_e32 v22, v20
	s_add_i32 s4, s4, 1
	v_add_nc_u32_e32 v7, 0x80, v7
	v_lshlrev_b64 v[19:20], 1, v[0:1]
	v_cmp_ge_i32_e64 s1, s4, v6
	v_pack_b32_f16 v1, v21, v22
	v_add_nc_u32_e32 v0, 64, v0
	s_delay_alu instid0(VALU_DEP_3) | instskip(NEXT) | instid1(VALU_DEP_4)
	s_or_b32 s3, s1, s3
	v_add_co_u32 v19, s2, s12, v19
	s_delay_alu instid0(VALU_DEP_1)
	v_add_co_ci_u32_e64 v20, s2, s13, v20, s2
	global_store_b32 v[19:20], v1, off
	s_and_not1_b32 exec_lo, exec_lo, s3
	s_cbranch_execz .LBB43_12
.LBB43_10:                              ; =>This Inner Loop Header: Depth=1
	ds_load_b32 v1, v7
	s_waitcnt lgkmcnt(0)
	v_cvt_f32_f16_e32 v19, v1
	s_delay_alu instid0(VALU_DEP_1) | instskip(NEXT) | instid1(VALU_DEP_1)
	v_mul_f32_e32 v20, v19, v19
	v_fma_mix_f32 v20, v1, v1, v20 op_sel:[1,1,0] op_sel_hi:[1,1,0]
	v_lshrrev_b32_e32 v1, 16, v1
	ds_bpermute_b32 v21, v4, v20
	v_cvt_f32_f16_e32 v1, v1
	s_waitcnt lgkmcnt(0)
	v_add_f32_e32 v20, v20, v21
	ds_bpermute_b32 v21, v8, v20
	s_waitcnt lgkmcnt(0)
	v_add_f32_e32 v20, v20, v21
	ds_bpermute_b32 v21, v9, v20
	s_waitcnt lgkmcnt(0)
	v_add_f32_e32 v20, v20, v21
	ds_bpermute_b32 v21, v10, v20
	s_waitcnt lgkmcnt(0)
	v_add_f32_e32 v20, v20, v21
	ds_bpermute_b32 v21, v11, v20
	s_waitcnt lgkmcnt(0)
	v_add_f32_e32 v20, v20, v21
	s_delay_alu instid0(VALU_DEP_1) | instskip(NEXT) | instid1(VALU_DEP_1)
	v_fma_f32 v20, 0x3c800000, v20, s19
	v_mul_f32_e32 v21, 0x4b800000, v20
	v_cmp_gt_f32_e64 s1, 0x800000, v20
	s_delay_alu instid0(VALU_DEP_1) | instskip(SKIP_1) | instid1(VALU_DEP_2)
	v_cndmask_b32_e64 v20, v20, v21, s1
	v_add_nc_u32_e32 v21, s4, v5
	v_rsq_f32_e32 v20, v20
	s_delay_alu instid0(VALU_DEP_1) | instskip(NEXT) | instid1(VALU_DEP_1)
	v_cmp_gt_i32_e64 s2, s16, v21
	v_cndmask_b32_e64 v21, v3, v2, s2
	v_cndmask_b32_e64 v23, v18, v17, s2
	s_delay_alu instid0(VALU_DEP_2) | instskip(SKIP_2) | instid1(VALU_DEP_1)
	v_cvt_f32_f16_e32 v21, v21
	s_waitcnt_depctr 0xfff
	v_mul_f32_e32 v22, 0x45800000, v20
	v_cndmask_b32_e64 v20, v20, v22, s1
	v_cvt_f32_f16_e32 v22, v23
	s_delay_alu instid0(VALU_DEP_2) | instskip(NEXT) | instid1(VALU_DEP_1)
	v_mul_f32_e32 v21, v20, v21
	v_dual_mul_f32 v20, v20, v22 :: v_dual_mul_f32 v19, v21, v19
	s_delay_alu instid0(VALU_DEP_1)
	v_mul_f32_e32 v20, v20, v1
	s_and_saveexec_b32 s1, vcc_lo
	s_cbranch_execz .LBB43_9
; %bb.11:                               ;   in Loop: Header=BB43_10 Depth=1
	; wave barrier
	ds_bpermute_b32 v1, v12, v19
	ds_load_u16 v21, v14
	ds_bpermute_b32 v22, v12, v20
	ds_load_u16 v23, v16
	ds_load_u16 v24, v13
	;; [unrolled: 1-line block ×3, first 2 shown]
	; wave barrier
	s_waitcnt lgkmcnt(5)
	v_cndmask_b32_e64 v1, v1, -v1, s0
	s_waitcnt lgkmcnt(4)
	v_cvt_f32_f16_e32 v21, v21
	s_waitcnt lgkmcnt(3)
	v_cndmask_b32_e64 v22, v22, -v22, s0
	s_waitcnt lgkmcnt(2)
	v_cvt_f32_f16_e32 v23, v23
	v_mul_f32_e32 v1, v1, v21
	s_delay_alu instid0(VALU_DEP_2) | instskip(SKIP_1) | instid1(VALU_DEP_2)
	v_mul_f32_e32 v21, v22, v23
	s_waitcnt lgkmcnt(1)
	v_fma_mix_f32 v19, v19, v24, v1 op_sel_hi:[0,1,0]
	s_waitcnt lgkmcnt(0)
	s_delay_alu instid0(VALU_DEP_2)
	v_fma_mix_f32 v20, v20, v25, v21 op_sel_hi:[0,1,0]
	s_branch .LBB43_9
.LBB43_12:
	s_nop 0
	s_sendmsg sendmsg(MSG_DEALLOC_VGPRS)
	s_endpgm
	.section	.rodata,"a",@progbits
	.p2align	6, 0x0
	.amdhsa_kernel _ZN12tensorrt_llm7kernels32fusedQKNormRopeKernelNTokenHeadsIN3c104HalfES3_Li64ELb0ELi8EEEvPviiifPKvS6_S6_PKlii
		.amdhsa_group_segment_fixed_size 0
		.amdhsa_private_segment_fixed_size 0
		.amdhsa_kernarg_size 320
		.amdhsa_user_sgpr_count 15
		.amdhsa_user_sgpr_dispatch_ptr 0
		.amdhsa_user_sgpr_queue_ptr 0
		.amdhsa_user_sgpr_kernarg_segment_ptr 1
		.amdhsa_user_sgpr_dispatch_id 0
		.amdhsa_user_sgpr_private_segment_size 0
		.amdhsa_wavefront_size32 1
		.amdhsa_uses_dynamic_stack 0
		.amdhsa_enable_private_segment 0
		.amdhsa_system_sgpr_workgroup_id_x 1
		.amdhsa_system_sgpr_workgroup_id_y 0
		.amdhsa_system_sgpr_workgroup_id_z 0
		.amdhsa_system_sgpr_workgroup_info 0
		.amdhsa_system_vgpr_workitem_id 0
		.amdhsa_next_free_vgpr 26
		.amdhsa_next_free_sgpr 21
		.amdhsa_reserve_vcc 1
		.amdhsa_float_round_mode_32 0
		.amdhsa_float_round_mode_16_64 0
		.amdhsa_float_denorm_mode_32 3
		.amdhsa_float_denorm_mode_16_64 3
		.amdhsa_dx10_clamp 1
		.amdhsa_ieee_mode 1
		.amdhsa_fp16_overflow 0
		.amdhsa_workgroup_processor_mode 1
		.amdhsa_memory_ordered 1
		.amdhsa_forward_progress 0
		.amdhsa_shared_vgpr_count 0
		.amdhsa_exception_fp_ieee_invalid_op 0
		.amdhsa_exception_fp_denorm_src 0
		.amdhsa_exception_fp_ieee_div_zero 0
		.amdhsa_exception_fp_ieee_overflow 0
		.amdhsa_exception_fp_ieee_underflow 0
		.amdhsa_exception_fp_ieee_inexact 0
		.amdhsa_exception_int_div_zero 0
	.end_amdhsa_kernel
	.section	.text._ZN12tensorrt_llm7kernels32fusedQKNormRopeKernelNTokenHeadsIN3c104HalfES3_Li64ELb0ELi8EEEvPviiifPKvS6_S6_PKlii,"axG",@progbits,_ZN12tensorrt_llm7kernels32fusedQKNormRopeKernelNTokenHeadsIN3c104HalfES3_Li64ELb0ELi8EEEvPviiifPKvS6_S6_PKlii,comdat
.Lfunc_end43:
	.size	_ZN12tensorrt_llm7kernels32fusedQKNormRopeKernelNTokenHeadsIN3c104HalfES3_Li64ELb0ELi8EEEvPviiifPKvS6_S6_PKlii, .Lfunc_end43-_ZN12tensorrt_llm7kernels32fusedQKNormRopeKernelNTokenHeadsIN3c104HalfES3_Li64ELb0ELi8EEEvPviiifPKvS6_S6_PKlii
                                        ; -- End function
	.section	.AMDGPU.csdata,"",@progbits
; Kernel info:
; codeLenInByte = 1912
; NumSgprs: 23
; NumVgprs: 26
; ScratchSize: 0
; MemoryBound: 0
; FloatMode: 240
; IeeeMode: 1
; LDSByteSize: 0 bytes/workgroup (compile time only)
; SGPRBlocks: 2
; VGPRBlocks: 3
; NumSGPRsForWavesPerEU: 23
; NumVGPRsForWavesPerEU: 26
; Occupancy: 16
; WaveLimiterHint : 0
; COMPUTE_PGM_RSRC2:SCRATCH_EN: 0
; COMPUTE_PGM_RSRC2:USER_SGPR: 15
; COMPUTE_PGM_RSRC2:TRAP_HANDLER: 0
; COMPUTE_PGM_RSRC2:TGID_X_EN: 1
; COMPUTE_PGM_RSRC2:TGID_Y_EN: 0
; COMPUTE_PGM_RSRC2:TGID_Z_EN: 0
; COMPUTE_PGM_RSRC2:TIDIG_COMP_CNT: 0
	.section	.text._ZN12tensorrt_llm7kernels32fusedQKNormRopeKernelNTokenHeadsIN3c104HalfES3_Li128ELb1ELi8EEEvPviiifPKvS6_S6_PKlii,"axG",@progbits,_ZN12tensorrt_llm7kernels32fusedQKNormRopeKernelNTokenHeadsIN3c104HalfES3_Li128ELb1ELi8EEEvPviiifPKvS6_S6_PKlii,comdat
	.protected	_ZN12tensorrt_llm7kernels32fusedQKNormRopeKernelNTokenHeadsIN3c104HalfES3_Li128ELb1ELi8EEEvPviiifPKvS6_S6_PKlii ; -- Begin function _ZN12tensorrt_llm7kernels32fusedQKNormRopeKernelNTokenHeadsIN3c104HalfES3_Li128ELb1ELi8EEEvPviiifPKvS6_S6_PKlii
	.globl	_ZN12tensorrt_llm7kernels32fusedQKNormRopeKernelNTokenHeadsIN3c104HalfES3_Li128ELb1ELi8EEEvPviiifPKvS6_S6_PKlii
	.p2align	8
	.type	_ZN12tensorrt_llm7kernels32fusedQKNormRopeKernelNTokenHeadsIN3c104HalfES3_Li128ELb1ELi8EEEvPviiifPKvS6_S6_PKlii,@function
_ZN12tensorrt_llm7kernels32fusedQKNormRopeKernelNTokenHeadsIN3c104HalfES3_Li128ELb1ELi8EEEvPviiifPKvS6_S6_PKlii: ; @_ZN12tensorrt_llm7kernels32fusedQKNormRopeKernelNTokenHeadsIN3c104HalfES3_Li128ELb1ELi8EEEvPviiifPKvS6_S6_PKlii
; %bb.0:
	s_clause 0x1
	s_load_b128 s[16:19], s[0:1], 0x8
	s_load_b64 s[2:3], s[0:1], 0x38
	v_lshrrev_b32_e32 v2, 5, v0
	s_waitcnt lgkmcnt(0)
	s_add_i32 s4, s17, s16
	s_delay_alu instid0(SALU_CYCLE_1) | instskip(NEXT) | instid1(SALU_CYCLE_1)
	s_add_i32 s5, s4, 7
	s_ashr_i32 s6, s5, 31
	s_delay_alu instid0(SALU_CYCLE_1) | instskip(NEXT) | instid1(SALU_CYCLE_1)
	s_lshr_b32 s6, s6, 29
	s_add_i32 s5, s5, s6
	s_delay_alu instid0(SALU_CYCLE_1) | instskip(SKIP_2) | instid1(SALU_CYCLE_1)
	s_ashr_i32 s14, s5, 3
	s_load_b32 s5, s[0:1], 0x4c
	s_abs_i32 s6, s14
	v_cvt_f32_u32_e32 v1, s6
	s_sub_i32 s7, 0, s6
	s_delay_alu instid0(VALU_DEP_1) | instskip(SKIP_4) | instid1(SALU_CYCLE_1)
	v_rcp_iflag_f32_e32 v1, v1
	s_waitcnt_depctr 0xfff
	v_mul_f32_e32 v1, 0x4f7ffffe, v1
	s_waitcnt lgkmcnt(0)
	s_bfe_u32 s5, s5, 0xb0005
	v_mad_u64_u32 v[3:4], null, s15, s5, v[2:3]
	s_delay_alu instid0(VALU_DEP_2) | instskip(NEXT) | instid1(VALU_DEP_1)
	v_cvt_u32_f32_e32 v1, v1
	v_mul_lo_u32 v5, s7, v1
	s_delay_alu instid0(VALU_DEP_1) | instskip(NEXT) | instid1(VALU_DEP_4)
	v_mul_hi_u32 v4, v1, v5
	v_sub_nc_u32_e32 v5, 0, v3
	s_delay_alu instid0(VALU_DEP_1) | instskip(NEXT) | instid1(VALU_DEP_3)
	v_max_i32_e32 v5, v3, v5
	v_add_nc_u32_e32 v1, v1, v4
	s_delay_alu instid0(VALU_DEP_1) | instskip(NEXT) | instid1(VALU_DEP_1)
	v_mul_hi_u32 v1, v5, v1
	v_mul_lo_u32 v4, v1, s6
	s_delay_alu instid0(VALU_DEP_1) | instskip(SKIP_1) | instid1(VALU_DEP_2)
	v_sub_nc_u32_e32 v4, v5, v4
	v_add_nc_u32_e32 v5, 1, v1
	v_subrev_nc_u32_e32 v6, s6, v4
	v_cmp_le_u32_e32 vcc_lo, s6, v4
	s_delay_alu instid0(VALU_DEP_2) | instskip(SKIP_1) | instid1(VALU_DEP_2)
	v_dual_cndmask_b32 v4, v4, v6 :: v_dual_cndmask_b32 v1, v1, v5
	v_xor_b32_e32 v5, s14, v3
	v_cmp_le_u32_e32 vcc_lo, s6, v4
	s_delay_alu instid0(VALU_DEP_3) | instskip(NEXT) | instid1(VALU_DEP_3)
	v_add_nc_u32_e32 v6, 1, v1
	v_ashrrev_i32_e32 v5, 31, v5
	s_delay_alu instid0(VALU_DEP_2) | instskip(NEXT) | instid1(VALU_DEP_1)
	v_cndmask_b32_e32 v1, v1, v6, vcc_lo
	v_xor_b32_e32 v1, v1, v5
	s_delay_alu instid0(VALU_DEP_1) | instskip(NEXT) | instid1(VALU_DEP_1)
	v_sub_nc_u32_e32 v1, v1, v5
	v_cmp_gt_i32_e32 vcc_lo, s2, v1
	s_and_saveexec_b32 s2, vcc_lo
	s_cbranch_execz .LBB44_12
; %bb.1:
	v_mul_lo_u32 v4, v1, s14
	s_load_b64 s[12:13], s[0:1], 0x0
	v_and_b32_e32 v8, 31, v0
	v_lshlrev_b32_e32 v10, 11, v2
	v_lshlrev_b32_e32 v0, 10, v3
	s_lshl_b32 s20, s3, 1
	s_delay_alu instid0(VALU_DEP_3) | instskip(SKIP_2) | instid1(VALU_DEP_1)
	v_lshlrev_b32_e32 v9, 3, v8
	v_sub_nc_u32_e32 v4, v3, v4
	s_mul_i32 s15, s20, s5
	v_lshlrev_b32_e32 v6, 3, v4
	s_delay_alu instid0(VALU_DEP_1) | instskip(SKIP_1) | instid1(VALU_DEP_2)
	v_add_nc_u32_e32 v4, 8, v6
	v_sub_nc_u32_e32 v5, s4, v6
	v_cmp_lt_i32_e32 vcc_lo, s4, v4
	s_delay_alu instid0(VALU_DEP_2) | instskip(NEXT) | instid1(VALU_DEP_1)
	v_cndmask_b32_e32 v7, 8, v5, vcc_lo
	v_cmp_lt_i32_e32 vcc_lo, 0, v7
	s_and_saveexec_b32 s4, vcc_lo
	s_cbranch_execz .LBB44_4
; %bb.2:
	s_add_i32 s2, s18, s17
	s_lshl_b32 s5, s14, 3
	s_add_i32 s2, s2, s16
	s_mov_b32 s6, 0
	s_sub_i32 s2, s2, s5
	s_mov_b32 s5, 0
	v_mul_lo_u32 v3, s2, v1
	s_add_i32 s2, s15, 0
	s_delay_alu instid0(SALU_CYCLE_1) | instskip(NEXT) | instid1(VALU_DEP_2)
	v_add3_u32 v5, s2, v10, v9
	v_lshl_add_u32 v3, v3, 7, v0
	s_delay_alu instid0(VALU_DEP_1)
	v_lshl_or_b32 v3, v8, 2, v3
	.p2align	6
.LBB44_3:                               ; =>This Inner Loop Header: Depth=1
	s_delay_alu instid0(VALU_DEP_1) | instskip(SKIP_1) | instid1(VALU_DEP_1)
	v_ashrrev_i32_e32 v4, 31, v3
	s_add_i32 s6, s6, 1
	v_lshlrev_b64 v[11:12], 1, v[3:4]
	v_add_nc_u32_e32 v3, 0x80, v3
	s_waitcnt lgkmcnt(0)
	s_delay_alu instid0(VALU_DEP_2) | instskip(NEXT) | instid1(VALU_DEP_1)
	v_add_co_u32 v11, s2, s12, v11
	v_add_co_ci_u32_e64 v12, s2, s13, v12, s2
	v_cmp_ge_i32_e64 s2, s6, v7
	global_load_b64 v[11:12], v[11:12], off
	s_or_b32 s5, s2, s5
	s_waitcnt vmcnt(0)
	ds_store_b64 v5, v[11:12]
	v_add_nc_u32_e32 v5, 0x100, v5
	s_and_not1_b32 exec_lo, exec_lo, s5
	s_cbranch_execnz .LBB44_3
.LBB44_4:
	s_or_b32 exec_lo, exec_lo, s4
	s_load_b256 s[4:11], s[0:1], 0x18
	v_mul_lo_u32 v2, v2, s3
	s_add_i32 s0, s20, 15
	s_mov_b32 s20, exec_lo
	s_ashr_i32 s1, s0, 31
	s_delay_alu instid0(SALU_CYCLE_1) | instskip(NEXT) | instid1(SALU_CYCLE_1)
	s_lshr_b32 s1, s1, 28
	s_add_i32 s0, s0, s1
	s_delay_alu instid0(VALU_DEP_1) | instskip(SKIP_1) | instid1(SALU_CYCLE_1)
	v_lshlrev_b32_e32 v11, 1, v2
	s_ashr_i32 s2, s0, 4
	v_cmpx_gt_i32_e64 s2, v8
	s_cbranch_execz .LBB44_7
; %bb.5:
	v_ashrrev_i32_e32 v2, 31, v1
	s_delay_alu instid0(VALU_DEP_1) | instskip(SKIP_1) | instid1(VALU_DEP_1)
	v_lshlrev_b64 v[2:3], 3, v[1:2]
	s_waitcnt lgkmcnt(0)
	v_add_co_u32 v2, s0, s10, v2
	s_delay_alu instid0(VALU_DEP_1)
	v_add_co_ci_u32_e64 v3, s0, s11, v3, s0
	s_ashr_i32 s0, s3, 31
	global_load_b64 v[2:3], v[2:3], off
	s_waitcnt vmcnt(0)
	v_mul_lo_u32 v5, v3, s3
	v_mul_lo_u32 v12, v2, s0
	v_mad_u64_u32 v[3:4], null, v2, s3, 0
	s_delay_alu instid0(VALU_DEP_1) | instskip(SKIP_1) | instid1(VALU_DEP_2)
	v_add3_u32 v4, v4, v12, v5
	v_mov_b32_e32 v5, v8
	v_lshlrev_b64 v[2:3], 1, v[3:4]
	v_lshlrev_b32_e32 v4, 4, v8
	s_delay_alu instid0(VALU_DEP_1) | instskip(NEXT) | instid1(VALU_DEP_1)
	v_add_co_u32 v2, s0, v2, v4
	v_add_co_ci_u32_e64 v3, s0, 0, v3, s0
	v_add3_u32 v4, v11, v4, 0
	s_delay_alu instid0(VALU_DEP_3) | instskip(NEXT) | instid1(VALU_DEP_1)
	v_add_co_u32 v2, s0, s8, v2
	v_add_co_ci_u32_e64 v3, s0, s9, v3, s0
	s_mov_b32 s8, 0
	.p2align	6
.LBB44_6:                               ; =>This Inner Loop Header: Depth=1
	global_load_b128 v[12:15], v[2:3], off
	v_add_nc_u32_e32 v5, 32, v5
	v_add_co_u32 v2, s0, 0x200, v2
	s_delay_alu instid0(VALU_DEP_1) | instskip(NEXT) | instid1(VALU_DEP_3)
	v_add_co_ci_u32_e64 v3, s0, 0, v3, s0
	v_cmp_le_i32_e64 s1, s2, v5
	s_delay_alu instid0(VALU_DEP_1)
	s_or_b32 s8, s1, s8
	s_waitcnt vmcnt(0)
	ds_store_b128 v4, v[12:15]
	v_add_nc_u32_e32 v4, 0x200, v4
	s_and_not1_b32 exec_lo, exec_lo, s8
	s_cbranch_execnz .LBB44_6
.LBB44_7:
	s_or_b32 exec_lo, exec_lo, s20
	s_delay_alu instid0(SALU_CYCLE_1)
	s_and_b32 exec_lo, exec_lo, vcc_lo
	s_cbranch_execz .LBB44_12
; %bb.8:
	s_waitcnt lgkmcnt(0)
	s_clause 0x1
	global_load_b64 v[2:3], v9, s[4:5]
	global_load_b64 v[4:5], v9, s[6:7]
	v_mbcnt_lo_u32_b32 v12, -1, 0
	s_lshr_b32 s0, s3, 31
	s_ashr_i32 s1, s3, 31
	s_add_i32 s0, s3, s0
	s_lshr_b32 s1, s1, 30
	v_xor_b32_e32 v14, 16, v12
	s_and_b32 s5, s0, -2
	s_add_i32 s0, s3, s1
	v_lshlrev_b32_e32 v16, 2, v8
	s_ashr_i32 s0, s0, 2
	v_xor_b32_e32 v15, 8, v12
	v_cmp_gt_i32_e32 vcc_lo, s0, v8
	v_cmp_gt_i32_e64 s0, 32, v14
	v_add_nc_u32_e32 v13, s15, v10
	v_xor_b32_e32 v17, 4, v12
	v_add3_u32 v10, 0, v11, v16
	v_xor_b32_e32 v18, 2, v12
	v_cndmask_b32_e64 v11, v12, v14, s0
	v_cmp_gt_i32_e64 s0, 32, v15
	v_add3_u32 v9, v13, v9, 0
	s_add_i32 s2, s18, s17
	s_lshl_b32 s4, s14, 3
	s_add_i32 s2, s2, s16
	v_cndmask_b32_e64 v13, v12, v15, s0
	v_cmp_gt_i32_e64 s0, 32, v17
	s_sub_i32 s1, s2, s4
	v_xor_b32_e32 v19, 1, v12
	v_mul_lo_u32 v1, s1, v1
	v_add_nc_u32_e32 v8, s5, v10
	v_cndmask_b32_e64 v14, v12, v17, s0
	v_cmp_gt_i32_e64 s0, 32, v18
	v_lshlrev_b32_e32 v11, 2, v11
	s_mov_b32 s2, 0
	s_mov_b32 s3, 0
	s_delay_alu instid0(VALU_DEP_2) | instskip(SKIP_2) | instid1(VALU_DEP_2)
	v_cndmask_b32_e64 v15, v12, v18, s0
	v_cmp_gt_i32_e64 s0, 32, v19
	v_lshl_add_u32 v0, v1, 7, v0
	v_cndmask_b32_e64 v17, v12, v19, s0
	v_lshlrev_b32_e32 v12, 2, v13
	v_lshlrev_b32_e32 v13, 2, v14
	;; [unrolled: 1-line block ×3, first 2 shown]
	v_or_b32_e32 v0, v0, v16
	v_lshlrev_b32_e32 v15, 2, v17
	s_waitcnt vmcnt(1)
	v_lshrrev_b32_e32 v16, 16, v2
	s_waitcnt vmcnt(0)
	v_lshrrev_b32_e32 v17, 16, v4
	v_lshrrev_b32_e32 v18, 16, v3
	;; [unrolled: 1-line block ×3, first 2 shown]
	s_branch .LBB44_10
.LBB44_9:                               ;   in Loop: Header=BB44_10 Depth=1
	s_or_b32 exec_lo, exec_lo, s0
	v_ashrrev_i32_e32 v1, 31, v0
	s_delay_alu instid0(VALU_DEP_2)
	v_cvt_f16_f32_e32 v24, v23
	v_cvt_f16_f32_e32 v25, v22
	s_add_i32 s3, s3, 1
	v_add_nc_u32_e32 v9, 0x100, v9
	v_lshlrev_b64 v[22:23], 1, v[0:1]
	v_cvt_f16_f32_e32 v1, v20
	v_cvt_f16_f32_e32 v20, v21
	v_pack_b32_f16 v21, v24, v25
	v_add_nc_u32_e32 v0, 0x80, v0
	v_add_co_u32 v22, s0, s12, v22
	s_delay_alu instid0(VALU_DEP_1) | instskip(SKIP_2) | instid1(VALU_DEP_2)
	v_add_co_ci_u32_e64 v23, s0, s13, v23, s0
	v_cmp_ge_i32_e64 s0, s3, v7
	v_pack_b32_f16 v20, v1, v20
	s_or_b32 s2, s0, s2
	global_store_b64 v[22:23], v[20:21], off
	s_and_not1_b32 exec_lo, exec_lo, s2
	s_cbranch_execz .LBB44_12
.LBB44_10:                              ; =>This Inner Loop Header: Depth=1
	ds_load_b64 v[20:21], v9
	s_waitcnt lgkmcnt(0)
	v_lshrrev_b32_e32 v1, 16, v20
	v_lshrrev_b32_e32 v28, 16, v21
	s_delay_alu instid0(VALU_DEP_2) | instskip(NEXT) | instid1(VALU_DEP_2)
	v_cvt_f32_f16_e32 v1, v1
	v_cvt_f32_f16_e32 v28, v28
	s_delay_alu instid0(VALU_DEP_2) | instskip(NEXT) | instid1(VALU_DEP_1)
	v_mul_f32_e32 v22, v1, v1
	v_fma_mix_f32 v22, v20, v20, v22 op_sel_hi:[1,1,0]
	v_cvt_f32_f16_e32 v20, v20
	s_delay_alu instid0(VALU_DEP_2) | instskip(NEXT) | instid1(VALU_DEP_1)
	v_fma_mix_f32 v22, v21, v21, v22 op_sel_hi:[1,1,0]
	v_fma_mix_f32 v22, v21, v21, v22 op_sel:[1,1,0] op_sel_hi:[1,1,0]
	ds_bpermute_b32 v23, v11, v22
	s_waitcnt lgkmcnt(0)
	v_add_f32_e32 v22, v22, v23
	ds_bpermute_b32 v23, v12, v22
	s_waitcnt lgkmcnt(0)
	v_add_f32_e32 v22, v22, v23
	;; [unrolled: 3-line block ×5, first 2 shown]
	s_delay_alu instid0(VALU_DEP_1) | instskip(NEXT) | instid1(VALU_DEP_1)
	v_fma_f32 v22, 0x3c000000, v22, s19
	v_mul_f32_e32 v23, 0x4b800000, v22
	v_cmp_gt_f32_e64 s0, 0x800000, v22
	s_delay_alu instid0(VALU_DEP_1) | instskip(SKIP_1) | instid1(VALU_DEP_2)
	v_cndmask_b32_e64 v22, v22, v23, s0
	v_add_nc_u32_e32 v23, s3, v6
	v_rsq_f32_e32 v22, v22
	s_delay_alu instid0(VALU_DEP_1) | instskip(NEXT) | instid1(VALU_DEP_1)
	v_cmp_gt_i32_e64 s1, s16, v23
	v_cndmask_b32_e64 v23, v17, v16, s1
	v_cndmask_b32_e64 v24, v4, v2, s1
	;; [unrolled: 1-line block ×4, first 2 shown]
	s_delay_alu instid0(VALU_DEP_4) | instskip(NEXT) | instid1(TRANS32_DEP_1)
	v_cvt_f32_f16_e32 v23, v23
	v_mul_f32_e32 v26, 0x45800000, v22
	v_cvt_f32_f16_e32 v24, v24
	v_cvt_f32_f16_e32 v25, v25
	s_delay_alu instid0(VALU_DEP_3) | instskip(SKIP_2) | instid1(VALU_DEP_3)
	v_cndmask_b32_e64 v22, v22, v26, s0
	v_cvt_f32_f16_e32 v26, v27
	v_cvt_f32_f16_e32 v27, v21
	v_mul_f32_e32 v21, v22, v23
	v_mul_f32_e32 v23, v22, v24
	;; [unrolled: 1-line block ×4, first 2 shown]
	s_delay_alu instid0(VALU_DEP_3) | instskip(NEXT) | instid1(VALU_DEP_2)
	v_dual_mul_f32 v21, v21, v1 :: v_dual_mul_f32 v20, v23, v20
	v_dual_mul_f32 v22, v24, v28 :: v_dual_mul_f32 v23, v25, v27
	s_and_saveexec_b32 s0, vcc_lo
	s_cbranch_execz .LBB44_9
; %bb.11:                               ;   in Loop: Header=BB44_10 Depth=1
	ds_load_u16 v1, v8
	ds_load_u16 v24, v8 offset:2
	ds_load_u16 v25, v10
	ds_load_u16 v26, v10 offset:2
	s_waitcnt lgkmcnt(3)
	v_cvt_f32_f16_e32 v27, v1
	s_waitcnt lgkmcnt(2)
	v_cvt_f32_f16_e32 v28, v24
	;; [unrolled: 2-line block ×4, first 2 shown]
	v_dual_mul_f32 v27, v21, v27 :: v_dual_mul_f32 v28, v22, v28
	s_delay_alu instid0(VALU_DEP_2) | instskip(NEXT) | instid1(VALU_DEP_2)
	v_dual_mul_f32 v21, v21, v29 :: v_dual_mul_f32 v22, v22, v30
	v_fma_mix_f32 v25, v20, v25, -v27 op_sel_hi:[0,1,0]
	s_delay_alu instid0(VALU_DEP_3) | instskip(NEXT) | instid1(VALU_DEP_3)
	v_fma_mix_f32 v26, v23, v26, -v28 op_sel_hi:[0,1,0]
	v_fma_mix_f32 v21, v20, v1, v21 op_sel_hi:[0,1,0]
	s_delay_alu instid0(VALU_DEP_4) | instskip(NEXT) | instid1(VALU_DEP_3)
	v_fma_mix_f32 v22, v23, v24, v22 op_sel_hi:[0,1,0]
	v_dual_mov_b32 v20, v25 :: v_dual_mov_b32 v23, v26
	s_branch .LBB44_9
.LBB44_12:
	s_nop 0
	s_sendmsg sendmsg(MSG_DEALLOC_VGPRS)
	s_endpgm
	.section	.rodata,"a",@progbits
	.p2align	6, 0x0
	.amdhsa_kernel _ZN12tensorrt_llm7kernels32fusedQKNormRopeKernelNTokenHeadsIN3c104HalfES3_Li128ELb1ELi8EEEvPviiifPKvS6_S6_PKlii
		.amdhsa_group_segment_fixed_size 0
		.amdhsa_private_segment_fixed_size 0
		.amdhsa_kernarg_size 320
		.amdhsa_user_sgpr_count 15
		.amdhsa_user_sgpr_dispatch_ptr 0
		.amdhsa_user_sgpr_queue_ptr 0
		.amdhsa_user_sgpr_kernarg_segment_ptr 1
		.amdhsa_user_sgpr_dispatch_id 0
		.amdhsa_user_sgpr_private_segment_size 0
		.amdhsa_wavefront_size32 1
		.amdhsa_uses_dynamic_stack 0
		.amdhsa_enable_private_segment 0
		.amdhsa_system_sgpr_workgroup_id_x 1
		.amdhsa_system_sgpr_workgroup_id_y 0
		.amdhsa_system_sgpr_workgroup_id_z 0
		.amdhsa_system_sgpr_workgroup_info 0
		.amdhsa_system_vgpr_workitem_id 0
		.amdhsa_next_free_vgpr 31
		.amdhsa_next_free_sgpr 21
		.amdhsa_reserve_vcc 1
		.amdhsa_float_round_mode_32 0
		.amdhsa_float_round_mode_16_64 0
		.amdhsa_float_denorm_mode_32 3
		.amdhsa_float_denorm_mode_16_64 3
		.amdhsa_dx10_clamp 1
		.amdhsa_ieee_mode 1
		.amdhsa_fp16_overflow 0
		.amdhsa_workgroup_processor_mode 1
		.amdhsa_memory_ordered 1
		.amdhsa_forward_progress 0
		.amdhsa_shared_vgpr_count 0
		.amdhsa_exception_fp_ieee_invalid_op 0
		.amdhsa_exception_fp_denorm_src 0
		.amdhsa_exception_fp_ieee_div_zero 0
		.amdhsa_exception_fp_ieee_overflow 0
		.amdhsa_exception_fp_ieee_underflow 0
		.amdhsa_exception_fp_ieee_inexact 0
		.amdhsa_exception_int_div_zero 0
	.end_amdhsa_kernel
	.section	.text._ZN12tensorrt_llm7kernels32fusedQKNormRopeKernelNTokenHeadsIN3c104HalfES3_Li128ELb1ELi8EEEvPviiifPKvS6_S6_PKlii,"axG",@progbits,_ZN12tensorrt_llm7kernels32fusedQKNormRopeKernelNTokenHeadsIN3c104HalfES3_Li128ELb1ELi8EEEvPviiifPKvS6_S6_PKlii,comdat
.Lfunc_end44:
	.size	_ZN12tensorrt_llm7kernels32fusedQKNormRopeKernelNTokenHeadsIN3c104HalfES3_Li128ELb1ELi8EEEvPviiifPKvS6_S6_PKlii, .Lfunc_end44-_ZN12tensorrt_llm7kernels32fusedQKNormRopeKernelNTokenHeadsIN3c104HalfES3_Li128ELb1ELi8EEEvPviiifPKvS6_S6_PKlii
                                        ; -- End function
	.section	.AMDGPU.csdata,"",@progbits
; Kernel info:
; codeLenInByte = 1748
; NumSgprs: 23
; NumVgprs: 31
; ScratchSize: 0
; MemoryBound: 0
; FloatMode: 240
; IeeeMode: 1
; LDSByteSize: 0 bytes/workgroup (compile time only)
; SGPRBlocks: 2
; VGPRBlocks: 3
; NumSGPRsForWavesPerEU: 23
; NumVGPRsForWavesPerEU: 31
; Occupancy: 16
; WaveLimiterHint : 0
; COMPUTE_PGM_RSRC2:SCRATCH_EN: 0
; COMPUTE_PGM_RSRC2:USER_SGPR: 15
; COMPUTE_PGM_RSRC2:TRAP_HANDLER: 0
; COMPUTE_PGM_RSRC2:TGID_X_EN: 1
; COMPUTE_PGM_RSRC2:TGID_Y_EN: 0
; COMPUTE_PGM_RSRC2:TGID_Z_EN: 0
; COMPUTE_PGM_RSRC2:TIDIG_COMP_CNT: 0
	.section	.text._ZN12tensorrt_llm7kernels32fusedQKNormRopeKernelNTokenHeadsIN3c104HalfES3_Li128ELb0ELi8EEEvPviiifPKvS6_S6_PKlii,"axG",@progbits,_ZN12tensorrt_llm7kernels32fusedQKNormRopeKernelNTokenHeadsIN3c104HalfES3_Li128ELb0ELi8EEEvPviiifPKvS6_S6_PKlii,comdat
	.protected	_ZN12tensorrt_llm7kernels32fusedQKNormRopeKernelNTokenHeadsIN3c104HalfES3_Li128ELb0ELi8EEEvPviiifPKvS6_S6_PKlii ; -- Begin function _ZN12tensorrt_llm7kernels32fusedQKNormRopeKernelNTokenHeadsIN3c104HalfES3_Li128ELb0ELi8EEEvPviiifPKvS6_S6_PKlii
	.globl	_ZN12tensorrt_llm7kernels32fusedQKNormRopeKernelNTokenHeadsIN3c104HalfES3_Li128ELb0ELi8EEEvPviiifPKvS6_S6_PKlii
	.p2align	8
	.type	_ZN12tensorrt_llm7kernels32fusedQKNormRopeKernelNTokenHeadsIN3c104HalfES3_Li128ELb0ELi8EEEvPviiifPKvS6_S6_PKlii,@function
_ZN12tensorrt_llm7kernels32fusedQKNormRopeKernelNTokenHeadsIN3c104HalfES3_Li128ELb0ELi8EEEvPviiifPKvS6_S6_PKlii: ; @_ZN12tensorrt_llm7kernels32fusedQKNormRopeKernelNTokenHeadsIN3c104HalfES3_Li128ELb0ELi8EEEvPviiifPKvS6_S6_PKlii
; %bb.0:
	s_clause 0x1
	s_load_b128 s[16:19], s[0:1], 0x8
	s_load_b64 s[2:3], s[0:1], 0x38
	s_waitcnt lgkmcnt(0)
	s_add_i32 s4, s17, s16
	s_delay_alu instid0(SALU_CYCLE_1) | instskip(NEXT) | instid1(SALU_CYCLE_1)
	s_add_i32 s5, s4, 7
	s_ashr_i32 s6, s5, 31
	s_delay_alu instid0(SALU_CYCLE_1) | instskip(NEXT) | instid1(SALU_CYCLE_1)
	s_lshr_b32 s6, s6, 29
	s_add_i32 s5, s5, s6
	s_delay_alu instid0(SALU_CYCLE_1) | instskip(SKIP_2) | instid1(SALU_CYCLE_1)
	s_ashr_i32 s14, s5, 3
	s_load_b32 s5, s[0:1], 0x4c
	s_abs_i32 s6, s14
	v_cvt_f32_u32_e32 v1, s6
	s_sub_i32 s7, 0, s6
	s_delay_alu instid0(VALU_DEP_1) | instskip(SKIP_4) | instid1(VALU_DEP_1)
	v_rcp_iflag_f32_e32 v1, v1
	s_waitcnt_depctr 0xfff
	v_mul_f32_e32 v1, 0x4f7ffffe, v1
	s_waitcnt lgkmcnt(0)
	s_bfe_u32 s5, s5, 0xb0005
	v_cvt_u32_f32_e32 v4, v1
	v_lshrrev_b32_e32 v1, 5, v0
	s_delay_alu instid0(VALU_DEP_2) | instskip(NEXT) | instid1(VALU_DEP_2)
	v_mul_lo_u32 v5, s7, v4
	v_mad_u64_u32 v[2:3], null, s15, s5, v[1:2]
	s_delay_alu instid0(VALU_DEP_2) | instskip(NEXT) | instid1(VALU_DEP_2)
	v_mul_hi_u32 v3, v4, v5
	v_sub_nc_u32_e32 v5, 0, v2
	s_delay_alu instid0(VALU_DEP_1) | instskip(NEXT) | instid1(VALU_DEP_3)
	v_max_i32_e32 v5, v2, v5
	v_add_nc_u32_e32 v3, v4, v3
	s_delay_alu instid0(VALU_DEP_1) | instskip(NEXT) | instid1(VALU_DEP_1)
	v_mul_hi_u32 v3, v5, v3
	v_mul_lo_u32 v4, v3, s6
	s_delay_alu instid0(VALU_DEP_1) | instskip(SKIP_1) | instid1(VALU_DEP_2)
	v_sub_nc_u32_e32 v4, v5, v4
	v_add_nc_u32_e32 v5, 1, v3
	v_subrev_nc_u32_e32 v6, s6, v4
	v_cmp_le_u32_e32 vcc_lo, s6, v4
	s_delay_alu instid0(VALU_DEP_2) | instskip(SKIP_1) | instid1(VALU_DEP_2)
	v_dual_cndmask_b32 v4, v4, v6 :: v_dual_cndmask_b32 v3, v3, v5
	v_xor_b32_e32 v5, s14, v2
	v_cmp_le_u32_e32 vcc_lo, s6, v4
	s_delay_alu instid0(VALU_DEP_3) | instskip(NEXT) | instid1(VALU_DEP_3)
	v_add_nc_u32_e32 v6, 1, v3
	v_ashrrev_i32_e32 v5, 31, v5
	s_delay_alu instid0(VALU_DEP_2) | instskip(NEXT) | instid1(VALU_DEP_1)
	v_cndmask_b32_e32 v3, v3, v6, vcc_lo
	v_xor_b32_e32 v3, v3, v5
	s_delay_alu instid0(VALU_DEP_1) | instskip(NEXT) | instid1(VALU_DEP_1)
	v_sub_nc_u32_e32 v4, v3, v5
	v_cmp_gt_i32_e32 vcc_lo, s2, v4
	s_and_saveexec_b32 s2, vcc_lo
	s_cbranch_execz .LBB45_12
; %bb.1:
	v_mul_lo_u32 v3, v4, s14
	s_load_b64 s[12:13], s[0:1], 0x0
	v_and_b32_e32 v9, 31, v0
	v_lshlrev_b32_e32 v11, 11, v1
	v_lshlrev_b32_e32 v10, 10, v2
	s_lshl_b32 s20, s3, 1
	s_delay_alu instid0(VALU_DEP_3) | instskip(SKIP_2) | instid1(VALU_DEP_1)
	v_lshlrev_b32_e32 v8, 3, v9
	v_sub_nc_u32_e32 v3, v2, v3
	s_mul_i32 s15, s20, s5
	v_lshlrev_b32_e32 v6, 3, v3
	s_delay_alu instid0(VALU_DEP_1) | instskip(SKIP_1) | instid1(VALU_DEP_2)
	v_add_nc_u32_e32 v3, 8, v6
	v_sub_nc_u32_e32 v5, s4, v6
	v_cmp_lt_i32_e32 vcc_lo, s4, v3
	s_delay_alu instid0(VALU_DEP_2) | instskip(NEXT) | instid1(VALU_DEP_1)
	v_cndmask_b32_e32 v7, 8, v5, vcc_lo
	v_cmp_lt_i32_e32 vcc_lo, 0, v7
	s_and_saveexec_b32 s4, vcc_lo
	s_cbranch_execz .LBB45_4
; %bb.2:
	s_add_i32 s2, s18, s17
	s_lshl_b32 s5, s14, 3
	s_add_i32 s2, s2, s16
	s_mov_b32 s6, 0
	s_sub_i32 s2, s2, s5
	s_mov_b32 s5, 0
	v_mul_lo_u32 v0, s2, v4
	s_add_i32 s2, s15, 0
	s_delay_alu instid0(VALU_DEP_1) | instskip(SKIP_1) | instid1(VALU_DEP_2)
	v_lshl_add_u32 v2, v0, 7, v10
	v_add3_u32 v0, s2, v11, v8
	v_lshl_or_b32 v2, v9, 2, v2
	.p2align	6
.LBB45_3:                               ; =>This Inner Loop Header: Depth=1
	s_delay_alu instid0(VALU_DEP_1) | instskip(SKIP_1) | instid1(VALU_DEP_1)
	v_ashrrev_i32_e32 v3, 31, v2
	s_add_i32 s6, s6, 1
	v_lshlrev_b64 v[12:13], 1, v[2:3]
	v_add_nc_u32_e32 v2, 0x80, v2
	s_waitcnt lgkmcnt(0)
	s_delay_alu instid0(VALU_DEP_2) | instskip(NEXT) | instid1(VALU_DEP_1)
	v_add_co_u32 v12, s2, s12, v12
	v_add_co_ci_u32_e64 v13, s2, s13, v13, s2
	v_cmp_ge_i32_e64 s2, s6, v7
	global_load_b64 v[12:13], v[12:13], off
	s_or_b32 s5, s2, s5
	s_waitcnt vmcnt(0)
	ds_store_b64 v0, v[12:13]
	v_add_nc_u32_e32 v0, 0x100, v0
	s_and_not1_b32 exec_lo, exec_lo, s5
	s_cbranch_execnz .LBB45_3
.LBB45_4:
	s_or_b32 exec_lo, exec_lo, s4
	s_load_b256 s[4:11], s[0:1], 0x18
	s_add_i32 s0, s20, 15
	v_mul_lo_u32 v12, v1, s3
	s_ashr_i32 s1, s0, 31
	s_mov_b32 s20, exec_lo
	s_lshr_b32 s1, s1, 28
	s_delay_alu instid0(SALU_CYCLE_1) | instskip(NEXT) | instid1(SALU_CYCLE_1)
	s_add_i32 s0, s0, s1
	s_ashr_i32 s2, s0, 4
	s_delay_alu instid0(SALU_CYCLE_1)
	v_cmpx_gt_i32_e64 s2, v9
	s_cbranch_execz .LBB45_7
; %bb.5:
	v_ashrrev_i32_e32 v5, 31, v4
	s_delay_alu instid0(VALU_DEP_1) | instskip(SKIP_1) | instid1(VALU_DEP_1)
	v_lshlrev_b64 v[0:1], 3, v[4:5]
	s_waitcnt lgkmcnt(0)
	v_add_co_u32 v0, s0, s10, v0
	s_delay_alu instid0(VALU_DEP_1)
	v_add_co_ci_u32_e64 v1, s0, s11, v1, s0
	s_ashr_i32 s0, s3, 31
	global_load_b64 v[0:1], v[0:1], off
	s_waitcnt vmcnt(0)
	v_mul_lo_u32 v3, v1, s3
	v_mul_lo_u32 v5, v0, s0
	v_mad_u64_u32 v[1:2], null, v0, s3, 0
	s_delay_alu instid0(VALU_DEP_1) | instskip(SKIP_1) | instid1(VALU_DEP_2)
	v_add3_u32 v2, v2, v5, v3
	v_lshlrev_b32_e32 v3, 1, v12
	v_lshlrev_b64 v[0:1], 1, v[1:2]
	v_lshlrev_b32_e32 v2, 4, v9
	s_delay_alu instid0(VALU_DEP_1) | instskip(NEXT) | instid1(VALU_DEP_1)
	v_add_co_u32 v0, s0, v0, v2
	v_add_co_ci_u32_e64 v1, s0, 0, v1, s0
	v_add3_u32 v2, v3, v2, 0
	v_mov_b32_e32 v3, v9
	s_delay_alu instid0(VALU_DEP_4) | instskip(NEXT) | instid1(VALU_DEP_1)
	v_add_co_u32 v0, s0, s8, v0
	v_add_co_ci_u32_e64 v1, s0, s9, v1, s0
	s_mov_b32 s8, 0
	.p2align	6
.LBB45_6:                               ; =>This Inner Loop Header: Depth=1
	global_load_b128 v[13:16], v[0:1], off
	v_add_nc_u32_e32 v3, 32, v3
	v_add_co_u32 v0, s0, 0x200, v0
	s_delay_alu instid0(VALU_DEP_1) | instskip(NEXT) | instid1(VALU_DEP_3)
	v_add_co_ci_u32_e64 v1, s0, 0, v1, s0
	v_cmp_le_i32_e64 s1, s2, v3
	s_delay_alu instid0(VALU_DEP_1)
	s_or_b32 s8, s1, s8
	s_waitcnt vmcnt(0)
	ds_store_b128 v2, v[13:16]
	v_add_nc_u32_e32 v2, 0x200, v2
	s_and_not1_b32 exec_lo, exec_lo, s8
	s_cbranch_execnz .LBB45_6
.LBB45_7:
	s_or_b32 exec_lo, exec_lo, s20
	s_delay_alu instid0(SALU_CYCLE_1)
	s_and_b32 exec_lo, exec_lo, vcc_lo
	s_cbranch_execz .LBB45_12
; %bb.8:
	s_waitcnt lgkmcnt(0)
	s_clause 0x1
	global_load_b64 v[0:1], v8, s[4:5]
	global_load_b64 v[2:3], v8, s[6:7]
	s_abs_i32 s2, s3
	v_lshl_add_u32 v21, v12, 1, 0
	v_cvt_f32_u32_e32 v5, s2
	v_mbcnt_lo_u32_b32 v12, -1, 0
	s_lshr_b32 s0, s3, 31
	s_ashr_i32 s1, s3, 31
	s_add_i32 s0, s3, s0
	s_lshr_b32 s6, s1, 30
	s_lshr_b32 s1, s1, 29
	v_rcp_iflag_f32_e32 v5, v5
	v_add_nc_u32_e32 v27, s15, v11
	v_xor_b32_e32 v11, 16, v12
	s_add_i32 s4, s18, s17
	s_and_b32 s0, s0, -2
	s_add_i32 s6, s3, s6
	s_add_i32 s1, s3, s1
	s_lshl_b32 s5, s14, 3
	s_add_i32 s4, s4, s16
	v_add_nc_u32_e32 v22, s0, v21
	s_ashr_i32 s0, s6, 2
	s_ashr_i32 s1, s1, 3
	s_sub_i32 s3, s4, s5
	v_cmp_gt_i32_e32 vcc_lo, s0, v9
	v_xor_b32_e32 v23, s1, v12
	v_cmp_gt_i32_e64 s0, s1, v9
	v_cmp_gt_i32_e64 s1, 32, v11
	v_mul_lo_u32 v4, s3, v4
	s_sub_i32 s7, 0, s2
	v_xor_b32_e32 v13, 8, v12
	v_xor_b32_e32 v18, 4, v12
	v_cndmask_b32_e64 v11, v12, v11, s1
	v_mul_f32_e32 v5, 0x4f7ffffe, v5
	v_xor_b32_e32 v19, 2, v12
	v_cmp_gt_i32_e64 s1, 32, v13
	v_lshl_add_u32 v4, v4, 7, v10
	v_lshlrev_b32_e32 v10, 2, v11
	v_cvt_u32_f32_e32 v5, v5
	v_or_b32_e32 v14, 2, v8
	v_cndmask_b32_e64 v13, v12, v13, s1
	v_cmp_gt_i32_e64 s1, 32, v18
	v_or_b32_e32 v15, 4, v8
	v_mul_lo_u32 v17, s7, v5
	v_or_b32_e32 v16, 6, v8
	v_xor_b32_e32 v20, 1, v12
	v_lshlrev_b32_e32 v11, 2, v13
	v_lshl_or_b32 v4, v9, 2, v4
	s_mov_b32 s3, 0
	s_mov_b32 s4, 0
	v_mul_hi_u32 v17, v5, v17
	s_delay_alu instid0(VALU_DEP_1) | instskip(SKIP_2) | instid1(VALU_DEP_3)
	v_add_nc_u32_e32 v5, v5, v17
	v_cndmask_b32_e64 v17, v12, v18, s1
	v_cmp_gt_i32_e64 s1, 32, v19
	v_mul_hi_u32 v24, v14, v5
	v_mul_hi_u32 v25, v15, v5
	s_delay_alu instid0(VALU_DEP_3) | instskip(SKIP_3) | instid1(VALU_DEP_4)
	v_cndmask_b32_e64 v18, v12, v19, s1
	v_mul_hi_u32 v19, v8, v5
	v_mul_hi_u32 v5, v16, v5
	v_cmp_gt_i32_e64 s1, 32, v20
	v_lshlrev_b32_e32 v13, 2, v18
	v_mul_lo_u32 v24, v24, s2
	v_mul_lo_u32 v25, v25, s2
	s_delay_alu instid0(VALU_DEP_4) | instskip(SKIP_4) | instid1(VALU_DEP_3)
	v_cndmask_b32_e64 v20, v12, v20, s1
	v_mul_lo_u32 v19, v19, s2
	v_cmp_gt_i32_e64 s1, 32, v23
	v_mul_lo_u32 v5, v5, s2
	v_sub_nc_u32_e32 v18, v14, v24
	v_cndmask_b32_e64 v23, v12, v23, s1
	v_lshlrev_b32_e32 v12, 2, v17
	v_sub_nc_u32_e32 v17, v8, v19
	v_sub_nc_u32_e32 v15, v15, v25
	;; [unrolled: 1-line block ×3, first 2 shown]
	v_subrev_nc_u32_e32 v19, s2, v18
	v_lshlrev_b32_e32 v14, 2, v20
	v_subrev_nc_u32_e32 v16, s2, v17
	v_cmp_le_u32_e64 s1, s2, v17
	v_subrev_nc_u32_e32 v20, s2, v15
	v_subrev_nc_u32_e32 v24, s2, v5
	v_add3_u32 v8, v27, v8, 0
	s_delay_alu instid0(VALU_DEP_4) | instskip(SKIP_1) | instid1(VALU_DEP_1)
	v_cndmask_b32_e64 v16, v17, v16, s1
	v_cmp_le_u32_e64 s1, s2, v18
	v_cndmask_b32_e64 v17, v18, v19, s1
	v_cmp_le_u32_e64 s1, s2, v15
	s_delay_alu instid0(VALU_DEP_4) | instskip(NEXT) | instid1(VALU_DEP_2)
	v_subrev_nc_u32_e32 v19, s2, v16
	v_cndmask_b32_e64 v18, v15, v20, s1
	v_cmp_le_u32_e64 s1, s2, v5
	v_subrev_nc_u32_e32 v20, s2, v17
	v_lshlrev_b32_e32 v15, 2, v23
	s_delay_alu instid0(VALU_DEP_4) | instskip(NEXT) | instid1(VALU_DEP_4)
	v_subrev_nc_u32_e32 v23, s2, v18
	v_cndmask_b32_e64 v5, v5, v24, s1
	v_cmp_le_u32_e64 s1, s2, v16
	s_delay_alu instid0(VALU_DEP_2) | instskip(NEXT) | instid1(VALU_DEP_2)
	v_subrev_nc_u32_e32 v24, s2, v5
	v_cndmask_b32_e64 v16, v16, v19, s1
	v_cmp_le_u32_e64 s1, s2, v17
	s_delay_alu instid0(VALU_DEP_2) | instskip(NEXT) | instid1(VALU_DEP_2)
	v_and_b32_e32 v16, -2, v16
	v_cndmask_b32_e64 v17, v17, v20, s1
	v_cmp_le_u32_e64 s1, s2, v18
	s_delay_alu instid0(VALU_DEP_3) | instskip(NEXT) | instid1(VALU_DEP_3)
	v_add_nc_u32_e32 v9, v21, v16
	v_and_b32_e32 v19, -2, v17
	s_delay_alu instid0(VALU_DEP_3) | instskip(SKIP_2) | instid1(VALU_DEP_4)
	v_cndmask_b32_e64 v18, v18, v23, s1
	v_cmp_le_u32_e64 s1, s2, v5
	v_add_nc_u32_e32 v16, v22, v16
	v_add_nc_u32_e32 v17, v21, v19
	s_delay_alu instid0(VALU_DEP_4) | instskip(NEXT) | instid1(VALU_DEP_4)
	v_and_b32_e32 v20, -2, v18
	v_cndmask_b32_e64 v5, v5, v24, s1
	v_add_nc_u32_e32 v18, v22, v19
	s_delay_alu instid0(VALU_DEP_3) | instskip(NEXT) | instid1(VALU_DEP_3)
	v_add_nc_u32_e32 v19, v21, v20
	v_and_b32_e32 v5, -2, v5
	v_add_nc_u32_e32 v20, v22, v20
	s_delay_alu instid0(VALU_DEP_2)
	v_add_nc_u32_e32 v21, v21, v5
	v_add_nc_u32_e32 v22, v22, v5
	s_waitcnt vmcnt(1)
	v_lshrrev_b32_e32 v23, 16, v0
	v_lshrrev_b32_e32 v24, 16, v1
	s_waitcnt vmcnt(0)
	v_lshrrev_b32_e32 v25, 16, v2
	v_lshrrev_b32_e32 v26, 16, v3
	s_branch .LBB45_10
.LBB45_9:                               ;   in Loop: Header=BB45_10 Depth=1
	s_or_b32 exec_lo, exec_lo, s1
	v_ashrrev_i32_e32 v5, 31, v4
	v_cvt_f16_f32_e32 v31, v29
	v_cvt_f16_f32_e32 v32, v30
	s_add_i32 s4, s4, 1
	v_add_nc_u32_e32 v8, 0x100, v8
	v_lshlrev_b64 v[29:30], 1, v[4:5]
	v_cvt_f16_f32_e32 v5, v27
	v_cvt_f16_f32_e32 v27, v28
	v_pack_b32_f16 v28, v31, v32
	v_add_nc_u32_e32 v4, 0x80, v4
	v_add_co_u32 v29, s1, s12, v29
	s_delay_alu instid0(VALU_DEP_1) | instskip(SKIP_2) | instid1(VALU_DEP_2)
	v_add_co_ci_u32_e64 v30, s1, s13, v30, s1
	v_cmp_ge_i32_e64 s1, s4, v7
	v_pack_b32_f16 v27, v5, v27
	s_or_b32 s3, s1, s3
	global_store_b64 v[29:30], v[27:28], off
	s_and_not1_b32 exec_lo, exec_lo, s3
	s_cbranch_execz .LBB45_12
.LBB45_10:                              ; =>This Inner Loop Header: Depth=1
	ds_load_b64 v[27:28], v8
	s_waitcnt lgkmcnt(0)
	v_lshrrev_b32_e32 v5, 16, v27
	v_lshrrev_b32_e32 v35, 16, v28
	s_delay_alu instid0(VALU_DEP_2) | instskip(NEXT) | instid1(VALU_DEP_2)
	v_cvt_f32_f16_e32 v5, v5
	v_cvt_f32_f16_e32 v35, v35
	s_delay_alu instid0(VALU_DEP_2) | instskip(NEXT) | instid1(VALU_DEP_1)
	v_mul_f32_e32 v29, v5, v5
	v_fma_mix_f32 v29, v27, v27, v29 op_sel_hi:[1,1,0]
	v_cvt_f32_f16_e32 v27, v27
	s_delay_alu instid0(VALU_DEP_2) | instskip(NEXT) | instid1(VALU_DEP_1)
	v_fma_mix_f32 v29, v28, v28, v29 op_sel_hi:[1,1,0]
	v_fma_mix_f32 v29, v28, v28, v29 op_sel:[1,1,0] op_sel_hi:[1,1,0]
	ds_bpermute_b32 v30, v10, v29
	s_waitcnt lgkmcnt(0)
	v_add_f32_e32 v29, v29, v30
	ds_bpermute_b32 v30, v11, v29
	s_waitcnt lgkmcnt(0)
	v_add_f32_e32 v29, v29, v30
	;; [unrolled: 3-line block ×5, first 2 shown]
	s_delay_alu instid0(VALU_DEP_1) | instskip(NEXT) | instid1(VALU_DEP_1)
	v_fma_f32 v29, 0x3c000000, v29, s19
	v_mul_f32_e32 v30, 0x4b800000, v29
	v_cmp_gt_f32_e64 s1, 0x800000, v29
	s_delay_alu instid0(VALU_DEP_1) | instskip(SKIP_1) | instid1(VALU_DEP_2)
	v_cndmask_b32_e64 v29, v29, v30, s1
	v_add_nc_u32_e32 v30, s4, v6
	v_rsq_f32_e32 v29, v29
	s_delay_alu instid0(VALU_DEP_1) | instskip(NEXT) | instid1(VALU_DEP_1)
	v_cmp_gt_i32_e64 s2, s16, v30
	v_cndmask_b32_e64 v30, v2, v0, s2
	v_cndmask_b32_e64 v31, v25, v23, s2
	;; [unrolled: 1-line block ×4, first 2 shown]
	s_delay_alu instid0(VALU_DEP_4) | instskip(NEXT) | instid1(TRANS32_DEP_1)
	v_cvt_f32_f16_e32 v30, v30
	v_mul_f32_e32 v33, 0x45800000, v29
	v_cvt_f32_f16_e32 v31, v31
	v_cvt_f32_f16_e32 v32, v32
	s_delay_alu instid0(VALU_DEP_3) | instskip(SKIP_2) | instid1(VALU_DEP_3)
	v_cndmask_b32_e64 v29, v29, v33, s1
	v_cvt_f32_f16_e32 v33, v34
	v_cvt_f32_f16_e32 v34, v28
	v_mul_f32_e32 v28, v29, v30
	v_mul_f32_e32 v30, v29, v31
	;; [unrolled: 1-line block ×3, first 2 shown]
	s_delay_alu instid0(VALU_DEP_3) | instskip(NEXT) | instid1(VALU_DEP_2)
	v_dual_mul_f32 v32, v29, v33 :: v_dual_mul_f32 v27, v28, v27
	v_dual_mul_f32 v29, v31, v34 :: v_dual_mul_f32 v28, v30, v5
	s_delay_alu instid0(VALU_DEP_2)
	v_mul_f32_e32 v30, v32, v35
	s_and_saveexec_b32 s1, vcc_lo
	s_cbranch_execz .LBB45_9
; %bb.11:                               ;   in Loop: Header=BB45_10 Depth=1
	; wave barrier
	ds_bpermute_b32 v5, v15, v27
	ds_load_u16 v31, v16
	ds_load_u16 v33, v18
	;; [unrolled: 1-line block ×3, first 2 shown]
	ds_bpermute_b32 v32, v15, v28
	ds_bpermute_b32 v34, v15, v29
	;; [unrolled: 1-line block ×3, first 2 shown]
	ds_load_u16 v37, v22
	ds_load_u16 v38, v9
	;; [unrolled: 1-line block ×5, first 2 shown]
	; wave barrier
	s_waitcnt lgkmcnt(11)
	v_cndmask_b32_e64 v5, v5, -v5, s0
	s_waitcnt lgkmcnt(10)
	v_cvt_f32_f16_e32 v31, v31
	s_waitcnt lgkmcnt(9)
	v_cvt_f32_f16_e32 v33, v33
	;; [unrolled: 2-line block ×3, first 2 shown]
	s_waitcnt lgkmcnt(7)
	v_cndmask_b32_e64 v32, v32, -v32, s0
	s_waitcnt lgkmcnt(6)
	v_cndmask_b32_e64 v34, v34, -v34, s0
	;; [unrolled: 2-line block ×3, first 2 shown]
	s_waitcnt lgkmcnt(4)
	v_cvt_f32_f16_e32 v37, v37
	v_mul_f32_e32 v5, v5, v31
	v_dual_mul_f32 v31, v32, v33 :: v_dual_mul_f32 v32, v34, v35
	s_delay_alu instid0(VALU_DEP_3) | instskip(SKIP_1) | instid1(VALU_DEP_3)
	v_mul_f32_e32 v33, v36, v37
	s_waitcnt lgkmcnt(3)
	v_fma_mix_f32 v27, v27, v38, v5 op_sel_hi:[0,1,0]
	s_waitcnt lgkmcnt(2)
	v_fma_mix_f32 v28, v28, v39, v31 op_sel_hi:[0,1,0]
	s_waitcnt lgkmcnt(1)
	v_fma_mix_f32 v29, v29, v40, v32 op_sel_hi:[0,1,0]
	s_waitcnt lgkmcnt(0)
	v_fma_mix_f32 v30, v30, v41, v33 op_sel_hi:[0,1,0]
	s_branch .LBB45_9
.LBB45_12:
	s_nop 0
	s_sendmsg sendmsg(MSG_DEALLOC_VGPRS)
	s_endpgm
	.section	.rodata,"a",@progbits
	.p2align	6, 0x0
	.amdhsa_kernel _ZN12tensorrt_llm7kernels32fusedQKNormRopeKernelNTokenHeadsIN3c104HalfES3_Li128ELb0ELi8EEEvPviiifPKvS6_S6_PKlii
		.amdhsa_group_segment_fixed_size 0
		.amdhsa_private_segment_fixed_size 0
		.amdhsa_kernarg_size 320
		.amdhsa_user_sgpr_count 15
		.amdhsa_user_sgpr_dispatch_ptr 0
		.amdhsa_user_sgpr_queue_ptr 0
		.amdhsa_user_sgpr_kernarg_segment_ptr 1
		.amdhsa_user_sgpr_dispatch_id 0
		.amdhsa_user_sgpr_private_segment_size 0
		.amdhsa_wavefront_size32 1
		.amdhsa_uses_dynamic_stack 0
		.amdhsa_enable_private_segment 0
		.amdhsa_system_sgpr_workgroup_id_x 1
		.amdhsa_system_sgpr_workgroup_id_y 0
		.amdhsa_system_sgpr_workgroup_id_z 0
		.amdhsa_system_sgpr_workgroup_info 0
		.amdhsa_system_vgpr_workitem_id 0
		.amdhsa_next_free_vgpr 42
		.amdhsa_next_free_sgpr 21
		.amdhsa_reserve_vcc 1
		.amdhsa_float_round_mode_32 0
		.amdhsa_float_round_mode_16_64 0
		.amdhsa_float_denorm_mode_32 3
		.amdhsa_float_denorm_mode_16_64 3
		.amdhsa_dx10_clamp 1
		.amdhsa_ieee_mode 1
		.amdhsa_fp16_overflow 0
		.amdhsa_workgroup_processor_mode 1
		.amdhsa_memory_ordered 1
		.amdhsa_forward_progress 0
		.amdhsa_shared_vgpr_count 0
		.amdhsa_exception_fp_ieee_invalid_op 0
		.amdhsa_exception_fp_denorm_src 0
		.amdhsa_exception_fp_ieee_div_zero 0
		.amdhsa_exception_fp_ieee_overflow 0
		.amdhsa_exception_fp_ieee_underflow 0
		.amdhsa_exception_fp_ieee_inexact 0
		.amdhsa_exception_int_div_zero 0
	.end_amdhsa_kernel
	.section	.text._ZN12tensorrt_llm7kernels32fusedQKNormRopeKernelNTokenHeadsIN3c104HalfES3_Li128ELb0ELi8EEEvPviiifPKvS6_S6_PKlii,"axG",@progbits,_ZN12tensorrt_llm7kernels32fusedQKNormRopeKernelNTokenHeadsIN3c104HalfES3_Li128ELb0ELi8EEEvPviiifPKvS6_S6_PKlii,comdat
.Lfunc_end45:
	.size	_ZN12tensorrt_llm7kernels32fusedQKNormRopeKernelNTokenHeadsIN3c104HalfES3_Li128ELb0ELi8EEEvPviiifPKvS6_S6_PKlii, .Lfunc_end45-_ZN12tensorrt_llm7kernels32fusedQKNormRopeKernelNTokenHeadsIN3c104HalfES3_Li128ELb0ELi8EEEvPviiifPKvS6_S6_PKlii
                                        ; -- End function
	.section	.AMDGPU.csdata,"",@progbits
; Kernel info:
; codeLenInByte = 2296
; NumSgprs: 23
; NumVgprs: 42
; ScratchSize: 0
; MemoryBound: 0
; FloatMode: 240
; IeeeMode: 1
; LDSByteSize: 0 bytes/workgroup (compile time only)
; SGPRBlocks: 2
; VGPRBlocks: 5
; NumSGPRsForWavesPerEU: 23
; NumVGPRsForWavesPerEU: 42
; Occupancy: 16
; WaveLimiterHint : 0
; COMPUTE_PGM_RSRC2:SCRATCH_EN: 0
; COMPUTE_PGM_RSRC2:USER_SGPR: 15
; COMPUTE_PGM_RSRC2:TRAP_HANDLER: 0
; COMPUTE_PGM_RSRC2:TGID_X_EN: 1
; COMPUTE_PGM_RSRC2:TGID_Y_EN: 0
; COMPUTE_PGM_RSRC2:TGID_Z_EN: 0
; COMPUTE_PGM_RSRC2:TIDIG_COMP_CNT: 0
	.section	.text._ZN12tensorrt_llm7kernels32fusedQKNormRopeKernelNTokenHeadsIN3c104HalfES3_Li256ELb1ELi8EEEvPviiifPKvS6_S6_PKlii,"axG",@progbits,_ZN12tensorrt_llm7kernels32fusedQKNormRopeKernelNTokenHeadsIN3c104HalfES3_Li256ELb1ELi8EEEvPviiifPKvS6_S6_PKlii,comdat
	.protected	_ZN12tensorrt_llm7kernels32fusedQKNormRopeKernelNTokenHeadsIN3c104HalfES3_Li256ELb1ELi8EEEvPviiifPKvS6_S6_PKlii ; -- Begin function _ZN12tensorrt_llm7kernels32fusedQKNormRopeKernelNTokenHeadsIN3c104HalfES3_Li256ELb1ELi8EEEvPviiifPKvS6_S6_PKlii
	.globl	_ZN12tensorrt_llm7kernels32fusedQKNormRopeKernelNTokenHeadsIN3c104HalfES3_Li256ELb1ELi8EEEvPviiifPKvS6_S6_PKlii
	.p2align	8
	.type	_ZN12tensorrt_llm7kernels32fusedQKNormRopeKernelNTokenHeadsIN3c104HalfES3_Li256ELb1ELi8EEEvPviiifPKvS6_S6_PKlii,@function
_ZN12tensorrt_llm7kernels32fusedQKNormRopeKernelNTokenHeadsIN3c104HalfES3_Li256ELb1ELi8EEEvPviiifPKvS6_S6_PKlii: ; @_ZN12tensorrt_llm7kernels32fusedQKNormRopeKernelNTokenHeadsIN3c104HalfES3_Li256ELb1ELi8EEEvPviiifPKvS6_S6_PKlii
; %bb.0:
	s_clause 0x1
	s_load_b128 s[16:19], s[0:1], 0x8
	s_load_b64 s[2:3], s[0:1], 0x38
	s_waitcnt lgkmcnt(0)
	s_add_i32 s4, s17, s16
	s_delay_alu instid0(SALU_CYCLE_1) | instskip(NEXT) | instid1(SALU_CYCLE_1)
	s_add_i32 s5, s4, 7
	s_ashr_i32 s6, s5, 31
	s_delay_alu instid0(SALU_CYCLE_1) | instskip(NEXT) | instid1(SALU_CYCLE_1)
	s_lshr_b32 s6, s6, 29
	s_add_i32 s5, s5, s6
	s_delay_alu instid0(SALU_CYCLE_1) | instskip(SKIP_2) | instid1(SALU_CYCLE_1)
	s_ashr_i32 s14, s5, 3
	s_load_b32 s5, s[0:1], 0x4c
	s_abs_i32 s6, s14
	v_cvt_f32_u32_e32 v1, s6
	s_sub_i32 s7, 0, s6
	s_delay_alu instid0(VALU_DEP_1) | instskip(SKIP_4) | instid1(VALU_DEP_1)
	v_rcp_iflag_f32_e32 v1, v1
	s_waitcnt_depctr 0xfff
	v_mul_f32_e32 v1, 0x4f7ffffe, v1
	s_waitcnt lgkmcnt(0)
	s_bfe_u32 s5, s5, 0xb0005
	v_cvt_u32_f32_e32 v4, v1
	v_lshrrev_b32_e32 v1, 5, v0
	s_delay_alu instid0(VALU_DEP_2) | instskip(NEXT) | instid1(VALU_DEP_2)
	v_mul_lo_u32 v5, s7, v4
	v_mad_u64_u32 v[2:3], null, s15, s5, v[1:2]
	s_delay_alu instid0(VALU_DEP_2) | instskip(NEXT) | instid1(VALU_DEP_2)
	v_mul_hi_u32 v3, v4, v5
	v_sub_nc_u32_e32 v5, 0, v2
	s_delay_alu instid0(VALU_DEP_1) | instskip(NEXT) | instid1(VALU_DEP_3)
	v_max_i32_e32 v5, v2, v5
	v_add_nc_u32_e32 v3, v4, v3
	s_delay_alu instid0(VALU_DEP_1) | instskip(NEXT) | instid1(VALU_DEP_1)
	v_mul_hi_u32 v3, v5, v3
	v_mul_lo_u32 v4, v3, s6
	s_delay_alu instid0(VALU_DEP_1) | instskip(SKIP_1) | instid1(VALU_DEP_2)
	v_sub_nc_u32_e32 v4, v5, v4
	v_add_nc_u32_e32 v5, 1, v3
	v_subrev_nc_u32_e32 v6, s6, v4
	v_cmp_le_u32_e32 vcc_lo, s6, v4
	s_delay_alu instid0(VALU_DEP_2) | instskip(SKIP_1) | instid1(VALU_DEP_2)
	v_dual_cndmask_b32 v4, v4, v6 :: v_dual_cndmask_b32 v3, v3, v5
	v_xor_b32_e32 v5, s14, v2
	v_cmp_le_u32_e32 vcc_lo, s6, v4
	s_delay_alu instid0(VALU_DEP_3) | instskip(NEXT) | instid1(VALU_DEP_3)
	v_add_nc_u32_e32 v6, 1, v3
	v_ashrrev_i32_e32 v5, 31, v5
	s_delay_alu instid0(VALU_DEP_2) | instskip(NEXT) | instid1(VALU_DEP_1)
	v_cndmask_b32_e32 v3, v3, v6, vcc_lo
	v_xor_b32_e32 v3, v3, v5
	s_delay_alu instid0(VALU_DEP_1) | instskip(NEXT) | instid1(VALU_DEP_1)
	v_sub_nc_u32_e32 v4, v3, v5
	v_cmp_gt_i32_e32 vcc_lo, s2, v4
	s_and_saveexec_b32 s2, vcc_lo
	s_cbranch_execz .LBB46_12
; %bb.1:
	v_mul_lo_u32 v3, v4, s14
	s_load_b64 s[12:13], s[0:1], 0x0
	v_and_b32_e32 v14, 31, v0
	v_lshlrev_b32_e32 v12, 12, v1
	v_lshlrev_b32_e32 v15, 11, v2
	s_lshl_b32 s20, s3, 1
	s_delay_alu instid0(VALU_DEP_3) | instskip(SKIP_2) | instid1(VALU_DEP_1)
	v_lshlrev_b32_e32 v13, 4, v14
	v_sub_nc_u32_e32 v3, v2, v3
	s_mul_i32 s15, s20, s5
	v_lshlrev_b32_e32 v6, 3, v3
	s_delay_alu instid0(VALU_DEP_1) | instskip(SKIP_1) | instid1(VALU_DEP_2)
	v_add_nc_u32_e32 v3, 8, v6
	v_sub_nc_u32_e32 v5, s4, v6
	v_cmp_lt_i32_e32 vcc_lo, s4, v3
	s_delay_alu instid0(VALU_DEP_2) | instskip(NEXT) | instid1(VALU_DEP_1)
	v_cndmask_b32_e32 v7, 8, v5, vcc_lo
	v_cmp_lt_i32_e32 vcc_lo, 0, v7
	s_and_saveexec_b32 s4, vcc_lo
	s_cbranch_execz .LBB46_4
; %bb.2:
	s_add_i32 s2, s18, s17
	s_lshl_b32 s5, s14, 3
	s_add_i32 s2, s2, s16
	s_mov_b32 s6, 0
	s_sub_i32 s2, s2, s5
	s_mov_b32 s5, 0
	v_mul_lo_u32 v2, s2, v4
	s_add_i32 s2, s15, 0
	s_delay_alu instid0(SALU_CYCLE_1) | instskip(NEXT) | instid1(VALU_DEP_2)
	v_add3_u32 v5, s2, v12, v13
	v_lshl_add_u32 v2, v2, 8, v15
	s_delay_alu instid0(VALU_DEP_1)
	v_lshl_or_b32 v2, v14, 3, v2
	.p2align	6
.LBB46_3:                               ; =>This Inner Loop Header: Depth=1
	s_delay_alu instid0(VALU_DEP_1) | instskip(SKIP_1) | instid1(VALU_DEP_1)
	v_ashrrev_i32_e32 v3, 31, v2
	s_add_i32 s6, s6, 1
	v_lshlrev_b64 v[8:9], 1, v[2:3]
	v_add_nc_u32_e32 v2, 0x100, v2
	s_waitcnt lgkmcnt(0)
	s_delay_alu instid0(VALU_DEP_2) | instskip(NEXT) | instid1(VALU_DEP_1)
	v_add_co_u32 v8, s2, s12, v8
	v_add_co_ci_u32_e64 v9, s2, s13, v9, s2
	v_cmp_ge_i32_e64 s2, s6, v7
	global_load_b128 v[8:11], v[8:9], off
	s_or_b32 s5, s2, s5
	s_waitcnt vmcnt(0)
	ds_store_b128 v5, v[8:11]
	v_add_nc_u32_e32 v5, 0x200, v5
	s_and_not1_b32 exec_lo, exec_lo, s5
	s_cbranch_execnz .LBB46_3
.LBB46_4:
	s_or_b32 exec_lo, exec_lo, s4
	s_load_b256 s[4:11], s[0:1], 0x18
	v_mul_lo_u32 v1, v1, s3
	s_add_i32 s0, s20, 15
	s_mov_b32 s20, exec_lo
	s_ashr_i32 s1, s0, 31
	s_delay_alu instid0(SALU_CYCLE_1) | instskip(NEXT) | instid1(SALU_CYCLE_1)
	s_lshr_b32 s1, s1, 28
	s_add_i32 s0, s0, s1
	s_delay_alu instid0(VALU_DEP_1) | instskip(SKIP_1) | instid1(SALU_CYCLE_1)
	v_lshlrev_b32_e32 v16, 1, v1
	s_ashr_i32 s2, s0, 4
	v_cmpx_gt_i32_e64 s2, v14
	s_cbranch_execz .LBB46_7
; %bb.5:
	v_ashrrev_i32_e32 v5, 31, v4
	s_delay_alu instid0(VALU_DEP_1) | instskip(SKIP_1) | instid1(VALU_DEP_1)
	v_lshlrev_b64 v[1:2], 3, v[4:5]
	s_waitcnt lgkmcnt(0)
	v_add_co_u32 v1, s0, s10, v1
	s_delay_alu instid0(VALU_DEP_1)
	v_add_co_ci_u32_e64 v2, s0, s11, v2, s0
	s_ashr_i32 s0, s3, 31
	global_load_b64 v[1:2], v[1:2], off
	s_waitcnt vmcnt(0)
	v_mul_lo_u32 v5, v2, s3
	v_mul_lo_u32 v8, v1, s0
	v_mad_u64_u32 v[2:3], null, v1, s3, 0
	s_delay_alu instid0(VALU_DEP_1) | instskip(SKIP_1) | instid1(VALU_DEP_2)
	v_add3_u32 v3, v3, v8, v5
	v_and_b32_e32 v5, 31, v0
	v_lshlrev_b64 v[0:1], 1, v[2:3]
	s_delay_alu instid0(VALU_DEP_2) | instskip(NEXT) | instid1(VALU_DEP_1)
	v_dual_mov_b32 v3, v14 :: v_dual_lshlrev_b32 v2, 4, v5
	v_add_co_u32 v0, s0, v0, v2
	s_delay_alu instid0(VALU_DEP_1) | instskip(SKIP_1) | instid1(VALU_DEP_3)
	v_add_co_ci_u32_e64 v1, s0, 0, v1, s0
	v_add3_u32 v2, v16, v13, 0
	v_add_co_u32 v0, s0, s8, v0
	s_delay_alu instid0(VALU_DEP_1)
	v_add_co_ci_u32_e64 v1, s0, s9, v1, s0
	s_mov_b32 s8, 0
	.p2align	6
.LBB46_6:                               ; =>This Inner Loop Header: Depth=1
	global_load_b128 v[8:11], v[0:1], off
	v_add_nc_u32_e32 v3, 32, v3
	v_add_co_u32 v0, s0, 0x200, v0
	s_delay_alu instid0(VALU_DEP_1) | instskip(NEXT) | instid1(VALU_DEP_3)
	v_add_co_ci_u32_e64 v1, s0, 0, v1, s0
	v_cmp_le_i32_e64 s1, s2, v3
	s_delay_alu instid0(VALU_DEP_1)
	s_or_b32 s8, s1, s8
	s_waitcnt vmcnt(0)
	ds_store_b128 v2, v[8:11]
	v_add_nc_u32_e32 v2, 0x200, v2
	s_and_not1_b32 exec_lo, exec_lo, s8
	s_cbranch_execnz .LBB46_6
.LBB46_7:
	s_or_b32 exec_lo, exec_lo, s20
	s_delay_alu instid0(SALU_CYCLE_1)
	s_and_b32 exec_lo, exec_lo, vcc_lo
	s_cbranch_execz .LBB46_12
; %bb.8:
	s_waitcnt lgkmcnt(0)
	s_clause 0x5
	global_load_b32 v8, v13, s[6:7] offset:2
	global_load_b64 v[0:1], v13, s[4:5] offset:8
	global_load_u16 v9, v13, s[4:5]
	global_load_u16 v10, v13, s[6:7]
	global_load_b32 v11, v13, s[4:5] offset:2
	global_load_b64 v[2:3], v13, s[6:7] offset:8
	v_mbcnt_lo_u32_b32 v17, -1, 0
	s_lshr_b32 s0, s3, 31
	s_ashr_i32 s1, s3, 31
	s_add_i32 s0, s3, s0
	s_lshr_b32 s1, s1, 29
	v_xor_b32_e32 v19, 16, v17
	v_lshlrev_b32_e32 v5, 3, v14
	v_xor_b32_e32 v20, 8, v17
	v_add_nc_u32_e32 v18, s15, v12
	v_xor_b32_e32 v21, 4, v17
	v_xor_b32_e32 v22, 2, v17
	v_add3_u32 v12, 0, v16, v5
	s_add_i32 s2, s18, s17
	v_xor_b32_e32 v23, 1, v17
	s_add_i32 s2, s2, s16
	s_clause 0x1
	global_load_d16_hi_b16 v9, v13, s[4:5] offset:6
	global_load_d16_hi_b16 v10, v13, s[6:7] offset:6
	s_and_b32 s5, s0, -2
	s_add_i32 s0, s3, s1
	v_add3_u32 v13, v18, v13, 0
	s_ashr_i32 s0, s0, 3
	s_lshl_b32 s4, s14, 3
	v_cmp_gt_i32_e32 vcc_lo, s0, v14
	v_cmp_gt_i32_e64 s0, 32, v19
	s_sub_i32 s1, s2, s4
	v_add_nc_u32_e32 v14, s5, v12
	v_mul_lo_u32 v4, s1, v4
	s_waitcnt vmcnt(6)
	v_lshrrev_b32_e32 v24, 16, v1
	v_cndmask_b32_e64 v16, v17, v19, s0
	v_cmp_gt_i32_e64 s0, 32, v20
	s_waitcnt vmcnt(2)
	v_lshrrev_b32_e32 v27, 16, v3
	s_mov_b32 s2, 0
	s_mov_b32 s3, 0
	v_cndmask_b32_e64 v18, v17, v20, s0
	v_cmp_gt_i32_e64 s0, 32, v21
	v_lshl_add_u32 v4, v4, 8, v15
	v_lshlrev_b32_e32 v15, 2, v16
	s_delay_alu instid0(VALU_DEP_4) | instskip(NEXT) | instid1(VALU_DEP_4)
	v_lshlrev_b32_e32 v16, 2, v18
	v_cndmask_b32_e64 v19, v17, v21, s0
	v_cmp_gt_i32_e64 s0, 32, v22
	v_or_b32_e32 v4, v4, v5
	s_delay_alu instid0(VALU_DEP_2) | instskip(SKIP_2) | instid1(VALU_DEP_3)
	v_cndmask_b32_e64 v20, v17, v22, s0
	v_cmp_gt_i32_e64 s0, 32, v23
	v_lshrrev_b32_e32 v22, 16, v0
	v_lshlrev_b32_e32 v18, 2, v20
	s_delay_alu instid0(VALU_DEP_3) | instskip(SKIP_3) | instid1(VALU_DEP_4)
	v_cndmask_b32_e64 v21, v17, v23, s0
	v_lshlrev_b32_e32 v17, 2, v19
	v_lshrrev_b32_e32 v20, 16, v11
	v_lshrrev_b32_e32 v23, 16, v2
	v_lshlrev_b32_e32 v19, 2, v21
	v_lshrrev_b32_e32 v21, 16, v8
	s_waitcnt vmcnt(1)
	v_lshrrev_b32_e32 v25, 16, v9
	s_waitcnt vmcnt(0)
	v_lshrrev_b32_e32 v26, 16, v10
	s_branch .LBB46_10
.LBB46_9:                               ;   in Loop: Header=BB46_10 Depth=1
	s_or_b32 exec_lo, exec_lo, s0
	v_ashrrev_i32_e32 v5, 31, v4
	v_cvt_f16_f32_e32 v38, v35
	v_cvt_f16_f32_e32 v37, v31
	;; [unrolled: 1-line block ×4, first 2 shown]
	v_lshlrev_b64 v[35:36], 1, v[4:5]
	v_cvt_f16_f32_e32 v5, v34
	v_cvt_f16_f32_e32 v30, v30
	;; [unrolled: 1-line block ×4, first 2 shown]
	s_add_i32 s3, s3, 1
	v_add_co_u32 v32, s0, s12, v35
	s_delay_alu instid0(VALU_DEP_1)
	v_add_co_ci_u32_e64 v33, s0, s13, v36, s0
	v_cmp_ge_i32_e64 s0, s3, v7
	v_pack_b32_f16 v31, v31, v29
	v_pack_b32_f16 v30, v5, v30
	;; [unrolled: 1-line block ×4, first 2 shown]
	v_add_nc_u32_e32 v4, 0x100, v4
	v_add_nc_u32_e32 v13, 0x200, v13
	s_or_b32 s2, s0, s2
	global_store_b128 v[32:33], v[28:31], off
	s_and_not1_b32 exec_lo, exec_lo, s2
	s_cbranch_execz .LBB46_12
.LBB46_10:                              ; =>This Inner Loop Header: Depth=1
	ds_load_b128 v[28:31], v13
	s_waitcnt lgkmcnt(0)
	v_lshrrev_b32_e32 v5, 16, v28
	v_lshrrev_b32_e32 v42, 16, v31
	v_cvt_f32_f16_e32 v44, v31
	v_lshrrev_b32_e32 v41, 16, v29
	s_delay_alu instid0(VALU_DEP_4) | instskip(NEXT) | instid1(VALU_DEP_4)
	v_cvt_f32_f16_e32 v5, v5
	v_cvt_f32_f16_e32 v42, v42
	s_delay_alu instid0(VALU_DEP_2) | instskip(NEXT) | instid1(VALU_DEP_1)
	v_mul_f32_e32 v32, v5, v5
	v_fma_mix_f32 v32, v28, v28, v32 op_sel_hi:[1,1,0]
	s_delay_alu instid0(VALU_DEP_1) | instskip(NEXT) | instid1(VALU_DEP_1)
	v_fma_mix_f32 v32, v29, v29, v32 op_sel_hi:[1,1,0]
	v_fma_mix_f32 v32, v29, v29, v32 op_sel:[1,1,0] op_sel_hi:[1,1,0]
	v_cvt_f32_f16_e32 v29, v29
	s_delay_alu instid0(VALU_DEP_2) | instskip(NEXT) | instid1(VALU_DEP_1)
	v_fma_mix_f32 v32, v30, v30, v32 op_sel_hi:[1,1,0]
	v_fma_mix_f32 v32, v30, v30, v32 op_sel:[1,1,0] op_sel_hi:[1,1,0]
	s_delay_alu instid0(VALU_DEP_1) | instskip(NEXT) | instid1(VALU_DEP_1)
	v_fma_mix_f32 v32, v31, v31, v32 op_sel_hi:[1,1,0]
	v_fma_mix_f32 v32, v31, v31, v32 op_sel:[1,1,0] op_sel_hi:[1,1,0]
	v_cvt_f32_f16_e32 v31, v28
	v_lshrrev_b32_e32 v28, 16, v30
	ds_bpermute_b32 v33, v15, v32
	s_waitcnt lgkmcnt(0)
	v_add_f32_e32 v32, v32, v33
	ds_bpermute_b32 v33, v16, v32
	s_waitcnt lgkmcnt(0)
	v_add_f32_e32 v32, v32, v33
	;; [unrolled: 3-line block ×5, first 2 shown]
	s_delay_alu instid0(VALU_DEP_1) | instskip(NEXT) | instid1(VALU_DEP_1)
	v_fma_f32 v32, 0x3b800000, v32, s19
	v_dual_mul_f32 v35, 0x4b800000, v32 :: v_dual_add_nc_u32 v34, s3, v6
	v_cmp_gt_f32_e64 s1, 0x800000, v32
	s_delay_alu instid0(VALU_DEP_2) | instskip(NEXT) | instid1(VALU_DEP_2)
	v_cmp_gt_i32_e64 s0, s16, v34
	v_cndmask_b32_e64 v32, v32, v35, s1
	s_delay_alu instid0(VALU_DEP_2)
	v_cndmask_b32_e64 v34, v8, v11, s0
	v_cndmask_b32_e64 v33, v21, v20, s0
	v_cndmask_b32_e64 v36, v26, v25, s0
	v_cndmask_b32_e64 v37, v10, v9, s0
	v_rsq_f32_e32 v32, v32
	v_cndmask_b32_e64 v35, v23, v22, s0
	v_cndmask_b32_e64 v38, v2, v0, s0
	;; [unrolled: 1-line block ×4, first 2 shown]
	v_cvt_f32_f16_e32 v34, v34
	v_cvt_f32_f16_e32 v33, v33
	;; [unrolled: 1-line block ×5, first 2 shown]
	v_mul_f32_e32 v43, 0x45800000, v32
	v_cvt_f32_f16_e32 v38, v38
	v_cvt_f32_f16_e32 v39, v39
	;; [unrolled: 1-line block ×3, first 2 shown]
	s_delay_alu instid0(VALU_DEP_4) | instskip(SKIP_3) | instid1(VALU_DEP_4)
	v_cndmask_b32_e64 v32, v32, v43, s1
	v_cvt_f32_f16_e32 v43, v30
	v_cvt_f32_f16_e32 v30, v41
	;; [unrolled: 1-line block ×3, first 2 shown]
	v_mul_f32_e32 v34, v32, v34
	v_mul_f32_e32 v37, v32, v37
	;; [unrolled: 1-line block ×5, first 2 shown]
	v_dual_mul_f32 v38, v32, v35 :: v_dual_mul_f32 v35, v34, v5
	v_mul_f32_e32 v40, v32, v40
	v_mul_f32_e32 v32, v32, v39
	;; [unrolled: 1-line block ×3, first 2 shown]
	v_dual_mul_f32 v33, v33, v29 :: v_dual_mul_f32 v28, v28, v30
	s_delay_alu instid0(VALU_DEP_3)
	v_dual_mul_f32 v30, v38, v41 :: v_dual_mul_f32 v29, v32, v42
	v_mul_f32_e32 v34, v36, v43
	v_mul_f32_e32 v32, v40, v44
	s_and_saveexec_b32 s0, vcc_lo
	s_cbranch_execz .LBB46_9
; %bb.11:                               ;   in Loop: Header=BB46_10 Depth=1
	ds_load_b64 v[36:37], v12
	ds_load_b64 v[38:39], v14
	s_waitcnt lgkmcnt(1)
	v_lshrrev_b32_e32 v5, 16, v37
	v_cvt_f32_f16_e32 v40, v36
	s_waitcnt lgkmcnt(0)
	v_lshrrev_b32_e32 v41, 16, v38
	v_cvt_f32_f16_e32 v42, v38
	v_lshrrev_b32_e32 v43, 16, v39
	v_cvt_f32_f16_e32 v44, v39
	v_cvt_f32_f16_e32 v45, v37
	;; [unrolled: 1-line block ×3, first 2 shown]
	v_mul_f32_e32 v42, v35, v42
	v_mul_f32_e32 v35, v35, v40
	v_cvt_f32_f16_e32 v5, v5
	v_mul_f32_e32 v40, v30, v44
	v_mul_f32_e32 v30, v30, v45
	v_cvt_f32_f16_e32 v43, v43
	v_mul_f32_e32 v44, v28, v41
	v_mul_f32_e32 v41, v33, v41
	v_fma_mix_f32 v42, v31, v36, -v42 op_sel_hi:[0,1,0]
	v_fma_mix_f32 v30, v34, v39, v30 op_sel_hi:[0,1,0]
	v_mul_f32_e32 v5, v29, v5
	v_fma_mix_f32 v40, v34, v37, -v40 op_sel_hi:[0,1,0]
	v_mul_f32_e32 v34, v29, v43
	v_fma_mix_f32 v35, v31, v38, v35 op_sel_hi:[0,1,0]
	v_mov_b32_e32 v31, v42
	v_fma_mix_f32 v33, v33, v36, -v44 op_sel:[0,1,0] op_sel_hi:[0,1,0]
	v_fma_mix_f32 v28, v28, v36, v41 op_sel:[0,1,0] op_sel_hi:[0,1,0]
	v_fma_mix_f32 v36, v32, v37, -v34 op_sel:[0,1,0] op_sel_hi:[0,1,0]
	v_fma_mix_f32 v29, v32, v39, v5 op_sel:[0,1,0] op_sel_hi:[0,1,0]
	v_mov_b32_e32 v34, v40
	s_delay_alu instid0(VALU_DEP_3)
	v_mov_b32_e32 v32, v36
	s_branch .LBB46_9
.LBB46_12:
	s_nop 0
	s_sendmsg sendmsg(MSG_DEALLOC_VGPRS)
	s_endpgm
	.section	.rodata,"a",@progbits
	.p2align	6, 0x0
	.amdhsa_kernel _ZN12tensorrt_llm7kernels32fusedQKNormRopeKernelNTokenHeadsIN3c104HalfES3_Li256ELb1ELi8EEEvPviiifPKvS6_S6_PKlii
		.amdhsa_group_segment_fixed_size 0
		.amdhsa_private_segment_fixed_size 0
		.amdhsa_kernarg_size 320
		.amdhsa_user_sgpr_count 15
		.amdhsa_user_sgpr_dispatch_ptr 0
		.amdhsa_user_sgpr_queue_ptr 0
		.amdhsa_user_sgpr_kernarg_segment_ptr 1
		.amdhsa_user_sgpr_dispatch_id 0
		.amdhsa_user_sgpr_private_segment_size 0
		.amdhsa_wavefront_size32 1
		.amdhsa_uses_dynamic_stack 0
		.amdhsa_enable_private_segment 0
		.amdhsa_system_sgpr_workgroup_id_x 1
		.amdhsa_system_sgpr_workgroup_id_y 0
		.amdhsa_system_sgpr_workgroup_id_z 0
		.amdhsa_system_sgpr_workgroup_info 0
		.amdhsa_system_vgpr_workitem_id 0
		.amdhsa_next_free_vgpr 46
		.amdhsa_next_free_sgpr 21
		.amdhsa_reserve_vcc 1
		.amdhsa_float_round_mode_32 0
		.amdhsa_float_round_mode_16_64 0
		.amdhsa_float_denorm_mode_32 3
		.amdhsa_float_denorm_mode_16_64 3
		.amdhsa_dx10_clamp 1
		.amdhsa_ieee_mode 1
		.amdhsa_fp16_overflow 0
		.amdhsa_workgroup_processor_mode 1
		.amdhsa_memory_ordered 1
		.amdhsa_forward_progress 0
		.amdhsa_shared_vgpr_count 0
		.amdhsa_exception_fp_ieee_invalid_op 0
		.amdhsa_exception_fp_denorm_src 0
		.amdhsa_exception_fp_ieee_div_zero 0
		.amdhsa_exception_fp_ieee_overflow 0
		.amdhsa_exception_fp_ieee_underflow 0
		.amdhsa_exception_fp_ieee_inexact 0
		.amdhsa_exception_int_div_zero 0
	.end_amdhsa_kernel
	.section	.text._ZN12tensorrt_llm7kernels32fusedQKNormRopeKernelNTokenHeadsIN3c104HalfES3_Li256ELb1ELi8EEEvPviiifPKvS6_S6_PKlii,"axG",@progbits,_ZN12tensorrt_llm7kernels32fusedQKNormRopeKernelNTokenHeadsIN3c104HalfES3_Li256ELb1ELi8EEEvPviiifPKvS6_S6_PKlii,comdat
.Lfunc_end46:
	.size	_ZN12tensorrt_llm7kernels32fusedQKNormRopeKernelNTokenHeadsIN3c104HalfES3_Li256ELb1ELi8EEEvPviiifPKvS6_S6_PKlii, .Lfunc_end46-_ZN12tensorrt_llm7kernels32fusedQKNormRopeKernelNTokenHeadsIN3c104HalfES3_Li256ELb1ELi8EEEvPviiifPKvS6_S6_PKlii
                                        ; -- End function
	.section	.AMDGPU.csdata,"",@progbits
; Kernel info:
; codeLenInByte = 2052
; NumSgprs: 23
; NumVgprs: 46
; ScratchSize: 0
; MemoryBound: 0
; FloatMode: 240
; IeeeMode: 1
; LDSByteSize: 0 bytes/workgroup (compile time only)
; SGPRBlocks: 2
; VGPRBlocks: 5
; NumSGPRsForWavesPerEU: 23
; NumVGPRsForWavesPerEU: 46
; Occupancy: 16
; WaveLimiterHint : 0
; COMPUTE_PGM_RSRC2:SCRATCH_EN: 0
; COMPUTE_PGM_RSRC2:USER_SGPR: 15
; COMPUTE_PGM_RSRC2:TRAP_HANDLER: 0
; COMPUTE_PGM_RSRC2:TGID_X_EN: 1
; COMPUTE_PGM_RSRC2:TGID_Y_EN: 0
; COMPUTE_PGM_RSRC2:TGID_Z_EN: 0
; COMPUTE_PGM_RSRC2:TIDIG_COMP_CNT: 0
	.section	.text._ZN12tensorrt_llm7kernels32fusedQKNormRopeKernelNTokenHeadsIN3c104HalfES3_Li256ELb0ELi8EEEvPviiifPKvS6_S6_PKlii,"axG",@progbits,_ZN12tensorrt_llm7kernels32fusedQKNormRopeKernelNTokenHeadsIN3c104HalfES3_Li256ELb0ELi8EEEvPviiifPKvS6_S6_PKlii,comdat
	.protected	_ZN12tensorrt_llm7kernels32fusedQKNormRopeKernelNTokenHeadsIN3c104HalfES3_Li256ELb0ELi8EEEvPviiifPKvS6_S6_PKlii ; -- Begin function _ZN12tensorrt_llm7kernels32fusedQKNormRopeKernelNTokenHeadsIN3c104HalfES3_Li256ELb0ELi8EEEvPviiifPKvS6_S6_PKlii
	.globl	_ZN12tensorrt_llm7kernels32fusedQKNormRopeKernelNTokenHeadsIN3c104HalfES3_Li256ELb0ELi8EEEvPviiifPKvS6_S6_PKlii
	.p2align	8
	.type	_ZN12tensorrt_llm7kernels32fusedQKNormRopeKernelNTokenHeadsIN3c104HalfES3_Li256ELb0ELi8EEEvPviiifPKvS6_S6_PKlii,@function
_ZN12tensorrt_llm7kernels32fusedQKNormRopeKernelNTokenHeadsIN3c104HalfES3_Li256ELb0ELi8EEEvPviiifPKvS6_S6_PKlii: ; @_ZN12tensorrt_llm7kernels32fusedQKNormRopeKernelNTokenHeadsIN3c104HalfES3_Li256ELb0ELi8EEEvPviiifPKvS6_S6_PKlii
; %bb.0:
	s_clause 0x1
	s_load_b128 s[16:19], s[0:1], 0x8
	s_load_b64 s[2:3], s[0:1], 0x38
	s_waitcnt lgkmcnt(0)
	s_add_i32 s4, s17, s16
	s_delay_alu instid0(SALU_CYCLE_1) | instskip(NEXT) | instid1(SALU_CYCLE_1)
	s_add_i32 s5, s4, 7
	s_ashr_i32 s6, s5, 31
	s_delay_alu instid0(SALU_CYCLE_1) | instskip(NEXT) | instid1(SALU_CYCLE_1)
	s_lshr_b32 s6, s6, 29
	s_add_i32 s5, s5, s6
	s_delay_alu instid0(SALU_CYCLE_1) | instskip(SKIP_2) | instid1(SALU_CYCLE_1)
	s_ashr_i32 s14, s5, 3
	s_load_b32 s5, s[0:1], 0x4c
	s_abs_i32 s6, s14
	v_cvt_f32_u32_e32 v1, s6
	s_sub_i32 s7, 0, s6
	s_delay_alu instid0(VALU_DEP_1) | instskip(SKIP_4) | instid1(VALU_DEP_1)
	v_rcp_iflag_f32_e32 v1, v1
	s_waitcnt_depctr 0xfff
	v_mul_f32_e32 v1, 0x4f7ffffe, v1
	s_waitcnt lgkmcnt(0)
	s_bfe_u32 s5, s5, 0xb0005
	v_cvt_u32_f32_e32 v4, v1
	v_lshrrev_b32_e32 v1, 5, v0
	s_delay_alu instid0(VALU_DEP_2) | instskip(NEXT) | instid1(VALU_DEP_2)
	v_mul_lo_u32 v5, s7, v4
	v_mad_u64_u32 v[2:3], null, s15, s5, v[1:2]
	s_delay_alu instid0(VALU_DEP_2) | instskip(NEXT) | instid1(VALU_DEP_2)
	v_mul_hi_u32 v3, v4, v5
	v_sub_nc_u32_e32 v5, 0, v2
	s_delay_alu instid0(VALU_DEP_1) | instskip(NEXT) | instid1(VALU_DEP_3)
	v_max_i32_e32 v5, v2, v5
	v_add_nc_u32_e32 v3, v4, v3
	s_delay_alu instid0(VALU_DEP_1) | instskip(NEXT) | instid1(VALU_DEP_1)
	v_mul_hi_u32 v3, v5, v3
	v_mul_lo_u32 v4, v3, s6
	s_delay_alu instid0(VALU_DEP_1) | instskip(SKIP_1) | instid1(VALU_DEP_2)
	v_sub_nc_u32_e32 v4, v5, v4
	v_add_nc_u32_e32 v5, 1, v3
	v_subrev_nc_u32_e32 v6, s6, v4
	v_cmp_le_u32_e32 vcc_lo, s6, v4
	s_delay_alu instid0(VALU_DEP_2) | instskip(SKIP_1) | instid1(VALU_DEP_2)
	v_dual_cndmask_b32 v4, v4, v6 :: v_dual_cndmask_b32 v3, v3, v5
	v_xor_b32_e32 v5, s14, v2
	v_cmp_le_u32_e32 vcc_lo, s6, v4
	s_delay_alu instid0(VALU_DEP_3) | instskip(NEXT) | instid1(VALU_DEP_3)
	v_add_nc_u32_e32 v6, 1, v3
	v_ashrrev_i32_e32 v5, 31, v5
	s_delay_alu instid0(VALU_DEP_2) | instskip(NEXT) | instid1(VALU_DEP_1)
	v_cndmask_b32_e32 v3, v3, v6, vcc_lo
	v_xor_b32_e32 v3, v3, v5
	s_delay_alu instid0(VALU_DEP_1) | instskip(NEXT) | instid1(VALU_DEP_1)
	v_sub_nc_u32_e32 v8, v3, v5
	v_cmp_gt_i32_e32 vcc_lo, s2, v8
	s_and_saveexec_b32 s2, vcc_lo
	s_cbranch_execz .LBB47_12
; %bb.1:
	v_mul_lo_u32 v3, v8, s14
	s_load_b64 s[12:13], s[0:1], 0x0
	v_and_b32_e32 v19, 31, v0
	v_lshlrev_b32_e32 v14, 12, v1
	v_lshlrev_b32_e32 v13, 11, v2
	s_lshl_b32 s20, s3, 1
	s_delay_alu instid0(VALU_DEP_3) | instskip(SKIP_2) | instid1(VALU_DEP_1)
	v_lshlrev_b32_e32 v12, 4, v19
	v_sub_nc_u32_e32 v3, v2, v3
	s_mul_i32 s15, s20, s5
	v_lshlrev_b32_e32 v10, 3, v3
	s_delay_alu instid0(VALU_DEP_1) | instskip(SKIP_1) | instid1(VALU_DEP_2)
	v_add_nc_u32_e32 v3, 8, v10
	v_sub_nc_u32_e32 v4, s4, v10
	v_cmp_lt_i32_e32 vcc_lo, s4, v3
	s_delay_alu instid0(VALU_DEP_2) | instskip(NEXT) | instid1(VALU_DEP_1)
	v_cndmask_b32_e32 v11, 8, v4, vcc_lo
	v_cmp_lt_i32_e32 vcc_lo, 0, v11
	s_and_saveexec_b32 s4, vcc_lo
	s_cbranch_execz .LBB47_4
; %bb.2:
	s_add_i32 s2, s18, s17
	s_lshl_b32 s5, s14, 3
	s_add_i32 s2, s2, s16
	s_mov_b32 s6, 0
	s_sub_i32 s2, s2, s5
	s_mov_b32 s5, 0
	v_mul_lo_u32 v2, s2, v8
	s_add_i32 s2, s15, 0
	s_delay_alu instid0(SALU_CYCLE_1) | instskip(NEXT) | instid1(VALU_DEP_2)
	v_add3_u32 v4, s2, v14, v12
	v_lshl_add_u32 v2, v2, 8, v13
	s_delay_alu instid0(VALU_DEP_1)
	v_lshl_or_b32 v2, v19, 3, v2
	.p2align	6
.LBB47_3:                               ; =>This Inner Loop Header: Depth=1
	s_delay_alu instid0(VALU_DEP_1) | instskip(SKIP_1) | instid1(VALU_DEP_1)
	v_ashrrev_i32_e32 v3, 31, v2
	s_add_i32 s6, s6, 1
	v_lshlrev_b64 v[5:6], 1, v[2:3]
	v_add_nc_u32_e32 v2, 0x100, v2
	s_waitcnt lgkmcnt(0)
	s_delay_alu instid0(VALU_DEP_2) | instskip(NEXT) | instid1(VALU_DEP_1)
	v_add_co_u32 v5, s2, s12, v5
	v_add_co_ci_u32_e64 v6, s2, s13, v6, s2
	v_cmp_ge_i32_e64 s2, s6, v11
	global_load_b128 v[15:18], v[5:6], off
	s_or_b32 s5, s2, s5
	s_waitcnt vmcnt(0)
	ds_store_b128 v4, v[15:18]
	v_add_nc_u32_e32 v4, 0x200, v4
	s_and_not1_b32 exec_lo, exec_lo, s5
	s_cbranch_execnz .LBB47_3
.LBB47_4:
	s_or_b32 exec_lo, exec_lo, s4
	s_load_b256 s[4:11], s[0:1], 0x18
	s_add_i32 s0, s20, 15
	v_mul_lo_u32 v15, v1, s3
	s_ashr_i32 s1, s0, 31
	s_mov_b32 s20, exec_lo
	s_lshr_b32 s1, s1, 28
	s_delay_alu instid0(SALU_CYCLE_1) | instskip(NEXT) | instid1(SALU_CYCLE_1)
	s_add_i32 s0, s0, s1
	s_ashr_i32 s2, s0, 4
	s_delay_alu instid0(SALU_CYCLE_1)
	v_cmpx_gt_i32_e64 s2, v19
	s_cbranch_execz .LBB47_7
; %bb.5:
	v_ashrrev_i32_e32 v9, 31, v8
	s_delay_alu instid0(VALU_DEP_1) | instskip(SKIP_1) | instid1(VALU_DEP_1)
	v_lshlrev_b64 v[1:2], 3, v[8:9]
	s_waitcnt lgkmcnt(0)
	v_add_co_u32 v1, s0, s10, v1
	s_delay_alu instid0(VALU_DEP_1)
	v_add_co_ci_u32_e64 v2, s0, s11, v2, s0
	s_ashr_i32 s0, s3, 31
	global_load_b64 v[1:2], v[1:2], off
	s_waitcnt vmcnt(0)
	v_mul_lo_u32 v4, v2, s3
	v_mul_lo_u32 v5, v1, s0
	v_mad_u64_u32 v[2:3], null, v1, s3, 0
	s_delay_alu instid0(VALU_DEP_1) | instskip(SKIP_1) | instid1(VALU_DEP_2)
	v_add3_u32 v3, v3, v5, v4
	v_and_b32_e32 v4, 31, v0
	v_lshlrev_b64 v[0:1], 1, v[2:3]
	s_delay_alu instid0(VALU_DEP_2) | instskip(SKIP_1) | instid1(VALU_DEP_2)
	v_lshlrev_b32_e32 v2, 4, v4
	v_lshlrev_b32_e32 v3, 1, v15
	v_add_co_u32 v0, s0, v0, v2
	s_delay_alu instid0(VALU_DEP_1) | instskip(NEXT) | instid1(VALU_DEP_3)
	v_add_co_ci_u32_e64 v1, s0, 0, v1, s0
	v_add3_u32 v2, v3, v12, 0
	v_mov_b32_e32 v3, v19
	s_delay_alu instid0(VALU_DEP_4) | instskip(NEXT) | instid1(VALU_DEP_1)
	v_add_co_u32 v0, s0, s8, v0
	v_add_co_ci_u32_e64 v1, s0, s9, v1, s0
	s_mov_b32 s8, 0
	.p2align	6
.LBB47_6:                               ; =>This Inner Loop Header: Depth=1
	global_load_b128 v[4:7], v[0:1], off
	v_add_nc_u32_e32 v3, 32, v3
	v_add_co_u32 v0, s0, 0x200, v0
	s_delay_alu instid0(VALU_DEP_1) | instskip(NEXT) | instid1(VALU_DEP_3)
	v_add_co_ci_u32_e64 v1, s0, 0, v1, s0
	v_cmp_le_i32_e64 s1, s2, v3
	s_delay_alu instid0(VALU_DEP_1)
	s_or_b32 s8, s1, s8
	s_waitcnt vmcnt(0)
	ds_store_b128 v2, v[4:7]
	v_add_nc_u32_e32 v2, 0x200, v2
	s_and_not1_b32 exec_lo, exec_lo, s8
	s_cbranch_execnz .LBB47_6
.LBB47_7:
	s_or_b32 exec_lo, exec_lo, s20
	s_delay_alu instid0(SALU_CYCLE_1)
	s_and_b32 exec_lo, exec_lo, vcc_lo
	s_cbranch_execz .LBB47_12
; %bb.8:
	s_waitcnt lgkmcnt(0)
	s_clause 0x1
	global_load_b128 v[0:3], v12, s[4:5]
	global_load_b128 v[4:7], v12, s[6:7]
	s_abs_i32 s2, s3
	v_add_nc_u32_e32 v43, s15, v14
	v_cvt_f32_u32_e32 v14, s2
	v_lshl_add_u32 v9, v15, 1, 0
	v_mbcnt_lo_u32_b32 v15, -1, 0
	s_lshr_b32 s0, s3, 31
	s_ashr_i32 s1, s3, 31
	v_rcp_iflag_f32_e32 v14, v14
	s_add_i32 s0, s3, s0
	s_lshr_b32 s6, s1, 29
	s_lshr_b32 s1, s1, 28
	v_xor_b32_e32 v16, 16, v15
	s_and_b32 s0, s0, -2
	s_add_i32 s6, s3, s6
	s_add_i32 s1, s3, s1
	s_sub_i32 s7, 0, s2
	v_add_nc_u32_e32 v34, s0, v9
	s_waitcnt_depctr 0xfff
	v_mul_f32_e32 v14, 0x4f7ffffe, v14
	s_ashr_i32 s0, s6, 3
	s_ashr_i32 s1, s1, 4
	v_xor_b32_e32 v17, 8, v15
	v_cmp_gt_i32_e32 vcc_lo, s0, v19
	v_cvt_u32_f32_e32 v29, v14
	v_xor_b32_e32 v14, s1, v15
	v_cmp_gt_i32_e64 s0, s1, v19
	v_cmp_gt_i32_e64 s1, 32, v16
	s_add_i32 s4, s18, s17
	v_mul_lo_u32 v30, s7, v29
	s_lshl_b32 s5, s14, 3
	s_add_i32 s4, s4, s16
	v_xor_b32_e32 v18, 4, v15
	s_sub_i32 s3, s4, s5
	v_cndmask_b32_e64 v16, v15, v16, s1
	v_cmp_gt_i32_e64 s1, 32, v17
	v_mul_lo_u32 v8, s3, v8
	v_mul_hi_u32 v30, v29, v30
	v_xor_b32_e32 v27, 2, v15
	v_xor_b32_e32 v28, 1, v15
	v_cndmask_b32_e64 v17, v15, v17, s1
	v_cmp_gt_i32_e64 s1, 32, v18
	v_or_b32_e32 v20, 2, v12
	v_or_b32_e32 v21, 4, v12
	v_lshl_add_u32 v8, v8, 8, v13
	v_lshlrev_b32_e32 v13, 2, v16
	v_cndmask_b32_e64 v18, v15, v18, s1
	v_cmp_gt_i32_e64 s1, 32, v27
	v_add_nc_u32_e32 v29, v29, v30
	v_lshl_or_b32 v8, v19, 3, v8
	v_or_b32_e32 v22, 6, v12
	v_or_b32_e32 v23, 8, v12
	v_cndmask_b32_e64 v27, v15, v27, s1
	v_cmp_gt_i32_e64 s1, 32, v28
	v_mul_hi_u32 v19, v12, v29
	v_or_b32_e32 v24, 10, v12
	v_or_b32_e32 v25, 12, v12
	v_lshlrev_b32_e32 v16, 2, v27
	v_cndmask_b32_e64 v28, v15, v28, s1
	v_cmp_gt_i32_e64 s1, 32, v14
	v_mul_hi_u32 v27, v20, v29
	v_or_b32_e32 v26, 14, v12
	v_mul_lo_u32 v19, v19, s2
	v_mul_hi_u32 v30, v22, v29
	v_cndmask_b32_e64 v31, v15, v14, s1
	v_lshlrev_b32_e32 v14, 2, v17
	v_lshlrev_b32_e32 v17, 2, v28
	v_mul_hi_u32 v28, v21, v29
	v_mul_lo_u32 v27, v27, s2
	v_lshlrev_b32_e32 v15, 2, v18
	v_lshlrev_b32_e32 v18, 2, v31
	v_mul_hi_u32 v31, v23, v29
	v_mul_hi_u32 v32, v24, v29
	;; [unrolled: 1-line block ×4, first 2 shown]
	v_sub_nc_u32_e32 v19, v12, v19
	v_mul_lo_u32 v28, v28, s2
	v_sub_nc_u32_e32 v20, v20, v27
	v_mul_lo_u32 v30, v30, s2
	v_mul_lo_u32 v31, v31, s2
	v_subrev_nc_u32_e32 v27, s2, v19
	v_cmp_le_u32_e64 s1, s2, v19
	v_mul_lo_u32 v29, v29, s2
	v_mul_lo_u32 v32, v32, s2
	v_sub_nc_u32_e32 v21, v21, v28
	v_subrev_nc_u32_e32 v28, s2, v20
	v_cndmask_b32_e64 v19, v19, v27, s1
	v_cmp_le_u32_e64 s1, s2, v20
	v_sub_nc_u32_e32 v22, v22, v30
	v_sub_nc_u32_e32 v23, v23, v31
	;; [unrolled: 1-line block ×3, first 2 shown]
	v_subrev_nc_u32_e32 v29, s2, v21
	v_cndmask_b32_e64 v20, v20, v28, s1
	v_cmp_le_u32_e64 s1, s2, v21
	v_subrev_nc_u32_e32 v30, s2, v22
	v_mul_lo_u32 v33, v33, s2
	v_sub_nc_u32_e32 v24, v24, v32
	v_subrev_nc_u32_e32 v31, s2, v23
	v_cndmask_b32_e64 v21, v21, v29, s1
	v_cmp_le_u32_e64 s1, s2, v22
	v_subrev_nc_u32_e32 v35, s2, v26
	v_subrev_nc_u32_e32 v32, s2, v24
	;; [unrolled: 1-line block ×3, first 2 shown]
	v_sub_nc_u32_e32 v25, v25, v33
	v_cndmask_b32_e64 v22, v22, v30, s1
	v_cmp_le_u32_e64 s1, s2, v23
	v_subrev_nc_u32_e32 v28, s2, v20
	v_subrev_nc_u32_e32 v29, s2, v21
	;; [unrolled: 1-line block ×4, first 2 shown]
	v_cndmask_b32_e64 v23, v23, v31, s1
	v_cmp_le_u32_e64 s1, s2, v24
	v_add3_u32 v12, v43, v12, 0
	s_mov_b32 s3, 0
	s_mov_b32 s4, 0
	v_subrev_nc_u32_e32 v31, s2, v23
	v_cndmask_b32_e64 v24, v24, v32, s1
	v_cmp_le_u32_e64 s1, s2, v25
	s_delay_alu instid0(VALU_DEP_2) | instskip(NEXT) | instid1(VALU_DEP_2)
	v_subrev_nc_u32_e32 v32, s2, v24
	v_cndmask_b32_e64 v25, v25, v33, s1
	v_cmp_le_u32_e64 s1, s2, v26
	s_delay_alu instid0(VALU_DEP_2) | instskip(NEXT) | instid1(VALU_DEP_2)
	;; [unrolled: 4-line block ×4, first 2 shown]
	v_and_b32_e32 v27, -2, v19
	v_cndmask_b32_e64 v20, v20, v28, s1
	v_cmp_le_u32_e64 s1, s2, v21
	s_delay_alu instid0(VALU_DEP_3) | instskip(NEXT) | instid1(VALU_DEP_3)
	v_add_nc_u32_e32 v19, v9, v27
	v_and_b32_e32 v28, -2, v20
	s_delay_alu instid0(VALU_DEP_3) | instskip(SKIP_2) | instid1(VALU_DEP_3)
	v_cndmask_b32_e64 v21, v21, v29, s1
	v_cmp_le_u32_e64 s1, s2, v22
	v_add_nc_u32_e32 v20, v34, v27
	v_and_b32_e32 v29, -2, v21
	s_delay_alu instid0(VALU_DEP_3) | instskip(SKIP_2) | instid1(VALU_DEP_3)
	v_cndmask_b32_e64 v22, v22, v30, s1
	v_cmp_le_u32_e64 s1, s2, v23
	;; [unrolled: 5-line block ×3, first 2 shown]
	v_add_nc_u32_e32 v22, v34, v28
	v_and_b32_e32 v31, -2, v23
	s_delay_alu instid0(VALU_DEP_3) | instskip(SKIP_2) | instid1(VALU_DEP_4)
	v_cndmask_b32_e64 v24, v24, v32, s1
	v_cmp_le_u32_e64 s1, s2, v25
	v_add_nc_u32_e32 v23, v9, v29
	v_add_nc_u32_e32 v27, v9, v31
	s_delay_alu instid0(VALU_DEP_4) | instskip(NEXT) | instid1(VALU_DEP_4)
	v_and_b32_e32 v32, -2, v24
	v_cndmask_b32_e64 v25, v25, v33, s1
	v_cmp_le_u32_e64 s1, s2, v26
	v_add_nc_u32_e32 v24, v34, v29
	v_add_nc_u32_e32 v28, v34, v31
	;; [unrolled: 1-line block ×3, first 2 shown]
	v_and_b32_e32 v33, -2, v25
	v_cndmask_b32_e64 v26, v26, v35, s1
	v_add_nc_u32_e32 v25, v9, v30
	s_delay_alu instid0(VALU_DEP_3) | instskip(NEXT) | instid1(VALU_DEP_3)
	v_add_nc_u32_e32 v31, v9, v33
	v_and_b32_e32 v35, -2, v26
	v_add_nc_u32_e32 v26, v34, v30
	v_add_nc_u32_e32 v30, v34, v32
	;; [unrolled: 1-line block ×3, first 2 shown]
	s_delay_alu instid0(VALU_DEP_4)
	v_add_nc_u32_e32 v33, v9, v35
	v_add_nc_u32_e32 v34, v34, v35
	s_waitcnt vmcnt(1)
	v_lshrrev_b32_e32 v35, 16, v0
	v_lshrrev_b32_e32 v36, 16, v1
	;; [unrolled: 1-line block ×4, first 2 shown]
	s_waitcnt vmcnt(0)
	v_lshrrev_b32_e32 v39, 16, v4
	v_lshrrev_b32_e32 v40, 16, v5
	;; [unrolled: 1-line block ×4, first 2 shown]
	s_branch .LBB47_10
.LBB47_9:                               ;   in Loop: Header=BB47_10 Depth=1
	s_or_b32 exec_lo, exec_lo, s1
	v_ashrrev_i32_e32 v9, 31, v8
	v_cvt_f16_f32_e32 v51, v47
	v_cvt_f16_f32_e32 v52, v48
	;; [unrolled: 1-line block ×4, first 2 shown]
	v_lshlrev_b64 v[47:48], 1, v[8:9]
	v_cvt_f16_f32_e32 v9, v43
	v_cvt_f16_f32_e32 v43, v44
	;; [unrolled: 1-line block ×4, first 2 shown]
	s_add_i32 s4, s4, 1
	v_add_co_u32 v47, s1, s12, v47
	s_delay_alu instid0(VALU_DEP_1)
	v_add_co_ci_u32_e64 v48, s1, s13, v48, s1
	v_cmp_ge_i32_e64 s1, s4, v11
	v_pack_b32_f16 v46, v44, v45
	v_pack_b32_f16 v45, v9, v43
	;; [unrolled: 1-line block ×4, first 2 shown]
	v_add_nc_u32_e32 v8, 0x100, v8
	v_add_nc_u32_e32 v12, 0x200, v12
	s_or_b32 s3, s1, s3
	global_store_b128 v[47:48], v[43:46], off
	s_and_not1_b32 exec_lo, exec_lo, s3
	s_cbranch_execz .LBB47_12
.LBB47_10:                              ; =>This Inner Loop Header: Depth=1
	ds_load_b128 v[43:46], v12
	v_add_nc_u32_e32 v49, s4, v10
	s_delay_alu instid0(VALU_DEP_1) | instskip(NEXT) | instid1(VALU_DEP_1)
	v_cmp_gt_i32_e64 s1, s16, v49
	v_cndmask_b32_e64 v50, v39, v35, s1
	v_cndmask_b32_e64 v52, v40, v36, s1
	;; [unrolled: 1-line block ×5, first 2 shown]
	v_cvt_f32_f16_e32 v50, v50
	v_cndmask_b32_e64 v55, v42, v38, s1
	v_cvt_f32_f16_e32 v52, v52
	v_cvt_f32_f16_e32 v51, v51
	s_waitcnt lgkmcnt(0)
	v_lshrrev_b32_e32 v9, 16, v43
	v_cvt_f32_f16_e32 v58, v45
	v_cvt_f32_f16_e32 v53, v53
	;; [unrolled: 1-line block ×6, first 2 shown]
	v_lshrrev_b32_e32 v59, 16, v46
	s_delay_alu instid0(VALU_DEP_3) | instskip(NEXT) | instid1(VALU_DEP_1)
	v_mul_f32_e32 v47, v9, v9
	v_fma_mix_f32 v47, v43, v43, v47 op_sel_hi:[1,1,0]
	v_cvt_f32_f16_e32 v43, v43
	s_delay_alu instid0(VALU_DEP_2) | instskip(NEXT) | instid1(VALU_DEP_1)
	v_fma_mix_f32 v47, v44, v44, v47 op_sel_hi:[1,1,0]
	v_fma_mix_f32 v47, v44, v44, v47 op_sel:[1,1,0] op_sel_hi:[1,1,0]
	v_lshrrev_b32_e32 v44, 16, v44
	s_delay_alu instid0(VALU_DEP_2) | instskip(NEXT) | instid1(VALU_DEP_2)
	v_fma_mix_f32 v47, v45, v45, v47 op_sel_hi:[1,1,0]
	v_cvt_f32_f16_e32 v44, v44
	s_delay_alu instid0(VALU_DEP_2) | instskip(SKIP_1) | instid1(VALU_DEP_2)
	v_fma_mix_f32 v47, v45, v45, v47 op_sel:[1,1,0] op_sel_hi:[1,1,0]
	v_lshrrev_b32_e32 v45, 16, v45
	v_fma_mix_f32 v47, v46, v46, v47 op_sel_hi:[1,1,0]
	s_delay_alu instid0(VALU_DEP_2) | instskip(NEXT) | instid1(VALU_DEP_2)
	v_cvt_f32_f16_e32 v45, v45
	v_fma_mix_f32 v47, v46, v46, v47 op_sel:[1,1,0] op_sel_hi:[1,1,0]
	v_cvt_f32_f16_e32 v46, v46
	ds_bpermute_b32 v48, v13, v47
	s_waitcnt lgkmcnt(0)
	v_add_f32_e32 v47, v47, v48
	ds_bpermute_b32 v48, v14, v47
	s_waitcnt lgkmcnt(0)
	v_add_f32_e32 v47, v47, v48
	ds_bpermute_b32 v48, v15, v47
	s_waitcnt lgkmcnt(0)
	v_add_f32_e32 v47, v47, v48
	ds_bpermute_b32 v48, v16, v47
	s_waitcnt lgkmcnt(0)
	v_add_f32_e32 v47, v47, v48
	ds_bpermute_b32 v48, v17, v47
	s_waitcnt lgkmcnt(0)
	v_add_f32_e32 v47, v47, v48
	v_cndmask_b32_e64 v48, v4, v0, s1
	s_delay_alu instid0(VALU_DEP_2) | instskip(NEXT) | instid1(VALU_DEP_2)
	v_fma_f32 v47, 0x3b800000, v47, s19
	v_cvt_f32_f16_e32 v48, v48
	s_delay_alu instid0(VALU_DEP_2) | instskip(SKIP_1) | instid1(VALU_DEP_1)
	v_mul_f32_e32 v49, 0x4b800000, v47
	v_cmp_gt_f32_e64 s2, 0x800000, v47
	v_cndmask_b32_e64 v47, v47, v49, s2
	v_cndmask_b32_e64 v49, v6, v2, s1
	s_delay_alu instid0(VALU_DEP_2) | instskip(NEXT) | instid1(VALU_DEP_1)
	v_rsq_f32_e32 v47, v47
	v_cvt_f32_f16_e32 v49, v49
	s_waitcnt_depctr 0xfff
	v_mul_f32_e32 v57, 0x45800000, v47
	s_delay_alu instid0(VALU_DEP_1) | instskip(SKIP_1) | instid1(VALU_DEP_2)
	v_cndmask_b32_e64 v47, v47, v57, s2
	v_cvt_f32_f16_e32 v57, v59
	v_mul_f32_e32 v52, v47, v52
	v_mul_f32_e32 v48, v47, v48
	;; [unrolled: 1-line block ×8, first 2 shown]
	v_dual_mul_f32 v47, v48, v43 :: v_dual_mul_f32 v48, v50, v9
	v_mul_f32_e32 v49, v51, v56
	v_dual_mul_f32 v50, v52, v44 :: v_dual_mul_f32 v43, v59, v58
	v_dual_mul_f32 v44, v53, v45 :: v_dual_mul_f32 v45, v54, v46
	v_mul_f32_e32 v46, v55, v57
	s_and_saveexec_b32 s1, vcc_lo
	s_cbranch_execz .LBB47_9
; %bb.11:                               ;   in Loop: Header=BB47_10 Depth=1
	; wave barrier
	ds_bpermute_b32 v9, v18, v47
	ds_load_u16 v51, v20
	ds_load_u16 v53, v22
	ds_bpermute_b32 v52, v18, v48
	ds_bpermute_b32 v54, v18, v49
	ds_load_u16 v55, v24
	ds_load_u16 v56, v19
	ds_load_u16 v57, v21
	ds_load_u16 v58, v23
	ds_bpermute_b32 v59, v18, v50
	ds_load_u16 v60, v25
	ds_load_u16 v61, v26
	ds_bpermute_b32 v62, v18, v43
	ds_load_u16 v63, v28
	ds_load_u16 v65, v30
	;; [unrolled: 1-line block ×3, first 2 shown]
	ds_bpermute_b32 v64, v18, v44
	ds_bpermute_b32 v66, v18, v45
	;; [unrolled: 1-line block ×3, first 2 shown]
	ds_load_u16 v69, v34
	ds_load_u16 v70, v27
	;; [unrolled: 1-line block ×3, first 2 shown]
	s_waitcnt lgkmcnt(21)
	v_cndmask_b32_e64 v9, v9, -v9, s0
	s_waitcnt lgkmcnt(20)
	v_cvt_f32_f16_e32 v51, v51
	s_waitcnt lgkmcnt(19)
	v_cvt_f32_f16_e32 v53, v53
	s_waitcnt lgkmcnt(18)
	v_cndmask_b32_e64 v52, v52, -v52, s0
	s_waitcnt lgkmcnt(17)
	v_cndmask_b32_e64 v54, v54, -v54, s0
	s_waitcnt lgkmcnt(16)
	v_cvt_f32_f16_e32 v55, v55
	v_mul_f32_e32 v9, v9, v51
	s_delay_alu instid0(VALU_DEP_2)
	v_dual_mul_f32 v51, v52, v53 :: v_dual_mul_f32 v52, v54, v55
	ds_load_u16 v53, v31
	ds_load_u16 v54, v33
	s_waitcnt lgkmcnt(17)
	v_fma_mix_f32 v47, v47, v56, v9 op_sel_hi:[0,1,0]
	s_waitcnt lgkmcnt(16)
	v_fma_mix_f32 v48, v48, v57, v51 op_sel_hi:[0,1,0]
	s_waitcnt lgkmcnt(14)
	v_cndmask_b32_e64 v9, v59, -v59, s0
	v_fma_mix_f32 v49, v49, v58, v52 op_sel_hi:[0,1,0]
	s_waitcnt lgkmcnt(12)
	v_cvt_f32_f16_e32 v51, v61
	s_waitcnt lgkmcnt(11)
	v_cndmask_b32_e64 v52, v62, -v62, s0
	s_waitcnt lgkmcnt(10)
	v_cvt_f32_f16_e32 v55, v63
	s_waitcnt lgkmcnt(7)
	v_cndmask_b32_e64 v56, v64, -v64, s0
	v_cvt_f32_f16_e32 v57, v65
	s_waitcnt lgkmcnt(6)
	v_cndmask_b32_e64 v58, v66, -v66, s0
	;; [unrolled: 3-line block ×3, first 2 shown]
	s_waitcnt lgkmcnt(4)
	v_cvt_f32_f16_e32 v62, v69
	v_mul_f32_e32 v9, v9, v51
	v_mul_f32_e32 v51, v52, v55
	v_dual_mul_f32 v52, v56, v57 :: v_dual_mul_f32 v55, v58, v59
	s_delay_alu instid0(VALU_DEP_4) | instskip(NEXT) | instid1(VALU_DEP_4)
	v_mul_f32_e32 v56, v61, v62
	v_fma_mix_f32 v50, v50, v60, v9 op_sel_hi:[0,1,0]
	s_waitcnt lgkmcnt(3)
	v_fma_mix_f32 v43, v43, v70, v51 op_sel_hi:[0,1,0]
	s_waitcnt lgkmcnt(2)
	;; [unrolled: 2-line block ×4, first 2 shown]
	v_fma_mix_f32 v46, v46, v54, v56 op_sel_hi:[0,1,0]
	; wave barrier
	s_branch .LBB47_9
.LBB47_12:
	s_nop 0
	s_sendmsg sendmsg(MSG_DEALLOC_VGPRS)
	s_endpgm
	.section	.rodata,"a",@progbits
	.p2align	6, 0x0
	.amdhsa_kernel _ZN12tensorrt_llm7kernels32fusedQKNormRopeKernelNTokenHeadsIN3c104HalfES3_Li256ELb0ELi8EEEvPviiifPKvS6_S6_PKlii
		.amdhsa_group_segment_fixed_size 0
		.amdhsa_private_segment_fixed_size 0
		.amdhsa_kernarg_size 320
		.amdhsa_user_sgpr_count 15
		.amdhsa_user_sgpr_dispatch_ptr 0
		.amdhsa_user_sgpr_queue_ptr 0
		.amdhsa_user_sgpr_kernarg_segment_ptr 1
		.amdhsa_user_sgpr_dispatch_id 0
		.amdhsa_user_sgpr_private_segment_size 0
		.amdhsa_wavefront_size32 1
		.amdhsa_uses_dynamic_stack 0
		.amdhsa_enable_private_segment 0
		.amdhsa_system_sgpr_workgroup_id_x 1
		.amdhsa_system_sgpr_workgroup_id_y 0
		.amdhsa_system_sgpr_workgroup_id_z 0
		.amdhsa_system_sgpr_workgroup_info 0
		.amdhsa_system_vgpr_workitem_id 0
		.amdhsa_next_free_vgpr 72
		.amdhsa_next_free_sgpr 21
		.amdhsa_reserve_vcc 1
		.amdhsa_float_round_mode_32 0
		.amdhsa_float_round_mode_16_64 0
		.amdhsa_float_denorm_mode_32 3
		.amdhsa_float_denorm_mode_16_64 3
		.amdhsa_dx10_clamp 1
		.amdhsa_ieee_mode 1
		.amdhsa_fp16_overflow 0
		.amdhsa_workgroup_processor_mode 1
		.amdhsa_memory_ordered 1
		.amdhsa_forward_progress 0
		.amdhsa_shared_vgpr_count 0
		.amdhsa_exception_fp_ieee_invalid_op 0
		.amdhsa_exception_fp_denorm_src 0
		.amdhsa_exception_fp_ieee_div_zero 0
		.amdhsa_exception_fp_ieee_overflow 0
		.amdhsa_exception_fp_ieee_underflow 0
		.amdhsa_exception_fp_ieee_inexact 0
		.amdhsa_exception_int_div_zero 0
	.end_amdhsa_kernel
	.section	.text._ZN12tensorrt_llm7kernels32fusedQKNormRopeKernelNTokenHeadsIN3c104HalfES3_Li256ELb0ELi8EEEvPviiifPKvS6_S6_PKlii,"axG",@progbits,_ZN12tensorrt_llm7kernels32fusedQKNormRopeKernelNTokenHeadsIN3c104HalfES3_Li256ELb0ELi8EEEvPviiifPKvS6_S6_PKlii,comdat
.Lfunc_end47:
	.size	_ZN12tensorrt_llm7kernels32fusedQKNormRopeKernelNTokenHeadsIN3c104HalfES3_Li256ELb0ELi8EEEvPviiifPKvS6_S6_PKlii, .Lfunc_end47-_ZN12tensorrt_llm7kernels32fusedQKNormRopeKernelNTokenHeadsIN3c104HalfES3_Li256ELb0ELi8EEEvPviiifPKvS6_S6_PKlii
                                        ; -- End function
	.section	.AMDGPU.csdata,"",@progbits
; Kernel info:
; codeLenInByte = 3028
; NumSgprs: 23
; NumVgprs: 72
; ScratchSize: 0
; MemoryBound: 0
; FloatMode: 240
; IeeeMode: 1
; LDSByteSize: 0 bytes/workgroup (compile time only)
; SGPRBlocks: 2
; VGPRBlocks: 8
; NumSGPRsForWavesPerEU: 23
; NumVGPRsForWavesPerEU: 72
; Occupancy: 16
; WaveLimiterHint : 0
; COMPUTE_PGM_RSRC2:SCRATCH_EN: 0
; COMPUTE_PGM_RSRC2:USER_SGPR: 15
; COMPUTE_PGM_RSRC2:TRAP_HANDLER: 0
; COMPUTE_PGM_RSRC2:TGID_X_EN: 1
; COMPUTE_PGM_RSRC2:TGID_Y_EN: 0
; COMPUTE_PGM_RSRC2:TGID_Z_EN: 0
; COMPUTE_PGM_RSRC2:TIDIG_COMP_CNT: 0
	.section	.text._ZN12tensorrt_llm7kernels21fusedQKNormRopeKernelIN3c104HalfENS2_8BFloat16ELi64ELb1EEEvPviiifPKvS7_S7_PKlii,"axG",@progbits,_ZN12tensorrt_llm7kernels21fusedQKNormRopeKernelIN3c104HalfENS2_8BFloat16ELi64ELb1EEEvPviiifPKvS7_S7_PKlii,comdat
	.protected	_ZN12tensorrt_llm7kernels21fusedQKNormRopeKernelIN3c104HalfENS2_8BFloat16ELi64ELb1EEEvPviiifPKvS7_S7_PKlii ; -- Begin function _ZN12tensorrt_llm7kernels21fusedQKNormRopeKernelIN3c104HalfENS2_8BFloat16ELi64ELb1EEEvPviiifPKvS7_S7_PKlii
	.globl	_ZN12tensorrt_llm7kernels21fusedQKNormRopeKernelIN3c104HalfENS2_8BFloat16ELi64ELb1EEEvPviiifPKvS7_S7_PKlii
	.p2align	8
	.type	_ZN12tensorrt_llm7kernels21fusedQKNormRopeKernelIN3c104HalfENS2_8BFloat16ELi64ELb1EEEvPviiifPKvS7_S7_PKlii,@function
_ZN12tensorrt_llm7kernels21fusedQKNormRopeKernelIN3c104HalfENS2_8BFloat16ELi64ELb1EEEvPviiifPKvS7_S7_PKlii: ; @_ZN12tensorrt_llm7kernels21fusedQKNormRopeKernelIN3c104HalfENS2_8BFloat16ELi64ELb1EEEvPviiifPKvS7_S7_PKlii
; %bb.0:
	s_clause 0x2
	s_load_b128 s[8:11], s[0:1], 0x8
	s_load_b64 s[12:13], s[0:1], 0x38
	s_load_b32 s4, s[0:1], 0x4c
	v_lshrrev_b32_e32 v3, 5, v0
	s_waitcnt lgkmcnt(0)
	s_add_i32 s2, s9, s8
	s_bfe_u32 s4, s4, 0xb0005
	s_abs_i32 s3, s2
	s_delay_alu instid0(SALU_CYCLE_1) | instskip(SKIP_1) | instid1(VALU_DEP_1)
	v_cvt_f32_u32_e32 v1, s3
	s_sub_i32 s5, 0, s3
	v_rcp_iflag_f32_e32 v1, v1
	s_waitcnt_depctr 0xfff
	v_mul_f32_e32 v1, 0x4f7ffffe, v1
	s_delay_alu instid0(VALU_DEP_1) | instskip(NEXT) | instid1(VALU_DEP_1)
	v_cvt_u32_f32_e32 v4, v1
	v_mul_lo_u32 v5, s5, v4
	v_mad_u64_u32 v[1:2], null, s15, s4, v[3:4]
	s_delay_alu instid0(VALU_DEP_2) | instskip(NEXT) | instid1(VALU_DEP_2)
	v_mul_hi_u32 v2, v4, v5
	v_sub_nc_u32_e32 v3, 0, v1
	s_delay_alu instid0(VALU_DEP_1) | instskip(NEXT) | instid1(VALU_DEP_3)
	v_max_i32_e32 v3, v1, v3
	v_add_nc_u32_e32 v2, v4, v2
	s_delay_alu instid0(VALU_DEP_1) | instskip(NEXT) | instid1(VALU_DEP_1)
	v_mul_hi_u32 v2, v3, v2
	v_mul_lo_u32 v4, v2, s3
	s_delay_alu instid0(VALU_DEP_1) | instskip(NEXT) | instid1(VALU_DEP_1)
	v_sub_nc_u32_e32 v3, v3, v4
	v_subrev_nc_u32_e32 v5, s3, v3
	v_cmp_le_u32_e32 vcc_lo, s3, v3
	s_delay_alu instid0(VALU_DEP_2) | instskip(NEXT) | instid1(VALU_DEP_1)
	v_dual_cndmask_b32 v3, v3, v5 :: v_dual_add_nc_u32 v4, 1, v2
	v_cndmask_b32_e32 v2, v2, v4, vcc_lo
	v_xor_b32_e32 v4, s2, v1
	s_delay_alu instid0(VALU_DEP_3) | instskip(NEXT) | instid1(VALU_DEP_3)
	v_cmp_le_u32_e32 vcc_lo, s3, v3
	v_add_nc_u32_e32 v5, 1, v2
	s_delay_alu instid0(VALU_DEP_3) | instskip(SKIP_1) | instid1(VALU_DEP_2)
	v_ashrrev_i32_e32 v4, 31, v4
	s_mov_b32 s3, exec_lo
	v_cndmask_b32_e32 v2, v2, v5, vcc_lo
	s_delay_alu instid0(VALU_DEP_1) | instskip(NEXT) | instid1(VALU_DEP_1)
	v_xor_b32_e32 v2, v2, v4
	v_sub_nc_u32_e32 v2, v2, v4
	s_delay_alu instid0(VALU_DEP_1)
	v_cmpx_gt_i32_e64 s12, v2
	s_cbranch_execz .LBB48_4
; %bb.1:
	v_mul_lo_u32 v3, v2, s2
	s_add_i32 s2, s2, s10
	v_and_b32_e32 v7, 31, v0
	v_mul_lo_u32 v5, v2, s2
	s_load_b64 s[2:3], s[0:1], 0x0
	s_delay_alu instid0(VALU_DEP_2) | instskip(NEXT) | instid1(VALU_DEP_4)
	v_lshlrev_b32_e32 v4, 1, v7
	v_sub_nc_u32_e32 v1, v1, v3
	s_delay_alu instid0(VALU_DEP_1) | instskip(SKIP_1) | instid1(VALU_DEP_1)
	v_cmp_gt_i32_e32 vcc_lo, s8, v1
	v_cndmask_b32_e64 v3, s8, 0, vcc_lo
	v_sub_nc_u32_e32 v0, v1, v3
	s_delay_alu instid0(VALU_DEP_1) | instskip(NEXT) | instid1(VALU_DEP_1)
	v_add3_u32 v0, v5, v3, v0
	v_lshl_or_b32 v0, v0, 6, v4
	s_delay_alu instid0(VALU_DEP_1) | instskip(NEXT) | instid1(VALU_DEP_1)
	v_ashrrev_i32_e32 v1, 31, v0
	v_lshlrev_b64 v[0:1], 1, v[0:1]
	s_waitcnt lgkmcnt(0)
	s_delay_alu instid0(VALU_DEP_1) | instskip(NEXT) | instid1(VALU_DEP_1)
	v_add_co_u32 v0, s2, s2, v0
	v_add_co_ci_u32_e64 v1, s2, s3, v1, s2
	s_load_b256 s[0:7], s[0:1], 0x18
	global_load_b32 v3, v[0:1], off
	s_waitcnt lgkmcnt(0)
	v_dual_mov_b32 v5, s0 :: v_dual_mov_b32 v6, s1
	v_lshlrev_b32_e32 v8, 2, v7
	s_lshr_b32 s0, s13, 31
	s_delay_alu instid0(VALU_DEP_2) | instskip(NEXT) | instid1(VALU_DEP_3)
	v_cndmask_b32_e32 v5, s2, v5, vcc_lo
	v_cndmask_b32_e32 v6, s3, v6, vcc_lo
	s_add_i32 s0, s13, s0
	s_mov_b32 s2, exec_lo
	s_ashr_i32 s0, s0, 1
	v_add_co_u32 v5, vcc_lo, v5, v8
	v_add_co_ci_u32_e32 v6, vcc_lo, 0, v6, vcc_lo
	global_load_b32 v5, v[5:6], off
	v_mbcnt_lo_u32_b32 v6, -1, 0
	s_delay_alu instid0(VALU_DEP_1) | instskip(SKIP_1) | instid1(VALU_DEP_2)
	v_xor_b32_e32 v8, 16, v6
	v_xor_b32_e32 v11, 8, v6
	v_cmp_gt_i32_e32 vcc_lo, 32, v8
	v_cndmask_b32_e32 v8, v6, v8, vcc_lo
	s_delay_alu instid0(VALU_DEP_3) | instskip(NEXT) | instid1(VALU_DEP_2)
	v_cmp_gt_i32_e32 vcc_lo, 32, v11
	v_dual_cndmask_b32 v11, v6, v11 :: v_dual_lshlrev_b32 v8, 2, v8
	s_delay_alu instid0(VALU_DEP_1) | instskip(SKIP_2) | instid1(VALU_DEP_1)
	v_lshlrev_b32_e32 v11, 2, v11
	s_waitcnt vmcnt(1)
	v_cvt_f32_f16_e32 v9, v3
	v_mul_f32_e32 v10, v9, v9
	s_delay_alu instid0(VALU_DEP_1)
	v_fma_mix_f32 v10, v3, v3, v10 op_sel:[1,1,0] op_sel_hi:[1,1,0]
	v_lshrrev_b32_e32 v3, 16, v3
	ds_bpermute_b32 v8, v8, v10
	v_cvt_f32_f16_e32 v3, v3
	s_waitcnt lgkmcnt(0)
	v_add_f32_e32 v8, v10, v8
	ds_bpermute_b32 v10, v11, v8
	v_xor_b32_e32 v11, 4, v6
	s_delay_alu instid0(VALU_DEP_1) | instskip(SKIP_2) | instid1(VALU_DEP_1)
	v_cmp_gt_i32_e32 vcc_lo, 32, v11
	v_cndmask_b32_e32 v11, v6, v11, vcc_lo
	s_waitcnt lgkmcnt(0)
	v_dual_add_f32 v8, v8, v10 :: v_dual_lshlrev_b32 v11, 2, v11
	ds_bpermute_b32 v10, v11, v8
	v_xor_b32_e32 v11, 2, v6
	s_delay_alu instid0(VALU_DEP_1) | instskip(SKIP_2) | instid1(VALU_DEP_1)
	v_cmp_gt_i32_e32 vcc_lo, 32, v11
	v_cndmask_b32_e32 v11, v6, v11, vcc_lo
	s_waitcnt lgkmcnt(0)
	v_dual_add_f32 v8, v8, v10 :: v_dual_lshlrev_b32 v11, 2, v11
	ds_bpermute_b32 v10, v11, v8
	v_xor_b32_e32 v11, 1, v6
	s_delay_alu instid0(VALU_DEP_1) | instskip(SKIP_1) | instid1(VALU_DEP_1)
	v_cmp_gt_i32_e32 vcc_lo, 32, v11
	v_cndmask_b32_e32 v6, v6, v11, vcc_lo
	v_lshlrev_b32_e32 v6, 2, v6
	s_waitcnt lgkmcnt(0)
	v_add_f32_e32 v8, v8, v10
	v_mov_b32_e32 v10, s11
	ds_bpermute_b32 v6, v6, v8
	s_waitcnt lgkmcnt(0)
	v_add_f32_e32 v6, v8, v6
	s_delay_alu instid0(VALU_DEP_1) | instskip(NEXT) | instid1(VALU_DEP_1)
	v_fmamk_f32 v6, v6, 0x3c800000, v10
	v_mul_f32_e32 v8, 0x4b800000, v6
	v_cmp_gt_f32_e32 vcc_lo, 0x800000, v6
	s_delay_alu instid0(VALU_DEP_2) | instskip(SKIP_3) | instid1(VALU_DEP_3)
	v_cndmask_b32_e32 v6, v6, v8, vcc_lo
	s_waitcnt vmcnt(0)
	v_lshrrev_b32_e32 v8, 16, v5
	v_cvt_f32_f16_e32 v5, v5
	v_rsq_f32_e32 v6, v6
	s_delay_alu instid0(VALU_DEP_2) | instskip(SKIP_2) | instid1(VALU_DEP_1)
	v_cvt_f32_f16_e32 v8, v8
	s_waitcnt_depctr 0xfff
	v_mul_f32_e32 v10, 0x45800000, v6
	v_cndmask_b32_e32 v6, v6, v10, vcc_lo
	s_delay_alu instid0(VALU_DEP_1) | instskip(NEXT) | instid1(VALU_DEP_1)
	v_mul_f32_e32 v8, v6, v8
	v_dual_mul_f32 v6, v6, v5 :: v_dual_mul_f32 v5, v8, v3
	s_delay_alu instid0(VALU_DEP_1)
	v_mul_f32_e32 v6, v6, v9
	v_cmpx_gt_i32_e64 s0, v7
	s_cbranch_execz .LBB48_3
; %bb.2:
	v_ashrrev_i32_e32 v3, 31, v2
	s_ashr_i32 s1, s13, 31
	s_delay_alu instid0(VALU_DEP_1) | instskip(NEXT) | instid1(VALU_DEP_1)
	v_lshlrev_b64 v[2:3], 3, v[2:3]
	v_add_co_u32 v2, vcc_lo, s6, v2
	s_delay_alu instid0(VALU_DEP_2)
	v_add_co_ci_u32_e32 v3, vcc_lo, s7, v3, vcc_lo
	global_load_b64 v[2:3], v[2:3], off
	s_waitcnt vmcnt(0)
	v_mul_lo_u32 v3, v3, s13
	v_mul_lo_u32 v9, v2, s1
	v_mad_u64_u32 v[7:8], null, v2, s13, 0
	s_mov_b32 s1, 0
	s_delay_alu instid0(SALU_CYCLE_1) | instskip(NEXT) | instid1(VALU_DEP_1)
	s_lshl_b64 s[0:1], s[0:1], 1
	v_add3_u32 v8, v8, v9, v3
	s_delay_alu instid0(VALU_DEP_1) | instskip(NEXT) | instid1(VALU_DEP_1)
	v_lshlrev_b64 v[2:3], 1, v[7:8]
	v_add_co_u32 v2, vcc_lo, s4, v2
	s_delay_alu instid0(VALU_DEP_2) | instskip(NEXT) | instid1(VALU_DEP_2)
	v_add_co_ci_u32_e32 v3, vcc_lo, s5, v3, vcc_lo
	v_add_co_u32 v2, vcc_lo, v2, v4
	s_delay_alu instid0(VALU_DEP_2) | instskip(NEXT) | instid1(VALU_DEP_2)
	v_add_co_ci_u32_e32 v3, vcc_lo, 0, v3, vcc_lo
	v_add_co_u32 v7, vcc_lo, v2, s0
	s_delay_alu instid0(VALU_DEP_2)
	v_add_co_ci_u32_e32 v8, vcc_lo, s1, v3, vcc_lo
	s_clause 0x1
	global_load_u16 v4, v[7:8], off
	global_load_u16 v2, v[2:3], off
	s_waitcnt vmcnt(1)
	v_lshlrev_b32_e32 v3, 16, v4
	s_waitcnt vmcnt(0)
	v_lshlrev_b32_e32 v2, 16, v2
	s_delay_alu instid0(VALU_DEP_2) | instskip(NEXT) | instid1(VALU_DEP_2)
	v_mul_f32_e32 v4, v5, v3
	v_mul_f32_e32 v5, v5, v2
	s_delay_alu instid0(VALU_DEP_1) | instskip(NEXT) | instid1(VALU_DEP_3)
	v_fmac_f32_e32 v5, v6, v3
	v_fma_f32 v2, v6, v2, -v4
	s_delay_alu instid0(VALU_DEP_1)
	v_mov_b32_e32 v6, v2
.LBB48_3:
	s_or_b32 exec_lo, exec_lo, s2
	s_delay_alu instid0(VALU_DEP_1) | instskip(SKIP_1) | instid1(VALU_DEP_1)
	v_cvt_f16_f32_e32 v2, v6
	v_cvt_f16_f32_e32 v3, v5
	v_pack_b32_f16 v2, v2, v3
	global_store_b32 v[0:1], v2, off
.LBB48_4:
	s_nop 0
	s_sendmsg sendmsg(MSG_DEALLOC_VGPRS)
	s_endpgm
	.section	.rodata,"a",@progbits
	.p2align	6, 0x0
	.amdhsa_kernel _ZN12tensorrt_llm7kernels21fusedQKNormRopeKernelIN3c104HalfENS2_8BFloat16ELi64ELb1EEEvPviiifPKvS7_S7_PKlii
		.amdhsa_group_segment_fixed_size 0
		.amdhsa_private_segment_fixed_size 0
		.amdhsa_kernarg_size 320
		.amdhsa_user_sgpr_count 15
		.amdhsa_user_sgpr_dispatch_ptr 0
		.amdhsa_user_sgpr_queue_ptr 0
		.amdhsa_user_sgpr_kernarg_segment_ptr 1
		.amdhsa_user_sgpr_dispatch_id 0
		.amdhsa_user_sgpr_private_segment_size 0
		.amdhsa_wavefront_size32 1
		.amdhsa_uses_dynamic_stack 0
		.amdhsa_enable_private_segment 0
		.amdhsa_system_sgpr_workgroup_id_x 1
		.amdhsa_system_sgpr_workgroup_id_y 0
		.amdhsa_system_sgpr_workgroup_id_z 0
		.amdhsa_system_sgpr_workgroup_info 0
		.amdhsa_system_vgpr_workitem_id 0
		.amdhsa_next_free_vgpr 12
		.amdhsa_next_free_sgpr 16
		.amdhsa_reserve_vcc 1
		.amdhsa_float_round_mode_32 0
		.amdhsa_float_round_mode_16_64 0
		.amdhsa_float_denorm_mode_32 3
		.amdhsa_float_denorm_mode_16_64 3
		.amdhsa_dx10_clamp 1
		.amdhsa_ieee_mode 1
		.amdhsa_fp16_overflow 0
		.amdhsa_workgroup_processor_mode 1
		.amdhsa_memory_ordered 1
		.amdhsa_forward_progress 0
		.amdhsa_shared_vgpr_count 0
		.amdhsa_exception_fp_ieee_invalid_op 0
		.amdhsa_exception_fp_denorm_src 0
		.amdhsa_exception_fp_ieee_div_zero 0
		.amdhsa_exception_fp_ieee_overflow 0
		.amdhsa_exception_fp_ieee_underflow 0
		.amdhsa_exception_fp_ieee_inexact 0
		.amdhsa_exception_int_div_zero 0
	.end_amdhsa_kernel
	.section	.text._ZN12tensorrt_llm7kernels21fusedQKNormRopeKernelIN3c104HalfENS2_8BFloat16ELi64ELb1EEEvPviiifPKvS7_S7_PKlii,"axG",@progbits,_ZN12tensorrt_llm7kernels21fusedQKNormRopeKernelIN3c104HalfENS2_8BFloat16ELi64ELb1EEEvPviiifPKvS7_S7_PKlii,comdat
.Lfunc_end48:
	.size	_ZN12tensorrt_llm7kernels21fusedQKNormRopeKernelIN3c104HalfENS2_8BFloat16ELi64ELb1EEEvPviiifPKvS7_S7_PKlii, .Lfunc_end48-_ZN12tensorrt_llm7kernels21fusedQKNormRopeKernelIN3c104HalfENS2_8BFloat16ELi64ELb1EEEvPviiifPKvS7_S7_PKlii
                                        ; -- End function
	.section	.AMDGPU.csdata,"",@progbits
; Kernel info:
; codeLenInByte = 1056
; NumSgprs: 18
; NumVgprs: 12
; ScratchSize: 0
; MemoryBound: 0
; FloatMode: 240
; IeeeMode: 1
; LDSByteSize: 0 bytes/workgroup (compile time only)
; SGPRBlocks: 2
; VGPRBlocks: 1
; NumSGPRsForWavesPerEU: 18
; NumVGPRsForWavesPerEU: 12
; Occupancy: 16
; WaveLimiterHint : 1
; COMPUTE_PGM_RSRC2:SCRATCH_EN: 0
; COMPUTE_PGM_RSRC2:USER_SGPR: 15
; COMPUTE_PGM_RSRC2:TRAP_HANDLER: 0
; COMPUTE_PGM_RSRC2:TGID_X_EN: 1
; COMPUTE_PGM_RSRC2:TGID_Y_EN: 0
; COMPUTE_PGM_RSRC2:TGID_Z_EN: 0
; COMPUTE_PGM_RSRC2:TIDIG_COMP_CNT: 0
	.section	.text._ZN12tensorrt_llm7kernels21fusedQKNormRopeKernelIN3c104HalfENS2_8BFloat16ELi64ELb0EEEvPviiifPKvS7_S7_PKlii,"axG",@progbits,_ZN12tensorrt_llm7kernels21fusedQKNormRopeKernelIN3c104HalfENS2_8BFloat16ELi64ELb0EEEvPviiifPKvS7_S7_PKlii,comdat
	.protected	_ZN12tensorrt_llm7kernels21fusedQKNormRopeKernelIN3c104HalfENS2_8BFloat16ELi64ELb0EEEvPviiifPKvS7_S7_PKlii ; -- Begin function _ZN12tensorrt_llm7kernels21fusedQKNormRopeKernelIN3c104HalfENS2_8BFloat16ELi64ELb0EEEvPviiifPKvS7_S7_PKlii
	.globl	_ZN12tensorrt_llm7kernels21fusedQKNormRopeKernelIN3c104HalfENS2_8BFloat16ELi64ELb0EEEvPviiifPKvS7_S7_PKlii
	.p2align	8
	.type	_ZN12tensorrt_llm7kernels21fusedQKNormRopeKernelIN3c104HalfENS2_8BFloat16ELi64ELb0EEEvPviiifPKvS7_S7_PKlii,@function
_ZN12tensorrt_llm7kernels21fusedQKNormRopeKernelIN3c104HalfENS2_8BFloat16ELi64ELb0EEEvPviiifPKvS7_S7_PKlii: ; @_ZN12tensorrt_llm7kernels21fusedQKNormRopeKernelIN3c104HalfENS2_8BFloat16ELi64ELb0EEEvPviiifPKvS7_S7_PKlii
; %bb.0:
	s_clause 0x2
	s_load_b128 s[8:11], s[0:1], 0x8
	s_load_b64 s[12:13], s[0:1], 0x38
	s_load_b32 s4, s[0:1], 0x4c
	v_lshrrev_b32_e32 v3, 5, v0
	s_waitcnt lgkmcnt(0)
	s_add_i32 s2, s9, s8
	s_bfe_u32 s4, s4, 0xb0005
	s_abs_i32 s3, s2
	s_delay_alu instid0(SALU_CYCLE_1) | instskip(SKIP_1) | instid1(VALU_DEP_1)
	v_cvt_f32_u32_e32 v1, s3
	s_sub_i32 s5, 0, s3
	v_rcp_iflag_f32_e32 v1, v1
	s_waitcnt_depctr 0xfff
	v_mul_f32_e32 v1, 0x4f7ffffe, v1
	s_delay_alu instid0(VALU_DEP_1) | instskip(NEXT) | instid1(VALU_DEP_1)
	v_cvt_u32_f32_e32 v4, v1
	v_mul_lo_u32 v5, s5, v4
	v_mad_u64_u32 v[1:2], null, s15, s4, v[3:4]
	s_delay_alu instid0(VALU_DEP_2) | instskip(NEXT) | instid1(VALU_DEP_2)
	v_mul_hi_u32 v2, v4, v5
	v_sub_nc_u32_e32 v3, 0, v1
	s_delay_alu instid0(VALU_DEP_1) | instskip(NEXT) | instid1(VALU_DEP_3)
	v_max_i32_e32 v3, v1, v3
	v_add_nc_u32_e32 v2, v4, v2
	s_delay_alu instid0(VALU_DEP_1) | instskip(NEXT) | instid1(VALU_DEP_1)
	v_mul_hi_u32 v2, v3, v2
	v_mul_lo_u32 v4, v2, s3
	s_delay_alu instid0(VALU_DEP_1) | instskip(NEXT) | instid1(VALU_DEP_1)
	v_sub_nc_u32_e32 v3, v3, v4
	v_subrev_nc_u32_e32 v5, s3, v3
	v_cmp_le_u32_e32 vcc_lo, s3, v3
	s_delay_alu instid0(VALU_DEP_2) | instskip(NEXT) | instid1(VALU_DEP_1)
	v_dual_cndmask_b32 v3, v3, v5 :: v_dual_add_nc_u32 v4, 1, v2
	v_cndmask_b32_e32 v2, v2, v4, vcc_lo
	v_xor_b32_e32 v4, s2, v1
	s_delay_alu instid0(VALU_DEP_3) | instskip(NEXT) | instid1(VALU_DEP_3)
	v_cmp_le_u32_e32 vcc_lo, s3, v3
	v_add_nc_u32_e32 v5, 1, v2
	s_delay_alu instid0(VALU_DEP_3) | instskip(SKIP_1) | instid1(VALU_DEP_2)
	v_ashrrev_i32_e32 v4, 31, v4
	s_mov_b32 s3, exec_lo
	v_cndmask_b32_e32 v2, v2, v5, vcc_lo
	s_delay_alu instid0(VALU_DEP_1) | instskip(NEXT) | instid1(VALU_DEP_1)
	v_xor_b32_e32 v2, v2, v4
	v_sub_nc_u32_e32 v2, v2, v4
	s_delay_alu instid0(VALU_DEP_1)
	v_cmpx_gt_i32_e64 s12, v2
	s_cbranch_execz .LBB49_4
; %bb.1:
	v_mul_lo_u32 v3, v2, s2
	s_add_i32 s2, s2, s10
	v_and_b32_e32 v4, 31, v0
	v_mul_lo_u32 v5, v2, s2
	s_load_b64 s[2:3], s[0:1], 0x0
	s_delay_alu instid0(VALU_DEP_3) | instskip(NEXT) | instid1(VALU_DEP_1)
	v_sub_nc_u32_e32 v1, v1, v3
	v_cmp_gt_i32_e32 vcc_lo, s8, v1
	v_cndmask_b32_e64 v3, s8, 0, vcc_lo
	s_delay_alu instid0(VALU_DEP_1) | instskip(SKIP_1) | instid1(VALU_DEP_2)
	v_sub_nc_u32_e32 v0, v1, v3
	v_lshlrev_b32_e32 v1, 1, v4
	v_add3_u32 v0, v5, v3, v0
	s_delay_alu instid0(VALU_DEP_1) | instskip(NEXT) | instid1(VALU_DEP_1)
	v_lshl_or_b32 v0, v0, 6, v1
	v_ashrrev_i32_e32 v1, 31, v0
	s_delay_alu instid0(VALU_DEP_1) | instskip(SKIP_1) | instid1(VALU_DEP_1)
	v_lshlrev_b64 v[0:1], 1, v[0:1]
	s_waitcnt lgkmcnt(0)
	v_add_co_u32 v0, s2, s2, v0
	s_delay_alu instid0(VALU_DEP_1)
	v_add_co_ci_u32_e64 v1, s2, s3, v1, s2
	s_load_b256 s[0:7], s[0:1], 0x18
	global_load_b32 v3, v[0:1], off
	s_waitcnt lgkmcnt(0)
	v_dual_mov_b32 v6, s1 :: v_dual_mov_b32 v5, s0
	v_lshlrev_b32_e32 v8, 2, v4
	s_lshr_b32 s0, s13, 31
	s_delay_alu instid0(VALU_DEP_2) | instskip(NEXT) | instid1(VALU_DEP_3)
	v_cndmask_b32_e32 v6, s3, v6, vcc_lo
	v_cndmask_b32_e32 v5, s2, v5, vcc_lo
	s_add_i32 s0, s13, s0
	s_mov_b32 s2, exec_lo
	s_ashr_i32 s0, s0, 1
	s_delay_alu instid0(VALU_DEP_1) | instskip(SKIP_3) | instid1(VALU_DEP_1)
	v_add_co_u32 v5, vcc_lo, v5, v8
	v_add_co_ci_u32_e32 v6, vcc_lo, 0, v6, vcc_lo
	global_load_b32 v6, v[5:6], off
	v_mbcnt_lo_u32_b32 v5, -1, 0
	v_xor_b32_e32 v7, 16, v5
	v_xor_b32_e32 v11, 8, v5
	s_delay_alu instid0(VALU_DEP_2) | instskip(SKIP_1) | instid1(VALU_DEP_3)
	v_cmp_gt_i32_e32 vcc_lo, 32, v7
	v_cndmask_b32_e32 v7, v5, v7, vcc_lo
	v_cmp_gt_i32_e32 vcc_lo, 32, v11
	s_delay_alu instid0(VALU_DEP_2) | instskip(SKIP_1) | instid1(VALU_DEP_1)
	v_lshlrev_b32_e32 v7, 2, v7
	v_cndmask_b32_e32 v11, v5, v11, vcc_lo
	v_lshlrev_b32_e32 v11, 2, v11
	s_waitcnt vmcnt(1)
	v_cvt_f32_f16_e32 v9, v3
	s_delay_alu instid0(VALU_DEP_1) | instskip(NEXT) | instid1(VALU_DEP_1)
	v_mul_f32_e32 v10, v9, v9
	v_fma_mix_f32 v10, v3, v3, v10 op_sel:[1,1,0] op_sel_hi:[1,1,0]
	v_lshrrev_b32_e32 v3, 16, v3
	ds_bpermute_b32 v7, v7, v10
	v_cvt_f32_f16_e32 v3, v3
	s_waitcnt lgkmcnt(0)
	v_add_f32_e32 v7, v10, v7
	ds_bpermute_b32 v10, v11, v7
	v_xor_b32_e32 v11, 4, v5
	s_delay_alu instid0(VALU_DEP_1) | instskip(SKIP_1) | instid1(VALU_DEP_1)
	v_cmp_gt_i32_e32 vcc_lo, 32, v11
	v_cndmask_b32_e32 v11, v5, v11, vcc_lo
	v_lshlrev_b32_e32 v11, 2, v11
	s_waitcnt lgkmcnt(0)
	v_add_f32_e32 v7, v7, v10
	ds_bpermute_b32 v10, v11, v7
	v_xor_b32_e32 v11, 2, v5
	s_delay_alu instid0(VALU_DEP_1) | instskip(SKIP_1) | instid1(VALU_DEP_1)
	v_cmp_gt_i32_e32 vcc_lo, 32, v11
	v_cndmask_b32_e32 v11, v5, v11, vcc_lo
	v_lshlrev_b32_e32 v11, 2, v11
	;; [unrolled: 8-line block ×3, first 2 shown]
	s_waitcnt lgkmcnt(0)
	v_add_f32_e32 v7, v7, v10
	ds_bpermute_b32 v10, v11, v7
	v_mov_b32_e32 v11, s11
	s_waitcnt lgkmcnt(0)
	v_add_f32_e32 v7, v7, v10
	s_delay_alu instid0(VALU_DEP_1) | instskip(SKIP_3) | instid1(VALU_DEP_3)
	v_fmamk_f32 v7, v7, 0x3c800000, v11
	s_waitcnt vmcnt(0)
	v_lshrrev_b32_e32 v11, 16, v6
	v_cvt_f32_f16_e32 v6, v6
	v_mul_f32_e32 v10, 0x4b800000, v7
	v_cmp_gt_f32_e32 vcc_lo, 0x800000, v7
	s_delay_alu instid0(VALU_DEP_2) | instskip(NEXT) | instid1(VALU_DEP_1)
	v_cndmask_b32_e32 v7, v7, v10, vcc_lo
	v_rsq_f32_e32 v7, v7
	s_waitcnt_depctr 0xfff
	v_mul_f32_e32 v10, 0x45800000, v7
	s_delay_alu instid0(VALU_DEP_1) | instskip(SKIP_1) | instid1(VALU_DEP_2)
	v_cndmask_b32_e32 v7, v7, v10, vcc_lo
	v_cvt_f32_f16_e32 v10, v11
	v_mul_f32_e32 v6, v7, v6
	s_delay_alu instid0(VALU_DEP_1) | instskip(NEXT) | instid1(VALU_DEP_1)
	v_dual_mul_f32 v10, v7, v10 :: v_dual_mul_f32 v7, v6, v9
	v_mul_f32_e32 v6, v10, v3
	v_cmpx_gt_i32_e64 s0, v4
	s_cbranch_execz .LBB49_3
; %bb.2:
	v_ashrrev_i32_e32 v3, 31, v2
	s_abs_i32 s3, s13
	s_delay_alu instid0(SALU_CYCLE_1) | instskip(SKIP_1) | instid1(VALU_DEP_2)
	v_cvt_f32_u32_e32 v9, s3
	s_sub_i32 s1, 0, s3
	v_lshlrev_b64 v[2:3], 3, v[2:3]
	s_delay_alu instid0(VALU_DEP_2) | instskip(NEXT) | instid1(VALU_DEP_1)
	v_rcp_iflag_f32_e32 v9, v9
	v_add_co_u32 v2, vcc_lo, s6, v2
	s_delay_alu instid0(VALU_DEP_2) | instskip(SKIP_4) | instid1(VALU_DEP_1)
	v_add_co_ci_u32_e32 v3, vcc_lo, s7, v3, vcc_lo
	s_waitcnt_depctr 0xfff
	v_mul_f32_e32 v9, 0x4f7ffffe, v9
	global_load_b64 v[2:3], v[2:3], off
	; wave barrier
	v_cvt_u32_f32_e32 v9, v9
	v_mul_lo_u32 v10, s1, v9
	s_ashr_i32 s1, s13, 31
	s_delay_alu instid0(VALU_DEP_1) | instskip(NEXT) | instid1(VALU_DEP_1)
	v_mul_hi_u32 v10, v9, v10
	v_add_nc_u32_e32 v9, v9, v10
	v_or_b32_e32 v10, 2, v8
	s_delay_alu instid0(VALU_DEP_2) | instskip(NEXT) | instid1(VALU_DEP_2)
	v_mul_hi_u32 v11, v8, v9
	v_mul_hi_u32 v9, v10, v9
	s_delay_alu instid0(VALU_DEP_2) | instskip(NEXT) | instid1(VALU_DEP_2)
	v_mul_lo_u32 v11, v11, s3
	v_mul_lo_u32 v9, v9, s3
	s_delay_alu instid0(VALU_DEP_2) | instskip(NEXT) | instid1(VALU_DEP_2)
	v_sub_nc_u32_e32 v11, v8, v11
	v_sub_nc_u32_e32 v10, v10, v9
	s_delay_alu instid0(VALU_DEP_2) | instskip(SKIP_1) | instid1(VALU_DEP_3)
	v_subrev_nc_u32_e32 v12, s3, v11
	v_cmp_le_u32_e32 vcc_lo, s3, v11
	v_subrev_nc_u32_e32 v13, s3, v10
	s_waitcnt vmcnt(0)
	v_mul_lo_u32 v3, v3, s13
	v_mul_lo_u32 v14, v2, s1
	v_mad_u64_u32 v[8:9], null, v2, s13, 0
	v_cndmask_b32_e32 v2, v11, v12, vcc_lo
	v_cmp_le_u32_e32 vcc_lo, s3, v10
	s_mov_b32 s1, 0
	s_delay_alu instid0(SALU_CYCLE_1) | instskip(NEXT) | instid1(VALU_DEP_2)
	s_lshl_b64 s[6:7], s[0:1], 1
	v_subrev_nc_u32_e32 v11, s3, v2
	v_cndmask_b32_e32 v10, v10, v13, vcc_lo
	v_cmp_le_u32_e32 vcc_lo, s3, v2
	v_add3_u32 v9, v9, v14, v3
	s_lshr_b32 s0, s0, 1
	s_delay_alu instid0(VALU_DEP_3) | instskip(SKIP_3) | instid1(VALU_DEP_4)
	v_subrev_nc_u32_e32 v12, s3, v10
	v_cndmask_b32_e32 v11, v2, v11, vcc_lo
	v_cmp_le_u32_e32 vcc_lo, s3, v10
	v_lshlrev_b64 v[2:3], 1, v[8:9]
	v_cndmask_b32_e32 v8, v10, v12, vcc_lo
	s_delay_alu instid0(VALU_DEP_2) | instskip(NEXT) | instid1(VALU_DEP_3)
	v_add_co_u32 v12, vcc_lo, s4, v2
	v_add_co_ci_u32_e32 v13, vcc_lo, s5, v3, vcc_lo
	s_delay_alu instid0(VALU_DEP_3) | instskip(SKIP_1) | instid1(VALU_DEP_4)
	v_and_b32_e32 v14, -2, v8
	v_and_b32_e32 v9, -2, v11
	v_add_co_u32 v10, vcc_lo, v12, s6
	s_delay_alu instid0(VALU_DEP_4) | instskip(NEXT) | instid1(VALU_DEP_3)
	v_add_co_ci_u32_e32 v11, vcc_lo, s7, v13, vcc_lo
	v_add_co_u32 v2, vcc_lo, v12, v9
	v_add_co_ci_u32_e32 v3, vcc_lo, 0, v13, vcc_lo
	s_delay_alu instid0(VALU_DEP_4) | instskip(NEXT) | instid1(VALU_DEP_4)
	v_add_co_u32 v8, vcc_lo, v10, v9
	v_add_co_ci_u32_e32 v9, vcc_lo, 0, v11, vcc_lo
	v_add_co_u32 v10, vcc_lo, v10, v14
	v_add_co_ci_u32_e32 v11, vcc_lo, 0, v11, vcc_lo
	;; [unrolled: 2-line block ×3, first 2 shown]
	s_clause 0x3
	global_load_u16 v8, v[8:9], off
	global_load_u16 v9, v[10:11], off
	;; [unrolled: 1-line block ×4, first 2 shown]
	v_xor_b32_e32 v10, s0, v5
	; wave barrier
	s_delay_alu instid0(VALU_DEP_1) | instskip(SKIP_4) | instid1(VALU_DEP_3)
	v_cmp_gt_i32_e32 vcc_lo, 32, v10
	v_cndmask_b32_e32 v5, v5, v10, vcc_lo
	v_cmp_gt_u32_e32 vcc_lo, s0, v4
	s_waitcnt vmcnt(3)
	v_lshlrev_b32_e32 v8, 16, v8
	v_lshlrev_b32_e32 v5, 2, v5
	s_waitcnt vmcnt(0)
	v_lshlrev_b32_e32 v3, 16, v3
	ds_bpermute_b32 v10, v5, v7
	s_waitcnt lgkmcnt(0)
	v_cndmask_b32_e64 v4, v10, -v10, vcc_lo
	s_delay_alu instid0(VALU_DEP_1) | instskip(SKIP_4) | instid1(VALU_DEP_1)
	v_mul_f32_e32 v4, v4, v8
	ds_bpermute_b32 v5, v5, v6
	s_waitcnt lgkmcnt(0)
	v_cndmask_b32_e64 v5, v5, -v5, vcc_lo
	v_lshlrev_b32_e32 v2, 16, v2
	v_dual_fmac_f32 v4, v7, v2 :: v_dual_lshlrev_b32 v9, 16, v9
	s_delay_alu instid0(VALU_DEP_1) | instskip(NEXT) | instid1(VALU_DEP_2)
	v_mul_f32_e32 v5, v5, v9
	v_mov_b32_e32 v7, v4
	s_delay_alu instid0(VALU_DEP_2) | instskip(NEXT) | instid1(VALU_DEP_1)
	v_fmac_f32_e32 v5, v6, v3
	v_mov_b32_e32 v6, v5
.LBB49_3:
	s_or_b32 exec_lo, exec_lo, s2
	s_delay_alu instid0(VALU_DEP_3) | instskip(NEXT) | instid1(VALU_DEP_2)
	v_cvt_f16_f32_e32 v2, v7
	v_cvt_f16_f32_e32 v3, v6
	s_delay_alu instid0(VALU_DEP_1)
	v_pack_b32_f16 v2, v2, v3
	global_store_b32 v[0:1], v2, off
.LBB49_4:
	s_nop 0
	s_sendmsg sendmsg(MSG_DEALLOC_VGPRS)
	s_endpgm
	.section	.rodata,"a",@progbits
	.p2align	6, 0x0
	.amdhsa_kernel _ZN12tensorrt_llm7kernels21fusedQKNormRopeKernelIN3c104HalfENS2_8BFloat16ELi64ELb0EEEvPviiifPKvS7_S7_PKlii
		.amdhsa_group_segment_fixed_size 0
		.amdhsa_private_segment_fixed_size 0
		.amdhsa_kernarg_size 320
		.amdhsa_user_sgpr_count 15
		.amdhsa_user_sgpr_dispatch_ptr 0
		.amdhsa_user_sgpr_queue_ptr 0
		.amdhsa_user_sgpr_kernarg_segment_ptr 1
		.amdhsa_user_sgpr_dispatch_id 0
		.amdhsa_user_sgpr_private_segment_size 0
		.amdhsa_wavefront_size32 1
		.amdhsa_uses_dynamic_stack 0
		.amdhsa_enable_private_segment 0
		.amdhsa_system_sgpr_workgroup_id_x 1
		.amdhsa_system_sgpr_workgroup_id_y 0
		.amdhsa_system_sgpr_workgroup_id_z 0
		.amdhsa_system_sgpr_workgroup_info 0
		.amdhsa_system_vgpr_workitem_id 0
		.amdhsa_next_free_vgpr 15
		.amdhsa_next_free_sgpr 16
		.amdhsa_reserve_vcc 1
		.amdhsa_float_round_mode_32 0
		.amdhsa_float_round_mode_16_64 0
		.amdhsa_float_denorm_mode_32 3
		.amdhsa_float_denorm_mode_16_64 3
		.amdhsa_dx10_clamp 1
		.amdhsa_ieee_mode 1
		.amdhsa_fp16_overflow 0
		.amdhsa_workgroup_processor_mode 1
		.amdhsa_memory_ordered 1
		.amdhsa_forward_progress 0
		.amdhsa_shared_vgpr_count 0
		.amdhsa_exception_fp_ieee_invalid_op 0
		.amdhsa_exception_fp_denorm_src 0
		.amdhsa_exception_fp_ieee_div_zero 0
		.amdhsa_exception_fp_ieee_overflow 0
		.amdhsa_exception_fp_ieee_underflow 0
		.amdhsa_exception_fp_ieee_inexact 0
		.amdhsa_exception_int_div_zero 0
	.end_amdhsa_kernel
	.section	.text._ZN12tensorrt_llm7kernels21fusedQKNormRopeKernelIN3c104HalfENS2_8BFloat16ELi64ELb0EEEvPviiifPKvS7_S7_PKlii,"axG",@progbits,_ZN12tensorrt_llm7kernels21fusedQKNormRopeKernelIN3c104HalfENS2_8BFloat16ELi64ELb0EEEvPviiifPKvS7_S7_PKlii,comdat
.Lfunc_end49:
	.size	_ZN12tensorrt_llm7kernels21fusedQKNormRopeKernelIN3c104HalfENS2_8BFloat16ELi64ELb0EEEvPviiifPKvS7_S7_PKlii, .Lfunc_end49-_ZN12tensorrt_llm7kernels21fusedQKNormRopeKernelIN3c104HalfENS2_8BFloat16ELi64ELb0EEEvPviiifPKvS7_S7_PKlii
                                        ; -- End function
	.section	.AMDGPU.csdata,"",@progbits
; Kernel info:
; codeLenInByte = 1364
; NumSgprs: 18
; NumVgprs: 15
; ScratchSize: 0
; MemoryBound: 0
; FloatMode: 240
; IeeeMode: 1
; LDSByteSize: 0 bytes/workgroup (compile time only)
; SGPRBlocks: 2
; VGPRBlocks: 1
; NumSGPRsForWavesPerEU: 18
; NumVGPRsForWavesPerEU: 15
; Occupancy: 16
; WaveLimiterHint : 1
; COMPUTE_PGM_RSRC2:SCRATCH_EN: 0
; COMPUTE_PGM_RSRC2:USER_SGPR: 15
; COMPUTE_PGM_RSRC2:TRAP_HANDLER: 0
; COMPUTE_PGM_RSRC2:TGID_X_EN: 1
; COMPUTE_PGM_RSRC2:TGID_Y_EN: 0
; COMPUTE_PGM_RSRC2:TGID_Z_EN: 0
; COMPUTE_PGM_RSRC2:TIDIG_COMP_CNT: 0
	.section	.text._ZN12tensorrt_llm7kernels21fusedQKNormRopeKernelIN3c104HalfENS2_8BFloat16ELi128ELb1EEEvPviiifPKvS7_S7_PKlii,"axG",@progbits,_ZN12tensorrt_llm7kernels21fusedQKNormRopeKernelIN3c104HalfENS2_8BFloat16ELi128ELb1EEEvPviiifPKvS7_S7_PKlii,comdat
	.protected	_ZN12tensorrt_llm7kernels21fusedQKNormRopeKernelIN3c104HalfENS2_8BFloat16ELi128ELb1EEEvPviiifPKvS7_S7_PKlii ; -- Begin function _ZN12tensorrt_llm7kernels21fusedQKNormRopeKernelIN3c104HalfENS2_8BFloat16ELi128ELb1EEEvPviiifPKvS7_S7_PKlii
	.globl	_ZN12tensorrt_llm7kernels21fusedQKNormRopeKernelIN3c104HalfENS2_8BFloat16ELi128ELb1EEEvPviiifPKvS7_S7_PKlii
	.p2align	8
	.type	_ZN12tensorrt_llm7kernels21fusedQKNormRopeKernelIN3c104HalfENS2_8BFloat16ELi128ELb1EEEvPviiifPKvS7_S7_PKlii,@function
_ZN12tensorrt_llm7kernels21fusedQKNormRopeKernelIN3c104HalfENS2_8BFloat16ELi128ELb1EEEvPviiifPKvS7_S7_PKlii: ; @_ZN12tensorrt_llm7kernels21fusedQKNormRopeKernelIN3c104HalfENS2_8BFloat16ELi128ELb1EEEvPviiifPKvS7_S7_PKlii
; %bb.0:
	s_clause 0x2
	s_load_b128 s[8:11], s[0:1], 0x8
	s_load_b64 s[12:13], s[0:1], 0x38
	s_load_b32 s4, s[0:1], 0x4c
	v_lshrrev_b32_e32 v3, 5, v0
	s_waitcnt lgkmcnt(0)
	s_add_i32 s2, s9, s8
	s_bfe_u32 s4, s4, 0xb0005
	s_abs_i32 s3, s2
	s_delay_alu instid0(SALU_CYCLE_1) | instskip(SKIP_1) | instid1(VALU_DEP_1)
	v_cvt_f32_u32_e32 v1, s3
	s_sub_i32 s5, 0, s3
	v_rcp_iflag_f32_e32 v1, v1
	s_waitcnt_depctr 0xfff
	v_mul_f32_e32 v1, 0x4f7ffffe, v1
	s_delay_alu instid0(VALU_DEP_1) | instskip(NEXT) | instid1(VALU_DEP_1)
	v_cvt_u32_f32_e32 v4, v1
	v_mul_lo_u32 v5, s5, v4
	v_mad_u64_u32 v[1:2], null, s15, s4, v[3:4]
	s_delay_alu instid0(VALU_DEP_2) | instskip(NEXT) | instid1(VALU_DEP_2)
	v_mul_hi_u32 v2, v4, v5
	v_sub_nc_u32_e32 v3, 0, v1
	s_delay_alu instid0(VALU_DEP_1) | instskip(NEXT) | instid1(VALU_DEP_3)
	v_max_i32_e32 v3, v1, v3
	v_add_nc_u32_e32 v2, v4, v2
	s_delay_alu instid0(VALU_DEP_1) | instskip(NEXT) | instid1(VALU_DEP_1)
	v_mul_hi_u32 v2, v3, v2
	v_mul_lo_u32 v4, v2, s3
	s_delay_alu instid0(VALU_DEP_1) | instskip(NEXT) | instid1(VALU_DEP_1)
	v_sub_nc_u32_e32 v3, v3, v4
	v_subrev_nc_u32_e32 v5, s3, v3
	v_cmp_le_u32_e32 vcc_lo, s3, v3
	s_delay_alu instid0(VALU_DEP_2) | instskip(NEXT) | instid1(VALU_DEP_1)
	v_dual_cndmask_b32 v3, v3, v5 :: v_dual_add_nc_u32 v4, 1, v2
	v_cndmask_b32_e32 v2, v2, v4, vcc_lo
	v_xor_b32_e32 v4, s2, v1
	s_delay_alu instid0(VALU_DEP_3) | instskip(NEXT) | instid1(VALU_DEP_3)
	v_cmp_le_u32_e32 vcc_lo, s3, v3
	v_add_nc_u32_e32 v5, 1, v2
	s_delay_alu instid0(VALU_DEP_3) | instskip(SKIP_1) | instid1(VALU_DEP_2)
	v_ashrrev_i32_e32 v4, 31, v4
	s_mov_b32 s3, exec_lo
	v_cndmask_b32_e32 v2, v2, v5, vcc_lo
	s_delay_alu instid0(VALU_DEP_1) | instskip(NEXT) | instid1(VALU_DEP_1)
	v_xor_b32_e32 v2, v2, v4
	v_sub_nc_u32_e32 v2, v2, v4
	s_delay_alu instid0(VALU_DEP_1)
	v_cmpx_gt_i32_e64 s12, v2
	s_cbranch_execz .LBB50_4
; %bb.1:
	v_mul_lo_u32 v3, v2, s2
	s_add_i32 s2, s2, s10
	s_delay_alu instid0(SALU_CYCLE_1) | instskip(SKIP_1) | instid1(VALU_DEP_2)
	v_mul_lo_u32 v5, v2, s2
	s_load_b64 s[2:3], s[0:1], 0x0
	v_sub_nc_u32_e32 v1, v1, v3
	s_delay_alu instid0(VALU_DEP_1) | instskip(SKIP_2) | instid1(VALU_DEP_2)
	v_cmp_gt_i32_e32 vcc_lo, s8, v1
	v_and_b32_e32 v9, 31, v0
	v_cndmask_b32_e64 v3, s8, 0, vcc_lo
	v_lshlrev_b32_e32 v4, 2, v9
	s_delay_alu instid0(VALU_DEP_2) | instskip(NEXT) | instid1(VALU_DEP_1)
	v_sub_nc_u32_e32 v0, v1, v3
	v_add3_u32 v0, v5, v3, v0
	s_delay_alu instid0(VALU_DEP_1) | instskip(NEXT) | instid1(VALU_DEP_1)
	v_lshl_or_b32 v0, v0, 7, v4
	v_ashrrev_i32_e32 v1, 31, v0
	s_delay_alu instid0(VALU_DEP_1) | instskip(SKIP_1) | instid1(VALU_DEP_1)
	v_lshlrev_b64 v[0:1], 1, v[0:1]
	s_waitcnt lgkmcnt(0)
	v_add_co_u32 v0, s2, s2, v0
	s_delay_alu instid0(VALU_DEP_1)
	v_add_co_ci_u32_e64 v1, s2, s3, v1, s2
	s_load_b256 s[0:7], s[0:1], 0x18
	global_load_b64 v[5:6], v[0:1], off
	s_waitcnt lgkmcnt(0)
	v_mov_b32_e32 v3, s0
	v_mov_b32_e32 v7, s1
	s_ashr_i32 s1, s13, 31
	s_delay_alu instid0(SALU_CYCLE_1) | instskip(NEXT) | instid1(VALU_DEP_2)
	s_lshr_b32 s0, s1, 30
	v_cndmask_b32_e32 v3, s2, v3, vcc_lo
	s_delay_alu instid0(VALU_DEP_2) | instskip(SKIP_2) | instid1(SALU_CYCLE_1)
	v_cndmask_b32_e32 v10, s3, v7, vcc_lo
	v_lshlrev_b32_e32 v8, 3, v9
	s_add_i32 s0, s13, s0
	s_ashr_i32 s0, s0, 2
	s_delay_alu instid0(VALU_DEP_1)
	v_add_co_u32 v7, vcc_lo, v3, v8
	v_add_co_ci_u32_e32 v8, vcc_lo, 0, v10, vcc_lo
	v_mbcnt_lo_u32_b32 v10, -1, 0
	global_load_b64 v[7:8], v[7:8], off
	v_xor_b32_e32 v12, 16, v10
	v_xor_b32_e32 v13, 8, v10
	s_delay_alu instid0(VALU_DEP_2) | instskip(SKIP_1) | instid1(VALU_DEP_3)
	v_cmp_gt_i32_e32 vcc_lo, 32, v12
	v_cndmask_b32_e32 v12, v10, v12, vcc_lo
	v_cmp_gt_i32_e32 vcc_lo, 32, v13
	s_delay_alu instid0(VALU_DEP_2) | instskip(NEXT) | instid1(VALU_DEP_1)
	v_dual_cndmask_b32 v13, v10, v13 :: v_dual_lshlrev_b32 v12, 2, v12
	v_lshlrev_b32_e32 v13, 2, v13
	s_waitcnt vmcnt(1)
	v_lshrrev_b32_e32 v3, 16, v5
	v_lshrrev_b32_e32 v14, 16, v6
	s_delay_alu instid0(VALU_DEP_2) | instskip(NEXT) | instid1(VALU_DEP_2)
	v_cvt_f32_f16_e32 v3, v3
	v_cvt_f32_f16_e32 v14, v14
	s_delay_alu instid0(VALU_DEP_2) | instskip(NEXT) | instid1(VALU_DEP_1)
	v_mul_f32_e32 v11, v3, v3
	v_fma_mix_f32 v11, v5, v5, v11 op_sel_hi:[1,1,0]
	s_delay_alu instid0(VALU_DEP_1) | instskip(NEXT) | instid1(VALU_DEP_1)
	v_fma_mix_f32 v11, v6, v6, v11 op_sel_hi:[1,1,0]
	v_fma_mix_f32 v11, v6, v6, v11 op_sel:[1,1,0] op_sel_hi:[1,1,0]
	ds_bpermute_b32 v12, v12, v11
	s_waitcnt lgkmcnt(0)
	v_add_f32_e32 v11, v11, v12
	ds_bpermute_b32 v12, v13, v11
	v_xor_b32_e32 v13, 4, v10
	s_delay_alu instid0(VALU_DEP_1) | instskip(SKIP_1) | instid1(VALU_DEP_1)
	v_cmp_gt_i32_e32 vcc_lo, 32, v13
	v_cndmask_b32_e32 v13, v10, v13, vcc_lo
	v_lshlrev_b32_e32 v13, 2, v13
	s_waitcnt lgkmcnt(0)
	v_add_f32_e32 v11, v11, v12
	ds_bpermute_b32 v12, v13, v11
	v_xor_b32_e32 v13, 2, v10
	s_delay_alu instid0(VALU_DEP_1) | instskip(SKIP_1) | instid1(VALU_DEP_1)
	v_cmp_gt_i32_e32 vcc_lo, 32, v13
	v_cndmask_b32_e32 v13, v10, v13, vcc_lo
	v_lshlrev_b32_e32 v13, 2, v13
	s_waitcnt lgkmcnt(0)
	v_add_f32_e32 v11, v11, v12
	ds_bpermute_b32 v12, v13, v11
	v_xor_b32_e32 v13, 1, v10
	s_delay_alu instid0(VALU_DEP_1)
	v_cmp_gt_i32_e32 vcc_lo, 32, v13
	v_cndmask_b32_e32 v10, v10, v13, vcc_lo
	s_waitcnt vmcnt(0)
	v_lshrrev_b32_e32 v13, 16, v8
	v_cvt_f32_f16_e32 v8, v8
	s_waitcnt lgkmcnt(0)
	v_dual_add_f32 v11, v11, v12 :: v_dual_lshlrev_b32 v10, 2, v10
	v_mov_b32_e32 v12, s11
	ds_bpermute_b32 v10, v10, v11
	s_waitcnt lgkmcnt(0)
	v_add_f32_e32 v10, v11, v10
	s_delay_alu instid0(VALU_DEP_1) | instskip(NEXT) | instid1(VALU_DEP_1)
	v_fmamk_f32 v10, v10, 0x3c000000, v12
	v_cmp_gt_f32_e32 vcc_lo, 0x800000, v10
	v_mul_f32_e32 v11, 0x4b800000, v10
	s_delay_alu instid0(VALU_DEP_1) | instskip(SKIP_2) | instid1(VALU_DEP_3)
	v_cndmask_b32_e32 v10, v10, v11, vcc_lo
	v_lshrrev_b32_e32 v11, 16, v7
	v_cvt_f32_f16_e32 v7, v7
	v_rsq_f32_e32 v10, v10
	s_delay_alu instid0(VALU_DEP_2) | instskip(SKIP_2) | instid1(VALU_DEP_1)
	v_cvt_f32_f16_e32 v11, v11
	s_waitcnt_depctr 0xfff
	v_mul_f32_e32 v12, 0x45800000, v10
	v_cndmask_b32_e32 v10, v10, v12, vcc_lo
	v_cvt_f32_f16_e32 v12, v13
	v_cvt_f32_f16_e32 v13, v6
	;; [unrolled: 1-line block ×3, first 2 shown]
	v_cmp_gt_i32_e32 vcc_lo, s0, v9
	v_mul_f32_e32 v5, v10, v11
	v_mul_f32_e32 v7, v10, v7
	;; [unrolled: 1-line block ×3, first 2 shown]
	s_delay_alu instid0(VALU_DEP_3) | instskip(NEXT) | instid1(VALU_DEP_3)
	v_dual_mul_f32 v8, v10, v8 :: v_dual_mul_f32 v5, v5, v3
	v_mul_f32_e32 v7, v7, v6
	s_delay_alu instid0(VALU_DEP_3) | instskip(NEXT) | instid1(VALU_DEP_3)
	v_mul_f32_e32 v6, v11, v14
	v_mul_f32_e32 v8, v8, v13
	s_and_saveexec_b32 s0, vcc_lo
	s_cbranch_execz .LBB50_3
; %bb.2:
	v_ashrrev_i32_e32 v3, 31, v2
	s_delay_alu instid0(VALU_DEP_1) | instskip(NEXT) | instid1(VALU_DEP_1)
	v_lshlrev_b64 v[2:3], 3, v[2:3]
	v_add_co_u32 v2, vcc_lo, s6, v2
	s_delay_alu instid0(VALU_DEP_2)
	v_add_co_ci_u32_e32 v3, vcc_lo, s7, v3, vcc_lo
	global_load_b64 v[2:3], v[2:3], off
	s_waitcnt vmcnt(0)
	v_mul_lo_u32 v3, v3, s13
	v_mul_lo_u32 v11, v2, s1
	v_mad_u64_u32 v[9:10], null, v2, s13, 0
	s_lshr_b32 s1, s13, 31
	s_delay_alu instid0(SALU_CYCLE_1) | instskip(NEXT) | instid1(SALU_CYCLE_1)
	s_add_i32 s1, s13, s1
	s_ashr_i32 s2, s1, 1
	s_delay_alu instid0(VALU_DEP_1) | instskip(SKIP_1) | instid1(SALU_CYCLE_1)
	v_add3_u32 v10, v10, v11, v3
	s_ashr_i32 s3, s2, 31
	s_lshl_b64 s[2:3], s[2:3], 1
	s_delay_alu instid0(VALU_DEP_1) | instskip(NEXT) | instid1(VALU_DEP_1)
	v_lshlrev_b64 v[2:3], 1, v[9:10]
	v_add_co_u32 v2, vcc_lo, s4, v2
	s_delay_alu instid0(VALU_DEP_2) | instskip(NEXT) | instid1(VALU_DEP_2)
	v_add_co_ci_u32_e32 v3, vcc_lo, s5, v3, vcc_lo
	v_add_co_u32 v2, vcc_lo, v2, v4
	s_delay_alu instid0(VALU_DEP_2) | instskip(NEXT) | instid1(VALU_DEP_2)
	v_add_co_ci_u32_e32 v3, vcc_lo, 0, v3, vcc_lo
	v_add_co_u32 v9, vcc_lo, v2, s2
	s_delay_alu instid0(VALU_DEP_2)
	v_add_co_ci_u32_e32 v10, vcc_lo, s3, v3, vcc_lo
	s_clause 0x1
	global_load_b32 v2, v[2:3], off
	global_load_b32 v3, v[9:10], off
	s_waitcnt vmcnt(0)
	v_and_b32_e32 v9, 0xffff0000, v3
	v_lshlrev_b32_e32 v4, 16, v2
	v_lshlrev_b32_e32 v3, 16, v3
	s_delay_alu instid0(VALU_DEP_2) | instskip(SKIP_1) | instid1(VALU_DEP_2)
	v_dual_mul_f32 v11, v6, v9 :: v_dual_mul_f32 v10, v5, v4
	v_mul_f32_e32 v4, v7, v4
	v_fmac_f32_e32 v10, v7, v3
	v_and_b32_e32 v2, 0xffff0000, v2
	s_delay_alu instid0(VALU_DEP_3) | instskip(NEXT) | instid1(VALU_DEP_3)
	v_fma_f32 v7, -v5, v3, v4
	v_mov_b32_e32 v5, v10
	s_delay_alu instid0(VALU_DEP_3) | instskip(SKIP_1) | instid1(VALU_DEP_2)
	v_mul_f32_e32 v6, v6, v2
	v_fma_f32 v2, v8, v2, -v11
	v_fmac_f32_e32 v6, v8, v9
	s_delay_alu instid0(VALU_DEP_2)
	v_mov_b32_e32 v8, v2
.LBB50_3:
	s_or_b32 exec_lo, exec_lo, s0
	v_cvt_f16_f32_e32 v2, v7
	s_delay_alu instid0(VALU_DEP_2) | instskip(SKIP_2) | instid1(VALU_DEP_2)
	v_cvt_f16_f32_e32 v3, v8
	v_cvt_f16_f32_e32 v4, v6
	;; [unrolled: 1-line block ×3, first 2 shown]
	v_pack_b32_f16 v3, v3, v4
	s_delay_alu instid0(VALU_DEP_2)
	v_pack_b32_f16 v2, v2, v5
	global_store_b64 v[0:1], v[2:3], off
.LBB50_4:
	s_nop 0
	s_sendmsg sendmsg(MSG_DEALLOC_VGPRS)
	s_endpgm
	.section	.rodata,"a",@progbits
	.p2align	6, 0x0
	.amdhsa_kernel _ZN12tensorrt_llm7kernels21fusedQKNormRopeKernelIN3c104HalfENS2_8BFloat16ELi128ELb1EEEvPviiifPKvS7_S7_PKlii
		.amdhsa_group_segment_fixed_size 0
		.amdhsa_private_segment_fixed_size 0
		.amdhsa_kernarg_size 320
		.amdhsa_user_sgpr_count 15
		.amdhsa_user_sgpr_dispatch_ptr 0
		.amdhsa_user_sgpr_queue_ptr 0
		.amdhsa_user_sgpr_kernarg_segment_ptr 1
		.amdhsa_user_sgpr_dispatch_id 0
		.amdhsa_user_sgpr_private_segment_size 0
		.amdhsa_wavefront_size32 1
		.amdhsa_uses_dynamic_stack 0
		.amdhsa_enable_private_segment 0
		.amdhsa_system_sgpr_workgroup_id_x 1
		.amdhsa_system_sgpr_workgroup_id_y 0
		.amdhsa_system_sgpr_workgroup_id_z 0
		.amdhsa_system_sgpr_workgroup_info 0
		.amdhsa_system_vgpr_workitem_id 0
		.amdhsa_next_free_vgpr 15
		.amdhsa_next_free_sgpr 16
		.amdhsa_reserve_vcc 1
		.amdhsa_float_round_mode_32 0
		.amdhsa_float_round_mode_16_64 0
		.amdhsa_float_denorm_mode_32 3
		.amdhsa_float_denorm_mode_16_64 3
		.amdhsa_dx10_clamp 1
		.amdhsa_ieee_mode 1
		.amdhsa_fp16_overflow 0
		.amdhsa_workgroup_processor_mode 1
		.amdhsa_memory_ordered 1
		.amdhsa_forward_progress 0
		.amdhsa_shared_vgpr_count 0
		.amdhsa_exception_fp_ieee_invalid_op 0
		.amdhsa_exception_fp_denorm_src 0
		.amdhsa_exception_fp_ieee_div_zero 0
		.amdhsa_exception_fp_ieee_overflow 0
		.amdhsa_exception_fp_ieee_underflow 0
		.amdhsa_exception_fp_ieee_inexact 0
		.amdhsa_exception_int_div_zero 0
	.end_amdhsa_kernel
	.section	.text._ZN12tensorrt_llm7kernels21fusedQKNormRopeKernelIN3c104HalfENS2_8BFloat16ELi128ELb1EEEvPviiifPKvS7_S7_PKlii,"axG",@progbits,_ZN12tensorrt_llm7kernels21fusedQKNormRopeKernelIN3c104HalfENS2_8BFloat16ELi128ELb1EEEvPviiifPKvS7_S7_PKlii,comdat
.Lfunc_end50:
	.size	_ZN12tensorrt_llm7kernels21fusedQKNormRopeKernelIN3c104HalfENS2_8BFloat16ELi128ELb1EEEvPviiifPKvS7_S7_PKlii, .Lfunc_end50-_ZN12tensorrt_llm7kernels21fusedQKNormRopeKernelIN3c104HalfENS2_8BFloat16ELi128ELb1EEEvPviiifPKvS7_S7_PKlii
                                        ; -- End function
	.section	.AMDGPU.csdata,"",@progbits
; Kernel info:
; codeLenInByte = 1200
; NumSgprs: 18
; NumVgprs: 15
; ScratchSize: 0
; MemoryBound: 0
; FloatMode: 240
; IeeeMode: 1
; LDSByteSize: 0 bytes/workgroup (compile time only)
; SGPRBlocks: 2
; VGPRBlocks: 1
; NumSGPRsForWavesPerEU: 18
; NumVGPRsForWavesPerEU: 15
; Occupancy: 16
; WaveLimiterHint : 1
; COMPUTE_PGM_RSRC2:SCRATCH_EN: 0
; COMPUTE_PGM_RSRC2:USER_SGPR: 15
; COMPUTE_PGM_RSRC2:TRAP_HANDLER: 0
; COMPUTE_PGM_RSRC2:TGID_X_EN: 1
; COMPUTE_PGM_RSRC2:TGID_Y_EN: 0
; COMPUTE_PGM_RSRC2:TGID_Z_EN: 0
; COMPUTE_PGM_RSRC2:TIDIG_COMP_CNT: 0
	.section	.text._ZN12tensorrt_llm7kernels21fusedQKNormRopeKernelIN3c104HalfENS2_8BFloat16ELi128ELb0EEEvPviiifPKvS7_S7_PKlii,"axG",@progbits,_ZN12tensorrt_llm7kernels21fusedQKNormRopeKernelIN3c104HalfENS2_8BFloat16ELi128ELb0EEEvPviiifPKvS7_S7_PKlii,comdat
	.protected	_ZN12tensorrt_llm7kernels21fusedQKNormRopeKernelIN3c104HalfENS2_8BFloat16ELi128ELb0EEEvPviiifPKvS7_S7_PKlii ; -- Begin function _ZN12tensorrt_llm7kernels21fusedQKNormRopeKernelIN3c104HalfENS2_8BFloat16ELi128ELb0EEEvPviiifPKvS7_S7_PKlii
	.globl	_ZN12tensorrt_llm7kernels21fusedQKNormRopeKernelIN3c104HalfENS2_8BFloat16ELi128ELb0EEEvPviiifPKvS7_S7_PKlii
	.p2align	8
	.type	_ZN12tensorrt_llm7kernels21fusedQKNormRopeKernelIN3c104HalfENS2_8BFloat16ELi128ELb0EEEvPviiifPKvS7_S7_PKlii,@function
_ZN12tensorrt_llm7kernels21fusedQKNormRopeKernelIN3c104HalfENS2_8BFloat16ELi128ELb0EEEvPviiifPKvS7_S7_PKlii: ; @_ZN12tensorrt_llm7kernels21fusedQKNormRopeKernelIN3c104HalfENS2_8BFloat16ELi128ELb0EEEvPviiifPKvS7_S7_PKlii
; %bb.0:
	s_clause 0x2
	s_load_b128 s[8:11], s[0:1], 0x8
	s_load_b64 s[12:13], s[0:1], 0x38
	s_load_b32 s4, s[0:1], 0x4c
	v_lshrrev_b32_e32 v3, 5, v0
	s_waitcnt lgkmcnt(0)
	s_add_i32 s2, s9, s8
	s_bfe_u32 s4, s4, 0xb0005
	s_abs_i32 s3, s2
	s_delay_alu instid0(SALU_CYCLE_1) | instskip(SKIP_1) | instid1(VALU_DEP_1)
	v_cvt_f32_u32_e32 v1, s3
	s_sub_i32 s5, 0, s3
	v_rcp_iflag_f32_e32 v1, v1
	s_waitcnt_depctr 0xfff
	v_mul_f32_e32 v1, 0x4f7ffffe, v1
	s_delay_alu instid0(VALU_DEP_1) | instskip(NEXT) | instid1(VALU_DEP_1)
	v_cvt_u32_f32_e32 v4, v1
	v_mul_lo_u32 v5, s5, v4
	v_mad_u64_u32 v[1:2], null, s15, s4, v[3:4]
	s_delay_alu instid0(VALU_DEP_2) | instskip(NEXT) | instid1(VALU_DEP_2)
	v_mul_hi_u32 v2, v4, v5
	v_sub_nc_u32_e32 v3, 0, v1
	s_delay_alu instid0(VALU_DEP_1) | instskip(NEXT) | instid1(VALU_DEP_3)
	v_max_i32_e32 v3, v1, v3
	v_add_nc_u32_e32 v2, v4, v2
	s_delay_alu instid0(VALU_DEP_1) | instskip(NEXT) | instid1(VALU_DEP_1)
	v_mul_hi_u32 v2, v3, v2
	v_mul_lo_u32 v4, v2, s3
	s_delay_alu instid0(VALU_DEP_1) | instskip(NEXT) | instid1(VALU_DEP_1)
	v_sub_nc_u32_e32 v3, v3, v4
	v_subrev_nc_u32_e32 v5, s3, v3
	v_cmp_le_u32_e32 vcc_lo, s3, v3
	s_delay_alu instid0(VALU_DEP_2) | instskip(NEXT) | instid1(VALU_DEP_1)
	v_dual_cndmask_b32 v3, v3, v5 :: v_dual_add_nc_u32 v4, 1, v2
	v_cndmask_b32_e32 v2, v2, v4, vcc_lo
	v_xor_b32_e32 v4, s2, v1
	s_delay_alu instid0(VALU_DEP_3) | instskip(NEXT) | instid1(VALU_DEP_3)
	v_cmp_le_u32_e32 vcc_lo, s3, v3
	v_add_nc_u32_e32 v5, 1, v2
	s_delay_alu instid0(VALU_DEP_3) | instskip(SKIP_1) | instid1(VALU_DEP_2)
	v_ashrrev_i32_e32 v4, 31, v4
	s_mov_b32 s3, exec_lo
	v_cndmask_b32_e32 v2, v2, v5, vcc_lo
	s_delay_alu instid0(VALU_DEP_1) | instskip(NEXT) | instid1(VALU_DEP_1)
	v_xor_b32_e32 v2, v2, v4
	v_sub_nc_u32_e32 v2, v2, v4
	s_delay_alu instid0(VALU_DEP_1)
	v_cmpx_gt_i32_e64 s12, v2
	s_cbranch_execz .LBB51_4
; %bb.1:
	v_mul_lo_u32 v3, v2, s2
	s_add_i32 s2, s2, s10
	v_and_b32_e32 v4, 31, v0
	v_mul_lo_u32 v5, v2, s2
	s_load_b64 s[2:3], s[0:1], 0x0
	s_delay_alu instid0(VALU_DEP_3) | instskip(NEXT) | instid1(VALU_DEP_1)
	v_sub_nc_u32_e32 v1, v1, v3
	v_cmp_gt_i32_e32 vcc_lo, s8, v1
	v_cndmask_b32_e64 v3, s8, 0, vcc_lo
	s_delay_alu instid0(VALU_DEP_1) | instskip(SKIP_1) | instid1(VALU_DEP_2)
	v_sub_nc_u32_e32 v0, v1, v3
	v_lshlrev_b32_e32 v1, 2, v4
	v_add3_u32 v0, v5, v3, v0
	s_delay_alu instid0(VALU_DEP_1) | instskip(NEXT) | instid1(VALU_DEP_1)
	v_lshl_or_b32 v0, v0, 7, v1
	v_ashrrev_i32_e32 v1, 31, v0
	s_delay_alu instid0(VALU_DEP_1) | instskip(SKIP_1) | instid1(VALU_DEP_1)
	v_lshlrev_b64 v[0:1], 1, v[0:1]
	s_waitcnt lgkmcnt(0)
	v_add_co_u32 v0, s2, s2, v0
	s_delay_alu instid0(VALU_DEP_1)
	v_add_co_ci_u32_e64 v1, s2, s3, v1, s2
	s_load_b256 s[0:7], s[0:1], 0x18
	global_load_b64 v[6:7], v[0:1], off
	s_waitcnt lgkmcnt(0)
	v_mov_b32_e32 v3, s0
	v_dual_mov_b32 v5, s1 :: v_dual_lshlrev_b32 v10, 3, v4
	s_ashr_i32 s1, s13, 31
	s_delay_alu instid0(VALU_DEP_2) | instskip(NEXT) | instid1(VALU_DEP_2)
	v_cndmask_b32_e32 v3, s2, v3, vcc_lo
	v_cndmask_b32_e32 v5, s3, v5, vcc_lo
	s_lshr_b32 s0, s1, 30
	s_delay_alu instid0(SALU_CYCLE_1) | instskip(NEXT) | instid1(VALU_DEP_2)
	s_add_i32 s0, s13, s0
	v_add_co_u32 v8, vcc_lo, v3, v10
	s_delay_alu instid0(VALU_DEP_2)
	v_add_co_ci_u32_e32 v9, vcc_lo, 0, v5, vcc_lo
	v_mbcnt_lo_u32_b32 v5, -1, 0
	s_ashr_i32 s0, s0, 2
	global_load_b64 v[8:9], v[8:9], off
	v_xor_b32_e32 v12, 16, v5
	v_xor_b32_e32 v13, 8, v5
	s_delay_alu instid0(VALU_DEP_2) | instskip(SKIP_1) | instid1(VALU_DEP_3)
	v_cmp_gt_i32_e32 vcc_lo, 32, v12
	v_cndmask_b32_e32 v12, v5, v12, vcc_lo
	v_cmp_gt_i32_e32 vcc_lo, 32, v13
	s_delay_alu instid0(VALU_DEP_2) | instskip(NEXT) | instid1(VALU_DEP_1)
	v_dual_cndmask_b32 v13, v5, v13 :: v_dual_lshlrev_b32 v12, 2, v12
	v_lshlrev_b32_e32 v13, 2, v13
	s_waitcnt vmcnt(1)
	v_lshrrev_b32_e32 v3, 16, v6
	v_lshrrev_b32_e32 v15, 16, v7
	s_delay_alu instid0(VALU_DEP_2) | instskip(NEXT) | instid1(VALU_DEP_1)
	v_cvt_f32_f16_e32 v3, v3
	v_mul_f32_e32 v11, v3, v3
	s_delay_alu instid0(VALU_DEP_1) | instskip(SKIP_1) | instid1(VALU_DEP_2)
	v_fma_mix_f32 v11, v6, v6, v11 op_sel_hi:[1,1,0]
	v_cvt_f32_f16_e32 v6, v6
	v_fma_mix_f32 v11, v7, v7, v11 op_sel_hi:[1,1,0]
	s_delay_alu instid0(VALU_DEP_1)
	v_fma_mix_f32 v11, v7, v7, v11 op_sel:[1,1,0] op_sel_hi:[1,1,0]
	v_cvt_f32_f16_e32 v7, v7
	ds_bpermute_b32 v12, v12, v11
	s_waitcnt lgkmcnt(0)
	v_add_f32_e32 v11, v11, v12
	ds_bpermute_b32 v12, v13, v11
	v_xor_b32_e32 v13, 4, v5
	s_delay_alu instid0(VALU_DEP_1) | instskip(SKIP_1) | instid1(VALU_DEP_1)
	v_cmp_gt_i32_e32 vcc_lo, 32, v13
	v_cndmask_b32_e32 v13, v5, v13, vcc_lo
	v_lshlrev_b32_e32 v13, 2, v13
	s_waitcnt lgkmcnt(0)
	v_add_f32_e32 v11, v11, v12
	ds_bpermute_b32 v12, v13, v11
	v_xor_b32_e32 v13, 2, v5
	s_delay_alu instid0(VALU_DEP_1) | instskip(SKIP_1) | instid1(VALU_DEP_1)
	v_cmp_gt_i32_e32 vcc_lo, 32, v13
	v_cndmask_b32_e32 v13, v5, v13, vcc_lo
	v_lshlrev_b32_e32 v13, 2, v13
	;; [unrolled: 8-line block ×3, first 2 shown]
	s_waitcnt lgkmcnt(0)
	v_add_f32_e32 v11, v11, v12
	ds_bpermute_b32 v12, v13, v11
	v_mov_b32_e32 v13, s11
	s_waitcnt lgkmcnt(0)
	v_add_f32_e32 v11, v11, v12
	s_delay_alu instid0(VALU_DEP_1) | instskip(SKIP_3) | instid1(VALU_DEP_3)
	v_fmamk_f32 v11, v11, 0x3c000000, v13
	s_waitcnt vmcnt(0)
	v_lshrrev_b32_e32 v13, 16, v9
	v_cvt_f32_f16_e32 v9, v9
	v_mul_f32_e32 v12, 0x4b800000, v11
	v_cmp_gt_f32_e32 vcc_lo, 0x800000, v11
	s_delay_alu instid0(VALU_DEP_4) | instskip(NEXT) | instid1(VALU_DEP_3)
	v_cvt_f32_f16_e32 v13, v13
	v_cndmask_b32_e32 v11, v11, v12, vcc_lo
	v_lshrrev_b32_e32 v12, 16, v8
	v_cvt_f32_f16_e32 v8, v8
	s_delay_alu instid0(VALU_DEP_3) | instskip(NEXT) | instid1(VALU_DEP_2)
	v_rsq_f32_e32 v11, v11
	v_cvt_f32_f16_e32 v12, v12
	s_waitcnt_depctr 0xfff
	v_mul_f32_e32 v14, 0x45800000, v11
	s_delay_alu instid0(VALU_DEP_1) | instskip(SKIP_2) | instid1(VALU_DEP_3)
	v_cndmask_b32_e32 v11, v11, v14, vcc_lo
	v_cvt_f32_f16_e32 v14, v15
	v_cmp_gt_i32_e32 vcc_lo, s0, v4
	v_mul_f32_e32 v8, v11, v8
	v_mul_f32_e32 v12, v11, v12
	;; [unrolled: 1-line block ×3, first 2 shown]
	s_delay_alu instid0(VALU_DEP_3) | instskip(NEXT) | instid1(VALU_DEP_3)
	v_dual_mul_f32 v11, v11, v13 :: v_dual_mul_f32 v8, v8, v6
	v_mul_f32_e32 v6, v12, v3
	s_delay_alu instid0(VALU_DEP_3) | instskip(NEXT) | instid1(VALU_DEP_3)
	v_mul_f32_e32 v9, v9, v7
	v_mul_f32_e32 v7, v11, v14
	s_and_saveexec_b32 s0, vcc_lo
	s_cbranch_execz .LBB51_3
; %bb.2:
	v_ashrrev_i32_e32 v3, 31, v2
	v_or_b32_e32 v13, 4, v10
	v_or_b32_e32 v14, 6, v10
	s_delay_alu instid0(VALU_DEP_3) | instskip(NEXT) | instid1(VALU_DEP_1)
	v_lshlrev_b64 v[2:3], 3, v[2:3]
	v_add_co_u32 v2, vcc_lo, s6, v2
	s_delay_alu instid0(VALU_DEP_2) | instskip(SKIP_1) | instid1(SALU_CYCLE_1)
	v_add_co_ci_u32_e32 v3, vcc_lo, s7, v3, vcc_lo
	s_abs_i32 s6, s13
	v_cvt_f32_u32_e32 v11, s6
	global_load_b64 v[2:3], v[2:3], off
	s_sub_i32 s2, 0, s6
	; wave barrier
	v_rcp_iflag_f32_e32 v11, v11
	s_waitcnt_depctr 0xfff
	v_mul_f32_e32 v11, 0x4f7ffffe, v11
	s_delay_alu instid0(VALU_DEP_1) | instskip(NEXT) | instid1(VALU_DEP_1)
	v_cvt_u32_f32_e32 v11, v11
	v_mul_lo_u32 v12, s2, v11
	s_lshr_b32 s2, s13, 31
	s_delay_alu instid0(SALU_CYCLE_1) | instskip(NEXT) | instid1(SALU_CYCLE_1)
	s_add_i32 s2, s13, s2
	s_ashr_i32 s2, s2, 1
	s_delay_alu instid0(SALU_CYCLE_1) | instskip(NEXT) | instid1(VALU_DEP_1)
	s_ashr_i32 s3, s2, 31
	v_mul_hi_u32 v12, v11, v12
	s_lshl_b64 s[2:3], s[2:3], 1
	s_delay_alu instid0(VALU_DEP_1) | instskip(SKIP_1) | instid1(VALU_DEP_2)
	v_add_nc_u32_e32 v11, v11, v12
	v_or_b32_e32 v12, 2, v10
	v_mul_hi_u32 v15, v10, v11
	s_delay_alu instid0(VALU_DEP_2) | instskip(SKIP_2) | instid1(VALU_DEP_4)
	v_mul_hi_u32 v16, v12, v11
	v_mul_hi_u32 v17, v13, v11
	;; [unrolled: 1-line block ×3, first 2 shown]
	v_mul_lo_u32 v15, v15, s6
	s_delay_alu instid0(VALU_DEP_4) | instskip(NEXT) | instid1(VALU_DEP_4)
	v_mul_lo_u32 v16, v16, s6
	v_mul_lo_u32 v17, v17, s6
	s_delay_alu instid0(VALU_DEP_4) | instskip(NEXT) | instid1(VALU_DEP_4)
	v_mul_lo_u32 v11, v11, s6
	v_sub_nc_u32_e32 v10, v10, v15
	s_delay_alu instid0(VALU_DEP_4) | instskip(NEXT) | instid1(VALU_DEP_4)
	v_sub_nc_u32_e32 v12, v12, v16
	v_sub_nc_u32_e32 v13, v13, v17
	s_delay_alu instid0(VALU_DEP_4) | instskip(NEXT) | instid1(VALU_DEP_4)
	v_sub_nc_u32_e32 v11, v14, v11
	v_subrev_nc_u32_e32 v14, s6, v10
	v_cmp_le_u32_e32 vcc_lo, s6, v10
	v_subrev_nc_u32_e32 v15, s6, v12
	v_subrev_nc_u32_e32 v16, s6, v13
	;; [unrolled: 1-line block ×3, first 2 shown]
	v_cndmask_b32_e32 v14, v10, v14, vcc_lo
	v_cmp_le_u32_e32 vcc_lo, s6, v12
	v_cndmask_b32_e32 v12, v12, v15, vcc_lo
	v_cmp_le_u32_e32 vcc_lo, s6, v13
	;; [unrolled: 2-line block ×4, first 2 shown]
	v_subrev_nc_u32_e32 v17, s6, v12
	s_waitcnt vmcnt(0)
	v_mul_lo_u32 v16, v2, s1
	v_mad_u64_u32 v[10:11], null, v2, s13, 0
	v_subrev_nc_u32_e32 v2, s6, v14
	v_mul_lo_u32 v3, v3, s13
	s_lshr_b32 s1, s1, 29
	s_delay_alu instid0(SALU_CYCLE_1) | instskip(NEXT) | instid1(VALU_DEP_2)
	s_add_i32 s1, s13, s1
	v_cndmask_b32_e32 v14, v14, v2, vcc_lo
	v_cmp_le_u32_e32 vcc_lo, s6, v12
	v_subrev_nc_u32_e32 v18, s6, v13
	s_ashr_i32 s1, s1, 3
	s_delay_alu instid0(VALU_DEP_4)
	v_add3_u32 v11, v11, v16, v3
	v_and_b32_e32 v16, -2, v14
	v_cndmask_b32_e32 v12, v12, v17, vcc_lo
	v_cmp_le_u32_e32 vcc_lo, s6, v13
	v_subrev_nc_u32_e32 v19, s6, v15
	v_lshlrev_b64 v[2:3], 1, v[10:11]
	v_cndmask_b32_e32 v13, v13, v18, vcc_lo
	v_cmp_le_u32_e32 vcc_lo, s6, v15
	v_and_b32_e32 v18, -2, v12
	s_delay_alu instid0(VALU_DEP_3) | instskip(SKIP_3) | instid1(VALU_DEP_3)
	v_and_b32_e32 v20, -2, v13
	v_cndmask_b32_e32 v10, v15, v19, vcc_lo
	v_add_co_u32 v14, vcc_lo, s4, v2
	v_add_co_ci_u32_e32 v15, vcc_lo, s5, v3, vcc_lo
	v_and_b32_e32 v22, -2, v10
	s_delay_alu instid0(VALU_DEP_3) | instskip(NEXT) | instid1(VALU_DEP_3)
	v_add_co_u32 v23, vcc_lo, v14, s2
	v_add_co_ci_u32_e32 v24, vcc_lo, s3, v15, vcc_lo
	v_add_co_u32 v2, vcc_lo, v14, v16
	v_add_co_ci_u32_e32 v3, vcc_lo, 0, v15, vcc_lo
	;; [unrolled: 2-line block ×9, first 2 shown]
	s_clause 0x7
	global_load_u16 v2, v[2:3], off
	global_load_u16 v3, v[16:17], off
	;; [unrolled: 1-line block ×8, first 2 shown]
	v_xor_b32_e32 v15, s1, v5
	; wave barrier
	s_delay_alu instid0(VALU_DEP_1) | instskip(SKIP_2) | instid1(VALU_DEP_2)
	v_cmp_gt_i32_e32 vcc_lo, 32, v15
	v_cndmask_b32_e32 v5, v5, v15, vcc_lo
	v_cmp_gt_i32_e32 vcc_lo, s1, v4
	v_lshlrev_b32_e32 v5, 2, v5
	ds_bpermute_b32 v15, v5, v8
	ds_bpermute_b32 v17, v5, v6
	;; [unrolled: 1-line block ×4, first 2 shown]
	s_waitcnt lgkmcnt(3)
	v_cndmask_b32_e64 v4, v15, -v15, vcc_lo
	s_waitcnt lgkmcnt(2)
	v_cndmask_b32_e64 v15, v17, -v17, vcc_lo
	;; [unrolled: 2-line block ×4, first 2 shown]
	s_waitcnt vmcnt(0)
	v_lshlrev_b32_e32 v14, 16, v14
	v_lshlrev_b32_e32 v16, 16, v16
	s_delay_alu instid0(VALU_DEP_1) | instskip(SKIP_3) | instid1(VALU_DEP_1)
	v_dual_mul_f32 v5, v5, v16 :: v_dual_lshlrev_b32 v2, 16, v2
	v_lshlrev_b32_e32 v12, 16, v12
	v_lshlrev_b32_e32 v10, 16, v10
	;; [unrolled: 1-line block ×3, first 2 shown]
	v_mul_f32_e32 v3, v4, v3
	s_delay_alu instid0(VALU_DEP_1) | instskip(NEXT) | instid1(VALU_DEP_1)
	v_fmac_f32_e32 v3, v8, v2
	v_dual_mov_b32 v8, v3 :: v_dual_lshlrev_b32 v11, 16, v11
	s_delay_alu instid0(VALU_DEP_1) | instskip(NEXT) | instid1(VALU_DEP_1)
	v_dual_mul_f32 v4, v15, v11 :: v_dual_lshlrev_b32 v13, 16, v13
	v_mul_f32_e32 v11, v17, v13
	s_delay_alu instid0(VALU_DEP_1) | instskip(NEXT) | instid1(VALU_DEP_1)
	v_dual_fmac_f32 v11, v9, v12 :: v_dual_fmac_f32 v4, v6, v10
	v_mov_b32_e32 v9, v11
	s_delay_alu instid0(VALU_DEP_2) | instskip(NEXT) | instid1(VALU_DEP_1)
	v_dual_fmac_f32 v5, v7, v14 :: v_dual_mov_b32 v6, v4
	v_mov_b32_e32 v7, v5
.LBB51_3:
	s_or_b32 exec_lo, exec_lo, s0
	v_cvt_f16_f32_e32 v2, v8
	v_cvt_f16_f32_e32 v3, v9
	s_delay_alu instid0(VALU_DEP_3) | instskip(SKIP_1) | instid1(VALU_DEP_2)
	v_cvt_f16_f32_e32 v4, v7
	v_cvt_f16_f32_e32 v5, v6
	v_pack_b32_f16 v3, v3, v4
	s_delay_alu instid0(VALU_DEP_2)
	v_pack_b32_f16 v2, v2, v5
	global_store_b64 v[0:1], v[2:3], off
.LBB51_4:
	s_nop 0
	s_sendmsg sendmsg(MSG_DEALLOC_VGPRS)
	s_endpgm
	.section	.rodata,"a",@progbits
	.p2align	6, 0x0
	.amdhsa_kernel _ZN12tensorrt_llm7kernels21fusedQKNormRopeKernelIN3c104HalfENS2_8BFloat16ELi128ELb0EEEvPviiifPKvS7_S7_PKlii
		.amdhsa_group_segment_fixed_size 0
		.amdhsa_private_segment_fixed_size 0
		.amdhsa_kernarg_size 320
		.amdhsa_user_sgpr_count 15
		.amdhsa_user_sgpr_dispatch_ptr 0
		.amdhsa_user_sgpr_queue_ptr 0
		.amdhsa_user_sgpr_kernarg_segment_ptr 1
		.amdhsa_user_sgpr_dispatch_id 0
		.amdhsa_user_sgpr_private_segment_size 0
		.amdhsa_wavefront_size32 1
		.amdhsa_uses_dynamic_stack 0
		.amdhsa_enable_private_segment 0
		.amdhsa_system_sgpr_workgroup_id_x 1
		.amdhsa_system_sgpr_workgroup_id_y 0
		.amdhsa_system_sgpr_workgroup_id_z 0
		.amdhsa_system_sgpr_workgroup_info 0
		.amdhsa_system_vgpr_workitem_id 0
		.amdhsa_next_free_vgpr 25
		.amdhsa_next_free_sgpr 16
		.amdhsa_reserve_vcc 1
		.amdhsa_float_round_mode_32 0
		.amdhsa_float_round_mode_16_64 0
		.amdhsa_float_denorm_mode_32 3
		.amdhsa_float_denorm_mode_16_64 3
		.amdhsa_dx10_clamp 1
		.amdhsa_ieee_mode 1
		.amdhsa_fp16_overflow 0
		.amdhsa_workgroup_processor_mode 1
		.amdhsa_memory_ordered 1
		.amdhsa_forward_progress 0
		.amdhsa_shared_vgpr_count 0
		.amdhsa_exception_fp_ieee_invalid_op 0
		.amdhsa_exception_fp_denorm_src 0
		.amdhsa_exception_fp_ieee_div_zero 0
		.amdhsa_exception_fp_ieee_overflow 0
		.amdhsa_exception_fp_ieee_underflow 0
		.amdhsa_exception_fp_ieee_inexact 0
		.amdhsa_exception_int_div_zero 0
	.end_amdhsa_kernel
	.section	.text._ZN12tensorrt_llm7kernels21fusedQKNormRopeKernelIN3c104HalfENS2_8BFloat16ELi128ELb0EEEvPviiifPKvS7_S7_PKlii,"axG",@progbits,_ZN12tensorrt_llm7kernels21fusedQKNormRopeKernelIN3c104HalfENS2_8BFloat16ELi128ELb0EEEvPviiifPKvS7_S7_PKlii,comdat
.Lfunc_end51:
	.size	_ZN12tensorrt_llm7kernels21fusedQKNormRopeKernelIN3c104HalfENS2_8BFloat16ELi128ELb0EEEvPviiifPKvS7_S7_PKlii, .Lfunc_end51-_ZN12tensorrt_llm7kernels21fusedQKNormRopeKernelIN3c104HalfENS2_8BFloat16ELi128ELb0EEEvPviiifPKvS7_S7_PKlii
                                        ; -- End function
	.section	.AMDGPU.csdata,"",@progbits
; Kernel info:
; codeLenInByte = 1744
; NumSgprs: 18
; NumVgprs: 25
; ScratchSize: 0
; MemoryBound: 0
; FloatMode: 240
; IeeeMode: 1
; LDSByteSize: 0 bytes/workgroup (compile time only)
; SGPRBlocks: 2
; VGPRBlocks: 3
; NumSGPRsForWavesPerEU: 18
; NumVGPRsForWavesPerEU: 25
; Occupancy: 16
; WaveLimiterHint : 1
; COMPUTE_PGM_RSRC2:SCRATCH_EN: 0
; COMPUTE_PGM_RSRC2:USER_SGPR: 15
; COMPUTE_PGM_RSRC2:TRAP_HANDLER: 0
; COMPUTE_PGM_RSRC2:TGID_X_EN: 1
; COMPUTE_PGM_RSRC2:TGID_Y_EN: 0
; COMPUTE_PGM_RSRC2:TGID_Z_EN: 0
; COMPUTE_PGM_RSRC2:TIDIG_COMP_CNT: 0
	.section	.text._ZN12tensorrt_llm7kernels21fusedQKNormRopeKernelIN3c104HalfENS2_8BFloat16ELi256ELb1EEEvPviiifPKvS7_S7_PKlii,"axG",@progbits,_ZN12tensorrt_llm7kernels21fusedQKNormRopeKernelIN3c104HalfENS2_8BFloat16ELi256ELb1EEEvPviiifPKvS7_S7_PKlii,comdat
	.protected	_ZN12tensorrt_llm7kernels21fusedQKNormRopeKernelIN3c104HalfENS2_8BFloat16ELi256ELb1EEEvPviiifPKvS7_S7_PKlii ; -- Begin function _ZN12tensorrt_llm7kernels21fusedQKNormRopeKernelIN3c104HalfENS2_8BFloat16ELi256ELb1EEEvPviiifPKvS7_S7_PKlii
	.globl	_ZN12tensorrt_llm7kernels21fusedQKNormRopeKernelIN3c104HalfENS2_8BFloat16ELi256ELb1EEEvPviiifPKvS7_S7_PKlii
	.p2align	8
	.type	_ZN12tensorrt_llm7kernels21fusedQKNormRopeKernelIN3c104HalfENS2_8BFloat16ELi256ELb1EEEvPviiifPKvS7_S7_PKlii,@function
_ZN12tensorrt_llm7kernels21fusedQKNormRopeKernelIN3c104HalfENS2_8BFloat16ELi256ELb1EEEvPviiifPKvS7_S7_PKlii: ; @_ZN12tensorrt_llm7kernels21fusedQKNormRopeKernelIN3c104HalfENS2_8BFloat16ELi256ELb1EEEvPviiifPKvS7_S7_PKlii
; %bb.0:
	s_clause 0x2
	s_load_b128 s[8:11], s[0:1], 0x8
	s_load_b64 s[12:13], s[0:1], 0x38
	s_load_b32 s4, s[0:1], 0x4c
	v_lshrrev_b32_e32 v3, 5, v0
	s_waitcnt lgkmcnt(0)
	s_add_i32 s2, s9, s8
	s_bfe_u32 s4, s4, 0xb0005
	s_abs_i32 s3, s2
	s_delay_alu instid0(SALU_CYCLE_1) | instskip(SKIP_1) | instid1(VALU_DEP_1)
	v_cvt_f32_u32_e32 v1, s3
	s_sub_i32 s5, 0, s3
	v_rcp_iflag_f32_e32 v1, v1
	s_waitcnt_depctr 0xfff
	v_mul_f32_e32 v1, 0x4f7ffffe, v1
	s_delay_alu instid0(VALU_DEP_1) | instskip(NEXT) | instid1(VALU_DEP_1)
	v_cvt_u32_f32_e32 v4, v1
	v_mul_lo_u32 v5, s5, v4
	v_mad_u64_u32 v[1:2], null, s15, s4, v[3:4]
	s_delay_alu instid0(VALU_DEP_2) | instskip(NEXT) | instid1(VALU_DEP_2)
	v_mul_hi_u32 v2, v4, v5
	v_sub_nc_u32_e32 v3, 0, v1
	s_delay_alu instid0(VALU_DEP_1) | instskip(NEXT) | instid1(VALU_DEP_3)
	v_max_i32_e32 v3, v1, v3
	v_add_nc_u32_e32 v2, v4, v2
	s_delay_alu instid0(VALU_DEP_1) | instskip(NEXT) | instid1(VALU_DEP_1)
	v_mul_hi_u32 v2, v3, v2
	v_mul_lo_u32 v4, v2, s3
	s_delay_alu instid0(VALU_DEP_1) | instskip(NEXT) | instid1(VALU_DEP_1)
	v_sub_nc_u32_e32 v3, v3, v4
	v_subrev_nc_u32_e32 v5, s3, v3
	v_cmp_le_u32_e32 vcc_lo, s3, v3
	s_delay_alu instid0(VALU_DEP_2) | instskip(NEXT) | instid1(VALU_DEP_1)
	v_dual_cndmask_b32 v3, v3, v5 :: v_dual_add_nc_u32 v4, 1, v2
	v_cndmask_b32_e32 v2, v2, v4, vcc_lo
	v_xor_b32_e32 v4, s2, v1
	s_delay_alu instid0(VALU_DEP_3) | instskip(NEXT) | instid1(VALU_DEP_3)
	v_cmp_le_u32_e32 vcc_lo, s3, v3
	v_add_nc_u32_e32 v5, 1, v2
	s_delay_alu instid0(VALU_DEP_3) | instskip(SKIP_1) | instid1(VALU_DEP_2)
	v_ashrrev_i32_e32 v4, 31, v4
	s_mov_b32 s3, exec_lo
	v_cndmask_b32_e32 v2, v2, v5, vcc_lo
	s_delay_alu instid0(VALU_DEP_1) | instskip(NEXT) | instid1(VALU_DEP_1)
	v_xor_b32_e32 v2, v2, v4
	v_sub_nc_u32_e32 v2, v2, v4
	s_delay_alu instid0(VALU_DEP_1)
	v_cmpx_gt_i32_e64 s12, v2
	s_cbranch_execz .LBB52_4
; %bb.1:
	v_mul_lo_u32 v3, v2, s2
	s_add_i32 s2, s2, s10
	v_and_b32_e32 v13, 31, v0
	v_mul_lo_u32 v5, v2, s2
	s_load_b64 s[2:3], s[0:1], 0x0
	v_mbcnt_lo_u32_b32 v15, -1, 0
	s_delay_alu instid0(VALU_DEP_3) | instskip(SKIP_2) | instid1(VALU_DEP_4)
	v_lshlrev_b32_e32 v4, 3, v13
	v_sub_nc_u32_e32 v1, v1, v3
	v_lshlrev_b32_e32 v10, 4, v13
	v_xor_b32_e32 v16, 16, v15
	v_xor_b32_e32 v17, 8, v15
	s_delay_alu instid0(VALU_DEP_4) | instskip(SKIP_1) | instid1(VALU_DEP_1)
	v_cmp_gt_i32_e32 vcc_lo, s8, v1
	v_cndmask_b32_e64 v3, s8, 0, vcc_lo
	v_sub_nc_u32_e32 v0, v1, v3
	s_delay_alu instid0(VALU_DEP_1) | instskip(NEXT) | instid1(VALU_DEP_1)
	v_add3_u32 v0, v5, v3, v0
	v_lshl_or_b32 v0, v0, 8, v4
	s_delay_alu instid0(VALU_DEP_1) | instskip(NEXT) | instid1(VALU_DEP_1)
	v_ashrrev_i32_e32 v1, 31, v0
	v_lshlrev_b64 v[0:1], 1, v[0:1]
	s_waitcnt lgkmcnt(0)
	s_delay_alu instid0(VALU_DEP_1) | instskip(NEXT) | instid1(VALU_DEP_1)
	v_add_co_u32 v0, s2, s2, v0
	v_add_co_ci_u32_e64 v1, s2, s3, v1, s2
	s_load_b256 s[0:7], s[0:1], 0x18
	global_load_b128 v[5:8], v[0:1], off
	s_waitcnt lgkmcnt(0)
	v_mov_b32_e32 v3, s0
	v_mov_b32_e32 v9, s1
	s_ashr_i32 s1, s13, 31
	s_delay_alu instid0(SALU_CYCLE_1) | instskip(NEXT) | instid1(VALU_DEP_2)
	s_lshr_b32 s0, s1, 29
	v_cndmask_b32_e32 v3, s2, v3, vcc_lo
	s_delay_alu instid0(VALU_DEP_2) | instskip(SKIP_1) | instid1(SALU_CYCLE_1)
	v_cndmask_b32_e32 v11, s3, v9, vcc_lo
	s_add_i32 s0, s13, s0
	s_ashr_i32 s0, s0, 3
	s_delay_alu instid0(VALU_DEP_2) | instskip(NEXT) | instid1(VALU_DEP_2)
	v_add_co_u32 v9, vcc_lo, v3, v10
	v_add_co_ci_u32_e32 v10, vcc_lo, 0, v11, vcc_lo
	v_cmp_gt_i32_e32 vcc_lo, 32, v16
	global_load_b128 v[9:12], v[9:10], off
	v_cndmask_b32_e32 v16, v15, v16, vcc_lo
	v_cmp_gt_i32_e32 vcc_lo, 32, v17
	v_cndmask_b32_e32 v17, v15, v17, vcc_lo
	s_delay_alu instid0(VALU_DEP_1) | instskip(NEXT) | instid1(VALU_DEP_4)
	v_lshlrev_b32_e32 v17, 2, v17
	v_lshlrev_b32_e32 v16, 2, v16
	s_waitcnt vmcnt(1)
	v_lshrrev_b32_e32 v3, 16, v5
	v_cvt_f32_f16_e32 v21, v6
	v_lshrrev_b32_e32 v22, 16, v7
	v_cvt_f32_f16_e32 v19, v8
	s_delay_alu instid0(VALU_DEP_4) | instskip(NEXT) | instid1(VALU_DEP_3)
	v_cvt_f32_f16_e32 v3, v3
	v_cvt_f32_f16_e32 v22, v22
	s_delay_alu instid0(VALU_DEP_2) | instskip(NEXT) | instid1(VALU_DEP_1)
	v_mul_f32_e32 v14, v3, v3
	v_fma_mix_f32 v14, v5, v5, v14 op_sel_hi:[1,1,0]
	v_cvt_f32_f16_e32 v5, v5
	s_delay_alu instid0(VALU_DEP_2) | instskip(NEXT) | instid1(VALU_DEP_1)
	v_fma_mix_f32 v14, v6, v6, v14 op_sel_hi:[1,1,0]
	v_fma_mix_f32 v14, v6, v6, v14 op_sel:[1,1,0] op_sel_hi:[1,1,0]
	v_lshrrev_b32_e32 v6, 16, v6
	s_delay_alu instid0(VALU_DEP_2) | instskip(NEXT) | instid1(VALU_DEP_2)
	v_fma_mix_f32 v14, v7, v7, v14 op_sel_hi:[1,1,0]
	v_cvt_f32_f16_e32 v6, v6
	s_waitcnt vmcnt(0)
	v_lshrrev_b32_e32 v18, 16, v12
	s_delay_alu instid0(VALU_DEP_3) | instskip(SKIP_1) | instid1(VALU_DEP_3)
	v_fma_mix_f32 v14, v7, v7, v14 op_sel:[1,1,0] op_sel_hi:[1,1,0]
	v_cvt_f32_f16_e32 v12, v12
	v_cvt_f32_f16_e32 v18, v18
	s_delay_alu instid0(VALU_DEP_3) | instskip(NEXT) | instid1(VALU_DEP_1)
	v_fma_mix_f32 v14, v8, v8, v14 op_sel_hi:[1,1,0]
	v_fma_mix_f32 v14, v8, v8, v14 op_sel:[1,1,0] op_sel_hi:[1,1,0]
	v_lshrrev_b32_e32 v8, 16, v8
	ds_bpermute_b32 v16, v16, v14
	v_cvt_f32_f16_e32 v8, v8
	s_waitcnt lgkmcnt(0)
	v_add_f32_e32 v14, v14, v16
	ds_bpermute_b32 v16, v17, v14
	v_xor_b32_e32 v17, 4, v15
	s_delay_alu instid0(VALU_DEP_1) | instskip(SKIP_2) | instid1(VALU_DEP_1)
	v_cmp_gt_i32_e32 vcc_lo, 32, v17
	s_waitcnt lgkmcnt(0)
	v_dual_add_f32 v14, v14, v16 :: v_dual_cndmask_b32 v17, v15, v17
	v_lshlrev_b32_e32 v17, 2, v17
	ds_bpermute_b32 v16, v17, v14
	v_xor_b32_e32 v17, 2, v15
	s_delay_alu instid0(VALU_DEP_1) | instskip(SKIP_2) | instid1(VALU_DEP_1)
	v_cmp_gt_i32_e32 vcc_lo, 32, v17
	v_cndmask_b32_e32 v17, v15, v17, vcc_lo
	s_waitcnt lgkmcnt(0)
	v_dual_add_f32 v14, v14, v16 :: v_dual_lshlrev_b32 v17, 2, v17
	ds_bpermute_b32 v16, v17, v14
	v_xor_b32_e32 v17, 1, v15
	s_delay_alu instid0(VALU_DEP_1)
	v_cmp_gt_i32_e32 vcc_lo, 32, v17
	s_waitcnt lgkmcnt(0)
	v_add_f32_e32 v14, v14, v16
	v_dual_mov_b32 v16, s11 :: v_dual_cndmask_b32 v15, v15, v17
	v_lshrrev_b32_e32 v17, 16, v11
	v_cvt_f32_f16_e32 v11, v11
	s_delay_alu instid0(VALU_DEP_3) | instskip(NEXT) | instid1(VALU_DEP_3)
	v_lshlrev_b32_e32 v15, 2, v15
	v_cvt_f32_f16_e32 v17, v17
	ds_bpermute_b32 v15, v15, v14
	s_waitcnt lgkmcnt(0)
	v_add_f32_e32 v14, v14, v15
	s_delay_alu instid0(VALU_DEP_1) | instskip(SKIP_2) | instid1(VALU_DEP_3)
	v_fmamk_f32 v14, v14, 0x3b800000, v16
	v_lshrrev_b32_e32 v16, 16, v9
	v_cvt_f32_f16_e32 v9, v9
	v_cmp_gt_f32_e32 vcc_lo, 0x800000, v14
	v_mul_f32_e32 v15, 0x4b800000, v14
	s_delay_alu instid0(VALU_DEP_4) | instskip(NEXT) | instid1(VALU_DEP_2)
	v_cvt_f32_f16_e32 v16, v16
	v_cndmask_b32_e32 v14, v14, v15, vcc_lo
	v_lshrrev_b32_e32 v15, 16, v10
	v_cvt_f32_f16_e32 v10, v10
	s_delay_alu instid0(VALU_DEP_3) | instskip(NEXT) | instid1(VALU_DEP_2)
	v_rsq_f32_e32 v14, v14
	v_cvt_f32_f16_e32 v15, v15
	s_waitcnt_depctr 0xfff
	v_mul_f32_e32 v20, 0x45800000, v14
	s_delay_alu instid0(VALU_DEP_1) | instskip(SKIP_2) | instid1(VALU_DEP_3)
	v_cndmask_b32_e32 v14, v14, v20, vcc_lo
	v_cvt_f32_f16_e32 v20, v7
	v_cmp_gt_i32_e32 vcc_lo, s0, v13
	v_mul_f32_e32 v7, v14, v16
	v_mul_f32_e32 v16, v14, v17
	;; [unrolled: 1-line block ×5, first 2 shown]
	s_delay_alu instid0(VALU_DEP_3) | instskip(SKIP_2) | instid1(VALU_DEP_2)
	v_dual_mul_f32 v17, v14, v12 :: v_dual_mul_f32 v12, v9, v5
	v_dual_mul_f32 v10, v14, v10 :: v_dual_mul_f32 v7, v7, v3
	v_mul_f32_e32 v14, v14, v18
	v_dual_mul_f32 v9, v10, v21 :: v_dual_mul_f32 v10, v11, v20
	s_delay_alu instid0(VALU_DEP_2)
	v_dual_mul_f32 v5, v15, v6 :: v_dual_mul_f32 v8, v14, v8
	v_dual_mul_f32 v11, v17, v19 :: v_dual_mul_f32 v6, v16, v22
	s_and_saveexec_b32 s0, vcc_lo
	s_cbranch_execz .LBB52_3
; %bb.2:
	v_ashrrev_i32_e32 v3, 31, v2
	s_delay_alu instid0(VALU_DEP_1) | instskip(NEXT) | instid1(VALU_DEP_1)
	v_lshlrev_b64 v[2:3], 3, v[2:3]
	v_add_co_u32 v2, vcc_lo, s6, v2
	s_delay_alu instid0(VALU_DEP_2)
	v_add_co_ci_u32_e32 v3, vcc_lo, s7, v3, vcc_lo
	global_load_b64 v[2:3], v[2:3], off
	s_waitcnt vmcnt(0)
	v_mul_lo_u32 v3, v3, s13
	v_mul_lo_u32 v15, v2, s1
	v_mad_u64_u32 v[13:14], null, v2, s13, 0
	s_lshr_b32 s1, s13, 31
	s_delay_alu instid0(SALU_CYCLE_1) | instskip(NEXT) | instid1(SALU_CYCLE_1)
	s_add_i32 s1, s13, s1
	s_ashr_i32 s2, s1, 1
	s_delay_alu instid0(VALU_DEP_1) | instskip(SKIP_1) | instid1(SALU_CYCLE_1)
	v_add3_u32 v14, v14, v15, v3
	s_ashr_i32 s3, s2, 31
	s_lshl_b64 s[2:3], s[2:3], 1
	s_delay_alu instid0(VALU_DEP_1) | instskip(NEXT) | instid1(VALU_DEP_1)
	v_lshlrev_b64 v[2:3], 1, v[13:14]
	v_add_co_u32 v2, vcc_lo, s4, v2
	s_delay_alu instid0(VALU_DEP_2) | instskip(NEXT) | instid1(VALU_DEP_2)
	v_add_co_ci_u32_e32 v3, vcc_lo, s5, v3, vcc_lo
	v_add_co_u32 v2, vcc_lo, v2, v4
	s_delay_alu instid0(VALU_DEP_2) | instskip(NEXT) | instid1(VALU_DEP_2)
	v_add_co_ci_u32_e32 v3, vcc_lo, 0, v3, vcc_lo
	v_add_co_u32 v13, vcc_lo, v2, s2
	s_delay_alu instid0(VALU_DEP_2)
	v_add_co_ci_u32_e32 v14, vcc_lo, s3, v3, vcc_lo
	s_clause 0x1
	global_load_b64 v[2:3], v[2:3], off
	global_load_b64 v[13:14], v[13:14], off
	s_waitcnt vmcnt(0)
	v_lshlrev_b32_e32 v16, 16, v13
	v_lshlrev_b32_e32 v4, 16, v2
	v_and_b32_e32 v2, 0xffff0000, v2
	v_and_b32_e32 v13, 0xffff0000, v13
	s_delay_alu instid0(VALU_DEP_3) | instskip(NEXT) | instid1(VALU_DEP_2)
	v_dual_mul_f32 v17, v7, v4 :: v_dual_lshlrev_b32 v18, 16, v14
	v_mul_f32_e32 v19, v5, v13
	s_delay_alu instid0(VALU_DEP_4) | instskip(NEXT) | instid1(VALU_DEP_3)
	v_mul_f32_e32 v5, v5, v2
	v_dual_mul_f32 v20, v6, v18 :: v_dual_fmac_f32 v17, v12, v16
	v_dual_mul_f32 v4, v12, v4 :: v_dual_lshlrev_b32 v15, 16, v3
	v_and_b32_e32 v3, 0xffff0000, v3
	v_fma_f32 v2, v9, v2, -v19
	s_delay_alu instid0(VALU_DEP_3) | instskip(SKIP_4) | instid1(VALU_DEP_4)
	v_mul_f32_e32 v6, v6, v15
	v_dual_fmac_f32 v5, v9, v13 :: v_dual_and_b32 v14, 0xffff0000, v14
	v_fma_f32 v12, -v7, v16, v4
	v_fma_f32 v4, v10, v15, -v20
	v_mov_b32_e32 v7, v17
	v_mul_f32_e32 v21, v8, v14
	v_dual_mul_f32 v8, v8, v3 :: v_dual_mov_b32 v9, v2
	s_delay_alu instid0(VALU_DEP_2) | instskip(SKIP_1) | instid1(VALU_DEP_3)
	v_fma_f32 v3, v11, v3, -v21
	v_fmac_f32_e32 v6, v10, v18
	v_fmac_f32_e32 v8, v11, v14
	s_delay_alu instid0(VALU_DEP_3)
	v_dual_mov_b32 v10, v4 :: v_dual_mov_b32 v11, v3
.LBB52_3:
	s_or_b32 exec_lo, exec_lo, s0
	v_cvt_f16_f32_e32 v2, v12
	v_cvt_f16_f32_e32 v3, v9
	s_delay_alu instid0(VALU_DEP_3)
	v_cvt_f16_f32_e32 v4, v10
	v_cvt_f16_f32_e32 v9, v11
	;; [unrolled: 1-line block ×6, first 2 shown]
	s_delay_alu instid0(VALU_DEP_4) | instskip(NEXT) | instid1(VALU_DEP_4)
	v_pack_b32_f16 v5, v9, v8
	v_pack_b32_f16 v4, v4, v6
	s_delay_alu instid0(VALU_DEP_4) | instskip(NEXT) | instid1(VALU_DEP_4)
	v_pack_b32_f16 v3, v3, v10
	v_pack_b32_f16 v2, v2, v7
	global_store_b128 v[0:1], v[2:5], off
.LBB52_4:
	s_nop 0
	s_sendmsg sendmsg(MSG_DEALLOC_VGPRS)
	s_endpgm
	.section	.rodata,"a",@progbits
	.p2align	6, 0x0
	.amdhsa_kernel _ZN12tensorrt_llm7kernels21fusedQKNormRopeKernelIN3c104HalfENS2_8BFloat16ELi256ELb1EEEvPviiifPKvS7_S7_PKlii
		.amdhsa_group_segment_fixed_size 0
		.amdhsa_private_segment_fixed_size 0
		.amdhsa_kernarg_size 320
		.amdhsa_user_sgpr_count 15
		.amdhsa_user_sgpr_dispatch_ptr 0
		.amdhsa_user_sgpr_queue_ptr 0
		.amdhsa_user_sgpr_kernarg_segment_ptr 1
		.amdhsa_user_sgpr_dispatch_id 0
		.amdhsa_user_sgpr_private_segment_size 0
		.amdhsa_wavefront_size32 1
		.amdhsa_uses_dynamic_stack 0
		.amdhsa_enable_private_segment 0
		.amdhsa_system_sgpr_workgroup_id_x 1
		.amdhsa_system_sgpr_workgroup_id_y 0
		.amdhsa_system_sgpr_workgroup_id_z 0
		.amdhsa_system_sgpr_workgroup_info 0
		.amdhsa_system_vgpr_workitem_id 0
		.amdhsa_next_free_vgpr 23
		.amdhsa_next_free_sgpr 16
		.amdhsa_reserve_vcc 1
		.amdhsa_float_round_mode_32 0
		.amdhsa_float_round_mode_16_64 0
		.amdhsa_float_denorm_mode_32 3
		.amdhsa_float_denorm_mode_16_64 3
		.amdhsa_dx10_clamp 1
		.amdhsa_ieee_mode 1
		.amdhsa_fp16_overflow 0
		.amdhsa_workgroup_processor_mode 1
		.amdhsa_memory_ordered 1
		.amdhsa_forward_progress 0
		.amdhsa_shared_vgpr_count 0
		.amdhsa_exception_fp_ieee_invalid_op 0
		.amdhsa_exception_fp_denorm_src 0
		.amdhsa_exception_fp_ieee_div_zero 0
		.amdhsa_exception_fp_ieee_overflow 0
		.amdhsa_exception_fp_ieee_underflow 0
		.amdhsa_exception_fp_ieee_inexact 0
		.amdhsa_exception_int_div_zero 0
	.end_amdhsa_kernel
	.section	.text._ZN12tensorrt_llm7kernels21fusedQKNormRopeKernelIN3c104HalfENS2_8BFloat16ELi256ELb1EEEvPviiifPKvS7_S7_PKlii,"axG",@progbits,_ZN12tensorrt_llm7kernels21fusedQKNormRopeKernelIN3c104HalfENS2_8BFloat16ELi256ELb1EEEvPviiifPKvS7_S7_PKlii,comdat
.Lfunc_end52:
	.size	_ZN12tensorrt_llm7kernels21fusedQKNormRopeKernelIN3c104HalfENS2_8BFloat16ELi256ELb1EEEvPviiifPKvS7_S7_PKlii, .Lfunc_end52-_ZN12tensorrt_llm7kernels21fusedQKNormRopeKernelIN3c104HalfENS2_8BFloat16ELi256ELb1EEEvPviiifPKvS7_S7_PKlii
                                        ; -- End function
	.section	.AMDGPU.csdata,"",@progbits
; Kernel info:
; codeLenInByte = 1436
; NumSgprs: 18
; NumVgprs: 23
; ScratchSize: 0
; MemoryBound: 0
; FloatMode: 240
; IeeeMode: 1
; LDSByteSize: 0 bytes/workgroup (compile time only)
; SGPRBlocks: 2
; VGPRBlocks: 2
; NumSGPRsForWavesPerEU: 18
; NumVGPRsForWavesPerEU: 23
; Occupancy: 16
; WaveLimiterHint : 1
; COMPUTE_PGM_RSRC2:SCRATCH_EN: 0
; COMPUTE_PGM_RSRC2:USER_SGPR: 15
; COMPUTE_PGM_RSRC2:TRAP_HANDLER: 0
; COMPUTE_PGM_RSRC2:TGID_X_EN: 1
; COMPUTE_PGM_RSRC2:TGID_Y_EN: 0
; COMPUTE_PGM_RSRC2:TGID_Z_EN: 0
; COMPUTE_PGM_RSRC2:TIDIG_COMP_CNT: 0
	.section	.text._ZN12tensorrt_llm7kernels21fusedQKNormRopeKernelIN3c104HalfENS2_8BFloat16ELi256ELb0EEEvPviiifPKvS7_S7_PKlii,"axG",@progbits,_ZN12tensorrt_llm7kernels21fusedQKNormRopeKernelIN3c104HalfENS2_8BFloat16ELi256ELb0EEEvPviiifPKvS7_S7_PKlii,comdat
	.protected	_ZN12tensorrt_llm7kernels21fusedQKNormRopeKernelIN3c104HalfENS2_8BFloat16ELi256ELb0EEEvPviiifPKvS7_S7_PKlii ; -- Begin function _ZN12tensorrt_llm7kernels21fusedQKNormRopeKernelIN3c104HalfENS2_8BFloat16ELi256ELb0EEEvPviiifPKvS7_S7_PKlii
	.globl	_ZN12tensorrt_llm7kernels21fusedQKNormRopeKernelIN3c104HalfENS2_8BFloat16ELi256ELb0EEEvPviiifPKvS7_S7_PKlii
	.p2align	8
	.type	_ZN12tensorrt_llm7kernels21fusedQKNormRopeKernelIN3c104HalfENS2_8BFloat16ELi256ELb0EEEvPviiifPKvS7_S7_PKlii,@function
_ZN12tensorrt_llm7kernels21fusedQKNormRopeKernelIN3c104HalfENS2_8BFloat16ELi256ELb0EEEvPviiifPKvS7_S7_PKlii: ; @_ZN12tensorrt_llm7kernels21fusedQKNormRopeKernelIN3c104HalfENS2_8BFloat16ELi256ELb0EEEvPviiifPKvS7_S7_PKlii
; %bb.0:
	s_clause 0x2
	s_load_b128 s[8:11], s[0:1], 0x8
	s_load_b64 s[12:13], s[0:1], 0x38
	s_load_b32 s4, s[0:1], 0x4c
	v_lshrrev_b32_e32 v3, 5, v0
	s_waitcnt lgkmcnt(0)
	s_add_i32 s2, s9, s8
	s_bfe_u32 s4, s4, 0xb0005
	s_abs_i32 s3, s2
	s_delay_alu instid0(SALU_CYCLE_1) | instskip(SKIP_1) | instid1(VALU_DEP_1)
	v_cvt_f32_u32_e32 v1, s3
	s_sub_i32 s5, 0, s3
	v_rcp_iflag_f32_e32 v1, v1
	s_waitcnt_depctr 0xfff
	v_mul_f32_e32 v1, 0x4f7ffffe, v1
	s_delay_alu instid0(VALU_DEP_1) | instskip(NEXT) | instid1(VALU_DEP_1)
	v_cvt_u32_f32_e32 v4, v1
	v_mul_lo_u32 v5, s5, v4
	v_mad_u64_u32 v[1:2], null, s15, s4, v[3:4]
	s_delay_alu instid0(VALU_DEP_2) | instskip(NEXT) | instid1(VALU_DEP_2)
	v_mul_hi_u32 v2, v4, v5
	v_sub_nc_u32_e32 v3, 0, v1
	s_delay_alu instid0(VALU_DEP_1) | instskip(NEXT) | instid1(VALU_DEP_3)
	v_max_i32_e32 v3, v1, v3
	v_add_nc_u32_e32 v2, v4, v2
	s_delay_alu instid0(VALU_DEP_1) | instskip(NEXT) | instid1(VALU_DEP_1)
	v_mul_hi_u32 v2, v3, v2
	v_mul_lo_u32 v4, v2, s3
	s_delay_alu instid0(VALU_DEP_1) | instskip(NEXT) | instid1(VALU_DEP_1)
	v_sub_nc_u32_e32 v3, v3, v4
	v_subrev_nc_u32_e32 v5, s3, v3
	v_cmp_le_u32_e32 vcc_lo, s3, v3
	s_delay_alu instid0(VALU_DEP_2) | instskip(NEXT) | instid1(VALU_DEP_1)
	v_dual_cndmask_b32 v3, v3, v5 :: v_dual_add_nc_u32 v4, 1, v2
	v_cndmask_b32_e32 v2, v2, v4, vcc_lo
	v_xor_b32_e32 v4, s2, v1
	s_delay_alu instid0(VALU_DEP_3) | instskip(NEXT) | instid1(VALU_DEP_3)
	v_cmp_le_u32_e32 vcc_lo, s3, v3
	v_add_nc_u32_e32 v5, 1, v2
	s_delay_alu instid0(VALU_DEP_3) | instskip(SKIP_1) | instid1(VALU_DEP_2)
	v_ashrrev_i32_e32 v4, 31, v4
	s_mov_b32 s3, exec_lo
	v_cndmask_b32_e32 v2, v2, v5, vcc_lo
	s_delay_alu instid0(VALU_DEP_1) | instskip(NEXT) | instid1(VALU_DEP_1)
	v_xor_b32_e32 v2, v2, v4
	v_sub_nc_u32_e32 v2, v2, v4
	s_delay_alu instid0(VALU_DEP_1)
	v_cmpx_gt_i32_e64 s12, v2
	s_cbranch_execz .LBB53_4
; %bb.1:
	v_mul_lo_u32 v3, v2, s2
	s_add_i32 s2, s2, s10
	v_and_b32_e32 v4, 31, v0
	v_mul_lo_u32 v5, v2, s2
	s_load_b64 s[2:3], s[0:1], 0x0
	s_delay_alu instid0(VALU_DEP_3) | instskip(NEXT) | instid1(VALU_DEP_1)
	v_sub_nc_u32_e32 v1, v1, v3
	v_cmp_gt_i32_e32 vcc_lo, s8, v1
	v_cndmask_b32_e64 v3, s8, 0, vcc_lo
	s_delay_alu instid0(VALU_DEP_1) | instskip(SKIP_1) | instid1(VALU_DEP_2)
	v_sub_nc_u32_e32 v0, v1, v3
	v_lshlrev_b32_e32 v1, 3, v4
	v_add3_u32 v0, v5, v3, v0
	s_delay_alu instid0(VALU_DEP_1) | instskip(NEXT) | instid1(VALU_DEP_1)
	v_lshl_or_b32 v0, v0, 8, v1
	v_ashrrev_i32_e32 v1, 31, v0
	s_delay_alu instid0(VALU_DEP_1) | instskip(SKIP_1) | instid1(VALU_DEP_1)
	v_lshlrev_b64 v[0:1], 1, v[0:1]
	s_waitcnt lgkmcnt(0)
	v_add_co_u32 v0, s2, s2, v0
	s_delay_alu instid0(VALU_DEP_1)
	v_add_co_ci_u32_e64 v1, s2, s3, v1, s2
	s_load_b256 s[0:7], s[0:1], 0x18
	global_load_b128 v[6:9], v[0:1], off
	s_waitcnt lgkmcnt(0)
	v_mov_b32_e32 v3, s0
	v_dual_mov_b32 v5, s1 :: v_dual_lshlrev_b32 v14, 4, v4
	s_ashr_i32 s1, s13, 31
	s_delay_alu instid0(VALU_DEP_2) | instskip(NEXT) | instid1(VALU_DEP_2)
	v_cndmask_b32_e32 v3, s2, v3, vcc_lo
	v_cndmask_b32_e32 v5, s3, v5, vcc_lo
	s_lshr_b32 s0, s1, 29
	s_delay_alu instid0(SALU_CYCLE_1) | instskip(NEXT) | instid1(VALU_DEP_2)
	s_add_i32 s0, s13, s0
	v_add_co_u32 v10, vcc_lo, v3, v14
	s_delay_alu instid0(VALU_DEP_2)
	v_add_co_ci_u32_e32 v11, vcc_lo, 0, v5, vcc_lo
	s_ashr_i32 s0, s0, 3
	global_load_b128 v[10:13], v[10:11], off
	s_waitcnt vmcnt(1)
	v_lshrrev_b32_e32 v3, 16, v6
	v_cvt_f32_f16_e32 v22, v8
	v_cvt_f32_f16_e32 v20, v7
	v_lshrrev_b32_e32 v23, 16, v9
	s_delay_alu instid0(VALU_DEP_4) | instskip(NEXT) | instid1(VALU_DEP_1)
	v_cvt_f32_f16_e32 v3, v3
	v_mul_f32_e32 v5, v3, v3
	s_delay_alu instid0(VALU_DEP_1) | instskip(SKIP_1) | instid1(VALU_DEP_2)
	v_fma_mix_f32 v5, v6, v6, v5 op_sel_hi:[1,1,0]
	v_cvt_f32_f16_e32 v6, v6
	v_fma_mix_f32 v5, v7, v7, v5 op_sel_hi:[1,1,0]
	s_delay_alu instid0(VALU_DEP_1) | instskip(SKIP_2) | instid1(VALU_DEP_3)
	v_fma_mix_f32 v15, v7, v7, v5 op_sel:[1,1,0] op_sel_hi:[1,1,0]
	v_mbcnt_lo_u32_b32 v5, -1, 0
	v_lshrrev_b32_e32 v7, 16, v7
	v_fma_mix_f32 v15, v8, v8, v15 op_sel_hi:[1,1,0]
	s_delay_alu instid0(VALU_DEP_3) | instskip(SKIP_1) | instid1(VALU_DEP_4)
	v_xor_b32_e32 v16, 16, v5
	v_xor_b32_e32 v17, 8, v5
	v_cvt_f32_f16_e32 v7, v7
	s_waitcnt vmcnt(0)
	v_lshrrev_b32_e32 v18, 16, v12
	v_fma_mix_f32 v15, v8, v8, v15 op_sel:[1,1,0] op_sel_hi:[1,1,0]
	v_cmp_gt_i32_e32 vcc_lo, 32, v16
	v_cvt_f32_f16_e32 v12, v12
	v_lshrrev_b32_e32 v8, 16, v8
	v_cvt_f32_f16_e32 v18, v18
	v_fma_mix_f32 v15, v9, v9, v15 op_sel_hi:[1,1,0]
	v_cndmask_b32_e32 v16, v5, v16, vcc_lo
	v_cmp_gt_i32_e32 vcc_lo, 32, v17
	v_cvt_f32_f16_e32 v8, v8
	v_lshrrev_b32_e32 v19, 16, v13
	v_fma_mix_f32 v15, v9, v9, v15 op_sel:[1,1,0] op_sel_hi:[1,1,0]
	v_cvt_f32_f16_e32 v13, v13
	v_cndmask_b32_e32 v17, v5, v17, vcc_lo
	v_cvt_f32_f16_e32 v9, v9
	v_cvt_f32_f16_e32 v19, v19
	s_delay_alu instid0(VALU_DEP_3)
	v_lshlrev_b32_e32 v17, 2, v17
	v_lshlrev_b32_e32 v16, 2, v16
	ds_bpermute_b32 v16, v16, v15
	s_waitcnt lgkmcnt(0)
	v_add_f32_e32 v15, v15, v16
	ds_bpermute_b32 v16, v17, v15
	v_xor_b32_e32 v17, 4, v5
	s_delay_alu instid0(VALU_DEP_1) | instskip(SKIP_1) | instid1(VALU_DEP_1)
	v_cmp_gt_i32_e32 vcc_lo, 32, v17
	v_cndmask_b32_e32 v17, v5, v17, vcc_lo
	v_lshlrev_b32_e32 v17, 2, v17
	s_waitcnt lgkmcnt(0)
	v_add_f32_e32 v15, v15, v16
	ds_bpermute_b32 v16, v17, v15
	v_xor_b32_e32 v17, 2, v5
	s_delay_alu instid0(VALU_DEP_1) | instskip(SKIP_1) | instid1(VALU_DEP_1)
	v_cmp_gt_i32_e32 vcc_lo, 32, v17
	v_cndmask_b32_e32 v17, v5, v17, vcc_lo
	v_lshlrev_b32_e32 v17, 2, v17
	;; [unrolled: 8-line block ×3, first 2 shown]
	s_waitcnt lgkmcnt(0)
	v_add_f32_e32 v15, v15, v16
	ds_bpermute_b32 v16, v17, v15
	v_mov_b32_e32 v17, s11
	s_waitcnt lgkmcnt(0)
	v_add_f32_e32 v15, v15, v16
	s_delay_alu instid0(VALU_DEP_1) | instskip(SKIP_2) | instid1(VALU_DEP_3)
	v_fmamk_f32 v15, v15, 0x3b800000, v17
	v_lshrrev_b32_e32 v17, 16, v10
	v_cvt_f32_f16_e32 v10, v10
	v_mul_f32_e32 v16, 0x4b800000, v15
	v_cmp_gt_f32_e32 vcc_lo, 0x800000, v15
	s_delay_alu instid0(VALU_DEP_4) | instskip(NEXT) | instid1(VALU_DEP_3)
	v_cvt_f32_f16_e32 v17, v17
	v_cndmask_b32_e32 v15, v15, v16, vcc_lo
	v_lshrrev_b32_e32 v16, 16, v11
	v_cvt_f32_f16_e32 v11, v11
	s_delay_alu instid0(VALU_DEP_3) | instskip(NEXT) | instid1(VALU_DEP_2)
	v_rsq_f32_e32 v15, v15
	v_cvt_f32_f16_e32 v16, v16
	s_waitcnt_depctr 0xfff
	v_mul_f32_e32 v21, 0x45800000, v15
	s_delay_alu instid0(VALU_DEP_1) | instskip(SKIP_2) | instid1(VALU_DEP_3)
	v_cndmask_b32_e32 v15, v15, v21, vcc_lo
	v_cvt_f32_f16_e32 v21, v23
	v_cmp_gt_i32_e32 vcc_lo, s0, v4
	v_mul_f32_e32 v10, v15, v10
	v_mul_f32_e32 v17, v15, v17
	;; [unrolled: 1-line block ×7, first 2 shown]
	v_dual_mul_f32 v15, v15, v19 :: v_dual_mul_f32 v10, v10, v6
	v_mul_f32_e32 v6, v17, v3
	s_delay_alu instid0(VALU_DEP_4)
	v_mul_f32_e32 v8, v18, v8
	v_mul_f32_e32 v11, v11, v20
	;; [unrolled: 1-line block ×3, first 2 shown]
	v_dual_mul_f32 v12, v12, v22 :: v_dual_mul_f32 v13, v13, v9
	v_mul_f32_e32 v9, v15, v21
	s_and_saveexec_b32 s0, vcc_lo
	s_cbranch_execz .LBB53_3
; %bb.2:
	v_ashrrev_i32_e32 v3, 31, v2
	s_abs_i32 s2, s13
	v_or_b32_e32 v17, 2, v14
	v_cvt_f32_u32_e32 v15, s2
	s_sub_i32 s3, 0, s2
	v_lshlrev_b64 v[2:3], 3, v[2:3]
	v_or_b32_e32 v18, 4, v14
	v_or_b32_e32 v19, 6, v14
	v_rcp_iflag_f32_e32 v15, v15
	v_or_b32_e32 v20, 8, v14
	v_or_b32_e32 v21, 10, v14
	v_add_co_u32 v2, vcc_lo, s6, v2
	v_add_co_ci_u32_e32 v3, vcc_lo, s7, v3, vcc_lo
	v_or_b32_e32 v22, 12, v14
	s_waitcnt_depctr 0xfff
	v_mul_f32_e32 v15, 0x4f7ffffe, v15
	global_load_b64 v[2:3], v[2:3], off
	; wave barrier
	v_cvt_u32_f32_e32 v15, v15
	s_delay_alu instid0(VALU_DEP_1) | instskip(SKIP_1) | instid1(SALU_CYCLE_1)
	v_mul_lo_u32 v16, s3, v15
	s_lshr_b32 s3, s13, 31
	s_add_i32 s3, s13, s3
	s_delay_alu instid0(SALU_CYCLE_1) | instskip(NEXT) | instid1(SALU_CYCLE_1)
	s_ashr_i32 s6, s3, 1
	s_ashr_i32 s7, s6, 31
	s_delay_alu instid0(VALU_DEP_1) | instskip(SKIP_1) | instid1(VALU_DEP_1)
	v_mul_hi_u32 v16, v15, v16
	s_lshl_b64 s[6:7], s[6:7], 1
	v_add_nc_u32_e32 v15, v15, v16
	v_or_b32_e32 v16, 14, v14
	s_delay_alu instid0(VALU_DEP_2)
	v_mul_hi_u32 v23, v14, v15
	v_mul_hi_u32 v24, v17, v15
	;; [unrolled: 1-line block ×8, first 2 shown]
	v_mul_lo_u32 v23, v23, s2
	v_mul_lo_u32 v24, v24, s2
	;; [unrolled: 1-line block ×8, first 2 shown]
	v_sub_nc_u32_e32 v14, v14, v23
	v_sub_nc_u32_e32 v17, v17, v24
	;; [unrolled: 1-line block ×5, first 2 shown]
	v_cmp_le_u32_e32 vcc_lo, s2, v14
	v_subrev_nc_u32_e32 v23, s2, v17
	v_sub_nc_u32_e32 v15, v16, v15
	v_subrev_nc_u32_e32 v16, s2, v14
	v_subrev_nc_u32_e32 v24, s2, v18
	v_subrev_nc_u32_e32 v25, s2, v19
	v_sub_nc_u32_e32 v21, v21, v28
	v_subrev_nc_u32_e32 v26, s2, v20
	v_cndmask_b32_e32 v14, v14, v16, vcc_lo
	v_cmp_le_u32_e32 vcc_lo, s2, v17
	v_sub_nc_u32_e32 v22, v22, v29
	v_subrev_nc_u32_e32 v27, s2, v21
	v_subrev_nc_u32_e32 v29, s2, v15
	v_cndmask_b32_e32 v16, v17, v23, vcc_lo
	v_cmp_le_u32_e32 vcc_lo, s2, v18
	v_subrev_nc_u32_e32 v28, s2, v22
	s_delay_alu instid0(VALU_DEP_3) | instskip(SKIP_4) | instid1(VALU_DEP_4)
	v_subrev_nc_u32_e32 v23, s2, v16
	v_cndmask_b32_e32 v17, v18, v24, vcc_lo
	v_cmp_le_u32_e32 vcc_lo, s2, v19
	v_cndmask_b32_e32 v18, v19, v25, vcc_lo
	v_cmp_le_u32_e32 vcc_lo, s2, v20
	v_subrev_nc_u32_e32 v24, s2, v17
	s_delay_alu instid0(VALU_DEP_3) | instskip(SKIP_4) | instid1(VALU_DEP_4)
	v_subrev_nc_u32_e32 v25, s2, v18
	v_cndmask_b32_e32 v19, v20, v26, vcc_lo
	v_cmp_le_u32_e32 vcc_lo, s2, v21
	v_cndmask_b32_e32 v20, v21, v27, vcc_lo
	v_cmp_le_u32_e32 vcc_lo, s2, v22
	v_subrev_nc_u32_e32 v26, s2, v19
	s_delay_alu instid0(VALU_DEP_3)
	v_subrev_nc_u32_e32 v27, s2, v20
	v_cndmask_b32_e32 v21, v22, v28, vcc_lo
	v_cmp_le_u32_e32 vcc_lo, s2, v15
	v_cndmask_b32_e32 v22, v15, v29, vcc_lo
	v_subrev_nc_u32_e32 v15, s2, v14
	v_cmp_le_u32_e32 vcc_lo, s2, v14
	v_subrev_nc_u32_e32 v28, s2, v21
	s_delay_alu instid0(VALU_DEP_4) | instskip(NEXT) | instid1(VALU_DEP_4)
	v_subrev_nc_u32_e32 v29, s2, v22
	v_cndmask_b32_e32 v30, v14, v15, vcc_lo
	v_cmp_le_u32_e32 vcc_lo, s2, v16
	v_cndmask_b32_e32 v16, v16, v23, vcc_lo
	v_cmp_le_u32_e32 vcc_lo, s2, v17
	;; [unrolled: 2-line block ×5, first 2 shown]
	s_delay_alu instid0(VALU_DEP_2)
	v_and_b32_e32 v34, -2, v19
	v_cndmask_b32_e32 v20, v20, v27, vcc_lo
	v_cmp_le_u32_e32 vcc_lo, s2, v21
	v_cndmask_b32_e32 v21, v21, v28, vcc_lo
	v_cmp_le_u32_e32 vcc_lo, s2, v22
	v_and_b32_e32 v28, -2, v30
	v_and_b32_e32 v30, -2, v17
	;; [unrolled: 1-line block ×4, first 2 shown]
	v_dual_cndmask_b32 v22, v22, v29 :: v_dual_and_b32 v29, -2, v16
	v_and_b32_e32 v35, -2, v20
	s_delay_alu instid0(VALU_DEP_2)
	v_and_b32_e32 v38, -2, v22
	s_waitcnt vmcnt(0)
	v_mul_lo_u32 v3, v3, s13
	v_mul_lo_u32 v23, v2, s1
	v_mad_u64_u32 v[14:15], null, v2, s13, 0
	s_lshr_b32 s1, s1, 28
	s_delay_alu instid0(SALU_CYCLE_1) | instskip(NEXT) | instid1(SALU_CYCLE_1)
	s_add_i32 s1, s13, s1
	s_ashr_i32 s1, s1, 4
	s_delay_alu instid0(VALU_DEP_1) | instskip(NEXT) | instid1(VALU_DEP_1)
	v_add3_u32 v15, v15, v23, v3
	v_lshlrev_b64 v[2:3], 1, v[14:15]
	s_delay_alu instid0(VALU_DEP_1) | instskip(NEXT) | instid1(VALU_DEP_2)
	v_add_co_u32 v26, vcc_lo, s4, v2
	v_add_co_ci_u32_e32 v27, vcc_lo, s5, v3, vcc_lo
	s_delay_alu instid0(VALU_DEP_2) | instskip(NEXT) | instid1(VALU_DEP_2)
	v_add_co_u32 v39, vcc_lo, v26, s6
	v_add_co_ci_u32_e32 v40, vcc_lo, s7, v27, vcc_lo
	v_add_co_u32 v2, vcc_lo, v26, v28
	v_add_co_ci_u32_e32 v3, vcc_lo, 0, v27, vcc_lo
	;; [unrolled: 2-line block ×9, first 2 shown]
	s_clause 0x1
	global_load_u16 v41, v[2:3], off
	global_load_u16 v42, v[20:21], off
	v_add_co_u32 v2, vcc_lo, v39, v28
	v_add_co_ci_u32_e32 v3, vcc_lo, 0, v40, vcc_lo
	v_add_co_u32 v28, vcc_lo, v39, v29
	v_add_co_ci_u32_e32 v29, vcc_lo, 0, v40, vcc_lo
	;; [unrolled: 2-line block ×8, first 2 shown]
	s_clause 0xd
	global_load_u16 v2, v[2:3], off
	global_load_u16 v3, v[14:15], off
	;; [unrolled: 1-line block ×14, first 2 shown]
	v_xor_b32_e32 v26, s1, v5
	; wave barrier
	s_delay_alu instid0(VALU_DEP_1) | instskip(SKIP_4) | instid1(VALU_DEP_3)
	v_cmp_gt_i32_e32 vcc_lo, 32, v26
	v_cndmask_b32_e32 v5, v5, v26, vcc_lo
	v_cmp_gt_i32_e32 vcc_lo, s1, v4
	s_waitcnt vmcnt(13)
	v_lshlrev_b32_e32 v2, 16, v2
	v_lshlrev_b32_e32 v5, 2, v5
	s_waitcnt vmcnt(11)
	v_lshlrev_b32_e32 v14, 16, v14
	s_waitcnt vmcnt(9)
	v_lshlrev_b32_e32 v16, 16, v16
	ds_bpermute_b32 v26, v5, v10
	s_waitcnt vmcnt(5)
	v_lshlrev_b32_e32 v20, 16, v20
	s_waitcnt vmcnt(3)
	v_lshlrev_b32_e32 v22, 16, v22
	;; [unrolled: 2-line block ×3, first 2 shown]
	s_waitcnt lgkmcnt(0)
	v_cndmask_b32_e64 v4, v26, -v26, vcc_lo
	s_delay_alu instid0(VALU_DEP_1)
	v_mul_f32_e32 v2, v4, v2
	ds_bpermute_b32 v27, v5, v6
	ds_bpermute_b32 v28, v5, v11
	;; [unrolled: 1-line block ×7, first 2 shown]
	v_lshlrev_b32_e32 v19, 16, v19
	s_waitcnt lgkmcnt(6)
	v_cndmask_b32_e64 v26, v27, -v27, vcc_lo
	s_waitcnt lgkmcnt(5)
	v_cndmask_b32_e64 v27, v28, -v28, vcc_lo
	v_lshlrev_b32_e32 v33, 16, v42
	v_lshlrev_b32_e32 v3, 16, v3
	s_waitcnt lgkmcnt(4)
	v_cndmask_b32_e64 v28, v29, -v29, vcc_lo
	v_mul_f32_e32 v4, v26, v14
	s_waitcnt lgkmcnt(0)
	v_cndmask_b32_e64 v5, v5, -v5, vcc_lo
	s_waitcnt vmcnt(0)
	v_dual_mul_f32 v14, v27, v16 :: v_dual_lshlrev_b32 v25, 16, v25
	v_cndmask_b32_e64 v29, v30, -v30, vcc_lo
	v_cndmask_b32_e64 v30, v31, -v31, vcc_lo
	;; [unrolled: 1-line block ×3, first 2 shown]
	v_lshlrev_b32_e32 v17, 16, v17
	v_mul_f32_e32 v5, v5, v25
	v_dual_fmac_f32 v4, v6, v3 :: v_dual_lshlrev_b32 v21, 16, v21
	s_delay_alu instid0(VALU_DEP_2) | instskip(NEXT) | instid1(VALU_DEP_1)
	v_dual_fmac_f32 v5, v9, v24 :: v_dual_lshlrev_b32 v18, 16, v18
	v_dual_mov_b32 v6, v4 :: v_dual_mov_b32 v9, v5
	s_delay_alu instid0(VALU_DEP_2) | instskip(SKIP_2) | instid1(VALU_DEP_3)
	v_dual_mul_f32 v16, v28, v18 :: v_dual_lshlrev_b32 v15, 16, v15
	v_mul_f32_e32 v18, v29, v19
	v_lshlrev_b32_e32 v23, 16, v23
	v_dual_mul_f32 v19, v30, v21 :: v_dual_fmac_f32 v14, v11, v15
	s_delay_alu instid0(VALU_DEP_4) | instskip(NEXT) | instid1(VALU_DEP_3)
	v_fmac_f32_e32 v16, v7, v17
	v_dual_fmac_f32 v18, v12, v33 :: v_dual_mul_f32 v21, v31, v23
	s_delay_alu instid0(VALU_DEP_3) | instskip(NEXT) | instid1(VALU_DEP_4)
	v_dual_fmac_f32 v19, v8, v20 :: v_dual_lshlrev_b32 v32, 16, v41
	v_mov_b32_e32 v11, v14
	s_delay_alu instid0(VALU_DEP_4) | instskip(NEXT) | instid1(VALU_DEP_3)
	v_mov_b32_e32 v7, v16
	v_dual_fmac_f32 v21, v13, v22 :: v_dual_fmac_f32 v2, v10, v32
	v_mov_b32_e32 v12, v18
	s_delay_alu instid0(VALU_DEP_2) | instskip(NEXT) | instid1(VALU_DEP_3)
	v_dual_mov_b32 v8, v19 :: v_dual_mov_b32 v13, v21
	v_mov_b32_e32 v10, v2
.LBB53_3:
	s_or_b32 exec_lo, exec_lo, s0
	s_delay_alu instid0(VALU_DEP_1)
	v_cvt_f16_f32_e32 v2, v10
	v_cvt_f16_f32_e32 v3, v11
	;; [unrolled: 1-line block ×8, first 2 shown]
	s_delay_alu instid0(VALU_DEP_4) | instskip(NEXT) | instid1(VALU_DEP_4)
	v_pack_b32_f16 v5, v5, v9
	v_pack_b32_f16 v4, v4, v8
	s_delay_alu instid0(VALU_DEP_4) | instskip(NEXT) | instid1(VALU_DEP_4)
	v_pack_b32_f16 v3, v3, v7
	v_pack_b32_f16 v2, v2, v6
	global_store_b128 v[0:1], v[2:5], off
.LBB53_4:
	s_nop 0
	s_sendmsg sendmsg(MSG_DEALLOC_VGPRS)
	s_endpgm
	.section	.rodata,"a",@progbits
	.p2align	6, 0x0
	.amdhsa_kernel _ZN12tensorrt_llm7kernels21fusedQKNormRopeKernelIN3c104HalfENS2_8BFloat16ELi256ELb0EEEvPviiifPKvS7_S7_PKlii
		.amdhsa_group_segment_fixed_size 0
		.amdhsa_private_segment_fixed_size 0
		.amdhsa_kernarg_size 320
		.amdhsa_user_sgpr_count 15
		.amdhsa_user_sgpr_dispatch_ptr 0
		.amdhsa_user_sgpr_queue_ptr 0
		.amdhsa_user_sgpr_kernarg_segment_ptr 1
		.amdhsa_user_sgpr_dispatch_id 0
		.amdhsa_user_sgpr_private_segment_size 0
		.amdhsa_wavefront_size32 1
		.amdhsa_uses_dynamic_stack 0
		.amdhsa_enable_private_segment 0
		.amdhsa_system_sgpr_workgroup_id_x 1
		.amdhsa_system_sgpr_workgroup_id_y 0
		.amdhsa_system_sgpr_workgroup_id_z 0
		.amdhsa_system_sgpr_workgroup_info 0
		.amdhsa_system_vgpr_workitem_id 0
		.amdhsa_next_free_vgpr 43
		.amdhsa_next_free_sgpr 16
		.amdhsa_reserve_vcc 1
		.amdhsa_float_round_mode_32 0
		.amdhsa_float_round_mode_16_64 0
		.amdhsa_float_denorm_mode_32 3
		.amdhsa_float_denorm_mode_16_64 3
		.amdhsa_dx10_clamp 1
		.amdhsa_ieee_mode 1
		.amdhsa_fp16_overflow 0
		.amdhsa_workgroup_processor_mode 1
		.amdhsa_memory_ordered 1
		.amdhsa_forward_progress 0
		.amdhsa_shared_vgpr_count 0
		.amdhsa_exception_fp_ieee_invalid_op 0
		.amdhsa_exception_fp_denorm_src 0
		.amdhsa_exception_fp_ieee_div_zero 0
		.amdhsa_exception_fp_ieee_overflow 0
		.amdhsa_exception_fp_ieee_underflow 0
		.amdhsa_exception_fp_ieee_inexact 0
		.amdhsa_exception_int_div_zero 0
	.end_amdhsa_kernel
	.section	.text._ZN12tensorrt_llm7kernels21fusedQKNormRopeKernelIN3c104HalfENS2_8BFloat16ELi256ELb0EEEvPviiifPKvS7_S7_PKlii,"axG",@progbits,_ZN12tensorrt_llm7kernels21fusedQKNormRopeKernelIN3c104HalfENS2_8BFloat16ELi256ELb0EEEvPviiifPKvS7_S7_PKlii,comdat
.Lfunc_end53:
	.size	_ZN12tensorrt_llm7kernels21fusedQKNormRopeKernelIN3c104HalfENS2_8BFloat16ELi256ELb0EEEvPviiifPKvS7_S7_PKlii, .Lfunc_end53-_ZN12tensorrt_llm7kernels21fusedQKNormRopeKernelIN3c104HalfENS2_8BFloat16ELi256ELb0EEEvPviiifPKvS7_S7_PKlii
                                        ; -- End function
	.section	.AMDGPU.csdata,"",@progbits
; Kernel info:
; codeLenInByte = 2436
; NumSgprs: 18
; NumVgprs: 43
; ScratchSize: 0
; MemoryBound: 0
; FloatMode: 240
; IeeeMode: 1
; LDSByteSize: 0 bytes/workgroup (compile time only)
; SGPRBlocks: 2
; VGPRBlocks: 5
; NumSGPRsForWavesPerEU: 18
; NumVGPRsForWavesPerEU: 43
; Occupancy: 16
; WaveLimiterHint : 1
; COMPUTE_PGM_RSRC2:SCRATCH_EN: 0
; COMPUTE_PGM_RSRC2:USER_SGPR: 15
; COMPUTE_PGM_RSRC2:TRAP_HANDLER: 0
; COMPUTE_PGM_RSRC2:TGID_X_EN: 1
; COMPUTE_PGM_RSRC2:TGID_Y_EN: 0
; COMPUTE_PGM_RSRC2:TGID_Z_EN: 0
; COMPUTE_PGM_RSRC2:TIDIG_COMP_CNT: 0
	.section	.text._ZN12tensorrt_llm7kernels32fusedQKNormRopeKernelNTokenHeadsIN3c104HalfENS2_8BFloat16ELi64ELb1ELi2EEEvPviiifPKvS7_S7_PKlii,"axG",@progbits,_ZN12tensorrt_llm7kernels32fusedQKNormRopeKernelNTokenHeadsIN3c104HalfENS2_8BFloat16ELi64ELb1ELi2EEEvPviiifPKvS7_S7_PKlii,comdat
	.protected	_ZN12tensorrt_llm7kernels32fusedQKNormRopeKernelNTokenHeadsIN3c104HalfENS2_8BFloat16ELi64ELb1ELi2EEEvPviiifPKvS7_S7_PKlii ; -- Begin function _ZN12tensorrt_llm7kernels32fusedQKNormRopeKernelNTokenHeadsIN3c104HalfENS2_8BFloat16ELi64ELb1ELi2EEEvPviiifPKvS7_S7_PKlii
	.globl	_ZN12tensorrt_llm7kernels32fusedQKNormRopeKernelNTokenHeadsIN3c104HalfENS2_8BFloat16ELi64ELb1ELi2EEEvPviiifPKvS7_S7_PKlii
	.p2align	8
	.type	_ZN12tensorrt_llm7kernels32fusedQKNormRopeKernelNTokenHeadsIN3c104HalfENS2_8BFloat16ELi64ELb1ELi2EEEvPviiifPKvS7_S7_PKlii,@function
_ZN12tensorrt_llm7kernels32fusedQKNormRopeKernelNTokenHeadsIN3c104HalfENS2_8BFloat16ELi64ELb1ELi2EEEvPviiifPKvS7_S7_PKlii: ; @_ZN12tensorrt_llm7kernels32fusedQKNormRopeKernelNTokenHeadsIN3c104HalfENS2_8BFloat16ELi64ELb1ELi2EEEvPviiifPKvS7_S7_PKlii
; %bb.0:
	s_clause 0x1
	s_load_b128 s[16:19], s[0:1], 0x8
	s_load_b64 s[2:3], s[0:1], 0x38
	v_lshrrev_b32_e32 v2, 5, v0
	s_waitcnt lgkmcnt(0)
	s_add_i32 s4, s17, s16
	s_delay_alu instid0(SALU_CYCLE_1) | instskip(NEXT) | instid1(SALU_CYCLE_1)
	s_add_i32 s5, s4, 1
	s_lshr_b32 s6, s5, 31
	s_delay_alu instid0(SALU_CYCLE_1) | instskip(NEXT) | instid1(SALU_CYCLE_1)
	s_add_i32 s5, s5, s6
	s_ashr_i32 s14, s5, 1
	s_load_b32 s5, s[0:1], 0x4c
	s_abs_i32 s6, s14
	s_delay_alu instid0(SALU_CYCLE_1) | instskip(SKIP_1) | instid1(VALU_DEP_1)
	v_cvt_f32_u32_e32 v1, s6
	s_sub_i32 s7, 0, s6
	v_rcp_iflag_f32_e32 v1, v1
	s_waitcnt_depctr 0xfff
	v_mul_f32_e32 v1, 0x4f7ffffe, v1
	s_waitcnt lgkmcnt(0)
	s_bfe_u32 s5, s5, 0xb0005
	s_delay_alu instid0(SALU_CYCLE_1) | instskip(NEXT) | instid1(VALU_DEP_2)
	v_mad_u64_u32 v[3:4], null, s15, s5, v[2:3]
	v_cvt_u32_f32_e32 v1, v1
	s_delay_alu instid0(VALU_DEP_1) | instskip(NEXT) | instid1(VALU_DEP_1)
	v_mul_lo_u32 v5, s7, v1
	v_mul_hi_u32 v4, v1, v5
	s_delay_alu instid0(VALU_DEP_4) | instskip(NEXT) | instid1(VALU_DEP_1)
	v_sub_nc_u32_e32 v5, 0, v3
	v_max_i32_e32 v5, v3, v5
	s_delay_alu instid0(VALU_DEP_3) | instskip(NEXT) | instid1(VALU_DEP_1)
	v_add_nc_u32_e32 v1, v1, v4
	v_mul_hi_u32 v1, v5, v1
	s_delay_alu instid0(VALU_DEP_1) | instskip(NEXT) | instid1(VALU_DEP_1)
	v_mul_lo_u32 v4, v1, s6
	v_sub_nc_u32_e32 v4, v5, v4
	v_add_nc_u32_e32 v5, 1, v1
	s_delay_alu instid0(VALU_DEP_2) | instskip(SKIP_1) | instid1(VALU_DEP_2)
	v_subrev_nc_u32_e32 v6, s6, v4
	v_cmp_le_u32_e32 vcc_lo, s6, v4
	v_dual_cndmask_b32 v4, v4, v6 :: v_dual_cndmask_b32 v1, v1, v5
	v_xor_b32_e32 v5, s14, v3
	s_delay_alu instid0(VALU_DEP_2) | instskip(NEXT) | instid1(VALU_DEP_3)
	v_cmp_le_u32_e32 vcc_lo, s6, v4
	v_add_nc_u32_e32 v6, 1, v1
	s_delay_alu instid0(VALU_DEP_3) | instskip(NEXT) | instid1(VALU_DEP_2)
	v_ashrrev_i32_e32 v5, 31, v5
	v_cndmask_b32_e32 v1, v1, v6, vcc_lo
	s_delay_alu instid0(VALU_DEP_1) | instskip(NEXT) | instid1(VALU_DEP_1)
	v_xor_b32_e32 v1, v1, v5
	v_sub_nc_u32_e32 v1, v1, v5
	s_delay_alu instid0(VALU_DEP_1)
	v_cmp_gt_i32_e32 vcc_lo, s2, v1
	s_and_saveexec_b32 s2, vcc_lo
	s_cbranch_execz .LBB54_12
; %bb.1:
	v_mul_lo_u32 v4, v1, s14
	s_load_b64 s[12:13], s[0:1], 0x0
	v_and_b32_e32 v7, 31, v0
	v_lshlrev_b32_e32 v9, 8, v2
	v_lshlrev_b32_e32 v0, 7, v3
	s_lshl_b32 s20, s3, 1
	s_delay_alu instid0(VALU_DEP_3) | instskip(SKIP_2) | instid1(VALU_DEP_1)
	v_lshlrev_b32_e32 v8, 2, v7
	v_sub_nc_u32_e32 v4, v3, v4
	s_mul_i32 s15, s20, s5
	v_lshlrev_b32_e32 v5, 1, v4
	s_delay_alu instid0(VALU_DEP_1) | instskip(SKIP_1) | instid1(VALU_DEP_2)
	v_add_nc_u32_e32 v4, 2, v5
	v_sub_nc_u32_e32 v6, s4, v5
	v_cmp_lt_i32_e32 vcc_lo, s4, v4
	s_delay_alu instid0(VALU_DEP_2) | instskip(NEXT) | instid1(VALU_DEP_1)
	v_cndmask_b32_e32 v6, 2, v6, vcc_lo
	v_cmp_lt_i32_e32 vcc_lo, 0, v6
	s_and_saveexec_b32 s4, vcc_lo
	s_cbranch_execz .LBB54_4
; %bb.2:
	s_add_i32 s2, s18, s17
	s_lshl_b32 s5, s14, 1
	s_add_i32 s2, s2, s16
	s_mov_b32 s6, 0
	s_sub_i32 s2, s2, s5
	s_mov_b32 s5, 0
	v_mul_lo_u32 v3, s2, v1
	s_add_i32 s2, s15, 0
	s_delay_alu instid0(SALU_CYCLE_1) | instskip(NEXT) | instid1(VALU_DEP_2)
	v_add3_u32 v10, s2, v9, v8
	v_lshl_add_u32 v3, v3, 6, v0
	s_delay_alu instid0(VALU_DEP_1)
	v_lshl_or_b32 v3, v7, 1, v3
	.p2align	6
.LBB54_3:                               ; =>This Inner Loop Header: Depth=1
	s_delay_alu instid0(VALU_DEP_1) | instskip(SKIP_1) | instid1(VALU_DEP_1)
	v_ashrrev_i32_e32 v4, 31, v3
	s_add_i32 s6, s6, 1
	v_lshlrev_b64 v[11:12], 1, v[3:4]
	v_add_nc_u32_e32 v3, 64, v3
	s_waitcnt lgkmcnt(0)
	s_delay_alu instid0(VALU_DEP_2) | instskip(NEXT) | instid1(VALU_DEP_1)
	v_add_co_u32 v11, s2, s12, v11
	v_add_co_ci_u32_e64 v12, s2, s13, v12, s2
	v_cmp_ge_i32_e64 s2, s6, v6
	global_load_b32 v4, v[11:12], off
	s_or_b32 s5, s2, s5
	s_waitcnt vmcnt(0)
	ds_store_b32 v10, v4
	v_add_nc_u32_e32 v10, 0x80, v10
	s_and_not1_b32 exec_lo, exec_lo, s5
	s_cbranch_execnz .LBB54_3
.LBB54_4:
	s_or_b32 exec_lo, exec_lo, s4
	s_load_b256 s[4:11], s[0:1], 0x18
	v_mul_lo_u32 v2, v2, s3
	s_add_i32 s0, s20, 15
	s_mov_b32 s20, exec_lo
	s_ashr_i32 s1, s0, 31
	s_delay_alu instid0(SALU_CYCLE_1) | instskip(NEXT) | instid1(SALU_CYCLE_1)
	s_lshr_b32 s1, s1, 28
	s_add_i32 s0, s0, s1
	s_delay_alu instid0(VALU_DEP_1) | instskip(SKIP_1) | instid1(SALU_CYCLE_1)
	v_lshlrev_b32_e32 v4, 1, v2
	s_ashr_i32 s2, s0, 4
	v_cmpx_gt_i32_e64 s2, v7
	s_cbranch_execz .LBB54_7
; %bb.5:
	v_ashrrev_i32_e32 v2, 31, v1
	s_delay_alu instid0(VALU_DEP_1) | instskip(SKIP_1) | instid1(VALU_DEP_1)
	v_lshlrev_b64 v[2:3], 3, v[1:2]
	s_waitcnt lgkmcnt(0)
	v_add_co_u32 v2, s0, s10, v2
	s_delay_alu instid0(VALU_DEP_1)
	v_add_co_ci_u32_e64 v3, s0, s11, v3, s0
	s_ashr_i32 s0, s3, 31
	global_load_b64 v[2:3], v[2:3], off
	s_waitcnt vmcnt(0)
	v_mul_lo_u32 v3, v3, s3
	v_mul_lo_u32 v12, v2, s0
	v_mad_u64_u32 v[10:11], null, v2, s3, 0
	s_delay_alu instid0(VALU_DEP_1) | instskip(NEXT) | instid1(VALU_DEP_1)
	v_add3_u32 v11, v11, v12, v3
	v_lshlrev_b64 v[2:3], 1, v[10:11]
	v_dual_mov_b32 v11, v7 :: v_dual_lshlrev_b32 v10, 4, v7
	s_delay_alu instid0(VALU_DEP_1) | instskip(NEXT) | instid1(VALU_DEP_1)
	v_add_co_u32 v2, s0, v2, v10
	v_add_co_ci_u32_e64 v3, s0, 0, v3, s0
	v_add3_u32 v10, v4, v10, 0
	s_delay_alu instid0(VALU_DEP_3) | instskip(NEXT) | instid1(VALU_DEP_1)
	v_add_co_u32 v2, s0, s8, v2
	v_add_co_ci_u32_e64 v3, s0, s9, v3, s0
	s_mov_b32 s8, 0
	.p2align	6
.LBB54_6:                               ; =>This Inner Loop Header: Depth=1
	global_load_b128 v[12:15], v[2:3], off
	v_add_nc_u32_e32 v11, 32, v11
	v_add_co_u32 v2, s0, 0x200, v2
	s_delay_alu instid0(VALU_DEP_1) | instskip(NEXT) | instid1(VALU_DEP_3)
	v_add_co_ci_u32_e64 v3, s0, 0, v3, s0
	v_cmp_le_i32_e64 s1, s2, v11
	s_delay_alu instid0(VALU_DEP_1)
	s_or_b32 s8, s1, s8
	s_waitcnt vmcnt(0)
	ds_store_b128 v10, v[12:15]
	v_add_nc_u32_e32 v10, 0x200, v10
	s_and_not1_b32 exec_lo, exec_lo, s8
	s_cbranch_execnz .LBB54_6
.LBB54_7:
	s_or_b32 exec_lo, exec_lo, s20
	s_delay_alu instid0(SALU_CYCLE_1)
	s_and_b32 exec_lo, exec_lo, vcc_lo
	s_cbranch_execz .LBB54_12
; %bb.8:
	s_waitcnt lgkmcnt(0)
	s_clause 0x1
	global_load_b32 v2, v8, s[4:5]
	global_load_b32 v3, v8, s[6:7]
	v_mbcnt_lo_u32_b32 v10, -1, 0
	s_lshr_b32 s0, s3, 31
	s_add_i32 s1, s18, s17
	s_lshl_b32 s2, s14, 1
	s_add_i32 s0, s3, s0
	v_xor_b32_e32 v11, 16, v10
	s_add_i32 s1, s1, s16
	s_ashr_i32 s3, s0, 1
	s_and_b32 s4, s0, -2
	s_sub_i32 s0, s1, s2
	v_add_nc_u32_e32 v9, s15, v9
	v_xor_b32_e32 v12, 8, v10
	v_mul_lo_u32 v1, s0, v1
	v_cmp_gt_i32_e64 s0, 32, v11
	v_xor_b32_e32 v13, 4, v10
	v_add3_u32 v8, v9, v8, 0
	v_xor_b32_e32 v15, 2, v10
	v_xor_b32_e32 v16, 1, v10
	v_cndmask_b32_e64 v9, v10, v11, s0
	v_cmp_gt_i32_e64 s0, 32, v12
	v_lshlrev_b32_e32 v14, 1, v7
	v_lshl_add_u32 v0, v1, 6, v0
	v_cmp_gt_i32_e32 vcc_lo, s3, v7
	v_lshlrev_b32_e32 v9, 2, v9
	v_cndmask_b32_e64 v11, v10, v12, s0
	v_cmp_gt_i32_e64 s0, 32, v13
	v_add3_u32 v4, 0, v4, v14
	v_or_b32_e32 v0, v0, v14
	s_mov_b32 s2, 0
	s_mov_b32 s3, 0
	v_cndmask_b32_e64 v12, v10, v13, s0
	v_cmp_gt_i32_e64 s0, 32, v15
	v_add_nc_u32_e32 v7, s4, v4
	s_delay_alu instid0(VALU_DEP_2) | instskip(SKIP_1) | instid1(VALU_DEP_1)
	v_cndmask_b32_e64 v13, v10, v15, s0
	v_cmp_gt_i32_e64 s0, 32, v16
	v_cndmask_b32_e64 v15, v10, v16, s0
	v_lshlrev_b32_e32 v10, 2, v11
	v_lshlrev_b32_e32 v11, 2, v12
	;; [unrolled: 1-line block ×3, first 2 shown]
	s_delay_alu instid0(VALU_DEP_4)
	v_lshlrev_b32_e32 v13, 2, v15
	s_waitcnt vmcnt(1)
	v_lshrrev_b32_e32 v14, 16, v2
	s_waitcnt vmcnt(0)
	v_lshrrev_b32_e32 v15, 16, v3
	s_branch .LBB54_10
.LBB54_9:                               ;   in Loop: Header=BB54_10 Depth=1
	s_or_b32 exec_lo, exec_lo, s0
	v_ashrrev_i32_e32 v1, 31, v0
	s_delay_alu instid0(VALU_DEP_2)
	v_cvt_f16_f32_e32 v18, v17
	v_cvt_f16_f32_e32 v19, v16
	s_add_i32 s3, s3, 1
	v_add_nc_u32_e32 v8, 0x80, v8
	v_lshlrev_b64 v[16:17], 1, v[0:1]
	v_cmp_ge_i32_e64 s0, s3, v6
	v_pack_b32_f16 v1, v18, v19
	v_add_nc_u32_e32 v0, 64, v0
	s_delay_alu instid0(VALU_DEP_3) | instskip(NEXT) | instid1(VALU_DEP_4)
	s_or_b32 s2, s0, s2
	v_add_co_u32 v16, s1, s12, v16
	s_delay_alu instid0(VALU_DEP_1)
	v_add_co_ci_u32_e64 v17, s1, s13, v17, s1
	global_store_b32 v[16:17], v1, off
	s_and_not1_b32 exec_lo, exec_lo, s2
	s_cbranch_execz .LBB54_12
.LBB54_10:                              ; =>This Inner Loop Header: Depth=1
	ds_load_b32 v1, v8
	s_waitcnt lgkmcnt(0)
	v_cvt_f32_f16_e32 v17, v1
	s_delay_alu instid0(VALU_DEP_1) | instskip(NEXT) | instid1(VALU_DEP_1)
	v_mul_f32_e32 v16, v17, v17
	v_fma_mix_f32 v16, v1, v1, v16 op_sel:[1,1,0] op_sel_hi:[1,1,0]
	v_lshrrev_b32_e32 v1, 16, v1
	ds_bpermute_b32 v18, v9, v16
	v_cvt_f32_f16_e32 v1, v1
	s_waitcnt lgkmcnt(0)
	v_add_f32_e32 v16, v16, v18
	ds_bpermute_b32 v18, v10, v16
	s_waitcnt lgkmcnt(0)
	v_add_f32_e32 v16, v16, v18
	ds_bpermute_b32 v18, v11, v16
	;; [unrolled: 3-line block ×4, first 2 shown]
	s_waitcnt lgkmcnt(0)
	v_add_f32_e32 v16, v16, v18
	s_delay_alu instid0(VALU_DEP_1) | instskip(NEXT) | instid1(VALU_DEP_1)
	v_fma_f32 v16, 0x3c800000, v16, s19
	v_mul_f32_e32 v18, 0x4b800000, v16
	v_cmp_gt_f32_e64 s0, 0x800000, v16
	s_delay_alu instid0(VALU_DEP_1) | instskip(NEXT) | instid1(VALU_DEP_1)
	v_cndmask_b32_e64 v16, v16, v18, s0
	v_rsq_f32_e32 v16, v16
	s_waitcnt_depctr 0xfff
	v_dual_mul_f32 v19, 0x45800000, v16 :: v_dual_add_nc_u32 v18, s3, v5
	s_delay_alu instid0(VALU_DEP_1) | instskip(NEXT) | instid1(VALU_DEP_2)
	v_cmp_gt_i32_e64 s1, s16, v18
	v_cndmask_b32_e64 v16, v16, v19, s0
	s_delay_alu instid0(VALU_DEP_2) | instskip(SKIP_1) | instid1(VALU_DEP_2)
	v_cndmask_b32_e64 v18, v15, v14, s1
	v_cndmask_b32_e64 v20, v3, v2, s1
	v_cvt_f32_f16_e32 v18, v18
	s_delay_alu instid0(VALU_DEP_2) | instskip(NEXT) | instid1(VALU_DEP_2)
	v_cvt_f32_f16_e32 v19, v20
	v_mul_f32_e32 v18, v16, v18
	s_delay_alu instid0(VALU_DEP_1) | instskip(NEXT) | instid1(VALU_DEP_1)
	v_dual_mul_f32 v19, v16, v19 :: v_dual_mul_f32 v16, v18, v1
	v_mul_f32_e32 v17, v19, v17
	s_and_saveexec_b32 s0, vcc_lo
	s_cbranch_execz .LBB54_9
; %bb.11:                               ;   in Loop: Header=BB54_10 Depth=1
	ds_load_u16 v1, v7
	ds_load_u16 v18, v4
	s_waitcnt lgkmcnt(0)
	v_lshlrev_b32_e32 v18, 16, v18
	v_lshlrev_b32_e32 v1, 16, v1
	s_delay_alu instid0(VALU_DEP_1) | instskip(NEXT) | instid1(VALU_DEP_3)
	v_mul_f32_e32 v19, v16, v1
	v_mul_f32_e32 v16, v16, v18
	s_delay_alu instid0(VALU_DEP_2) | instskip(NEXT) | instid1(VALU_DEP_1)
	v_fma_f32 v18, v17, v18, -v19
	v_dual_fmac_f32 v16, v17, v1 :: v_dual_mov_b32 v17, v18
	s_branch .LBB54_9
.LBB54_12:
	s_nop 0
	s_sendmsg sendmsg(MSG_DEALLOC_VGPRS)
	s_endpgm
	.section	.rodata,"a",@progbits
	.p2align	6, 0x0
	.amdhsa_kernel _ZN12tensorrt_llm7kernels32fusedQKNormRopeKernelNTokenHeadsIN3c104HalfENS2_8BFloat16ELi64ELb1ELi2EEEvPviiifPKvS7_S7_PKlii
		.amdhsa_group_segment_fixed_size 0
		.amdhsa_private_segment_fixed_size 0
		.amdhsa_kernarg_size 320
		.amdhsa_user_sgpr_count 15
		.amdhsa_user_sgpr_dispatch_ptr 0
		.amdhsa_user_sgpr_queue_ptr 0
		.amdhsa_user_sgpr_kernarg_segment_ptr 1
		.amdhsa_user_sgpr_dispatch_id 0
		.amdhsa_user_sgpr_private_segment_size 0
		.amdhsa_wavefront_size32 1
		.amdhsa_uses_dynamic_stack 0
		.amdhsa_enable_private_segment 0
		.amdhsa_system_sgpr_workgroup_id_x 1
		.amdhsa_system_sgpr_workgroup_id_y 0
		.amdhsa_system_sgpr_workgroup_id_z 0
		.amdhsa_system_sgpr_workgroup_info 0
		.amdhsa_system_vgpr_workitem_id 0
		.amdhsa_next_free_vgpr 21
		.amdhsa_next_free_sgpr 21
		.amdhsa_reserve_vcc 1
		.amdhsa_float_round_mode_32 0
		.amdhsa_float_round_mode_16_64 0
		.amdhsa_float_denorm_mode_32 3
		.amdhsa_float_denorm_mode_16_64 3
		.amdhsa_dx10_clamp 1
		.amdhsa_ieee_mode 1
		.amdhsa_fp16_overflow 0
		.amdhsa_workgroup_processor_mode 1
		.amdhsa_memory_ordered 1
		.amdhsa_forward_progress 0
		.amdhsa_shared_vgpr_count 0
		.amdhsa_exception_fp_ieee_invalid_op 0
		.amdhsa_exception_fp_denorm_src 0
		.amdhsa_exception_fp_ieee_div_zero 0
		.amdhsa_exception_fp_ieee_overflow 0
		.amdhsa_exception_fp_ieee_underflow 0
		.amdhsa_exception_fp_ieee_inexact 0
		.amdhsa_exception_int_div_zero 0
	.end_amdhsa_kernel
	.section	.text._ZN12tensorrt_llm7kernels32fusedQKNormRopeKernelNTokenHeadsIN3c104HalfENS2_8BFloat16ELi64ELb1ELi2EEEvPviiifPKvS7_S7_PKlii,"axG",@progbits,_ZN12tensorrt_llm7kernels32fusedQKNormRopeKernelNTokenHeadsIN3c104HalfENS2_8BFloat16ELi64ELb1ELi2EEEvPviiifPKvS7_S7_PKlii,comdat
.Lfunc_end54:
	.size	_ZN12tensorrt_llm7kernels32fusedQKNormRopeKernelNTokenHeadsIN3c104HalfENS2_8BFloat16ELi64ELb1ELi2EEEvPviiifPKvS7_S7_PKlii, .Lfunc_end54-_ZN12tensorrt_llm7kernels32fusedQKNormRopeKernelNTokenHeadsIN3c104HalfENS2_8BFloat16ELi64ELb1ELi2EEEvPviiifPKvS7_S7_PKlii
                                        ; -- End function
	.section	.AMDGPU.csdata,"",@progbits
; Kernel info:
; codeLenInByte = 1564
; NumSgprs: 23
; NumVgprs: 21
; ScratchSize: 0
; MemoryBound: 0
; FloatMode: 240
; IeeeMode: 1
; LDSByteSize: 0 bytes/workgroup (compile time only)
; SGPRBlocks: 2
; VGPRBlocks: 2
; NumSGPRsForWavesPerEU: 23
; NumVGPRsForWavesPerEU: 21
; Occupancy: 16
; WaveLimiterHint : 0
; COMPUTE_PGM_RSRC2:SCRATCH_EN: 0
; COMPUTE_PGM_RSRC2:USER_SGPR: 15
; COMPUTE_PGM_RSRC2:TRAP_HANDLER: 0
; COMPUTE_PGM_RSRC2:TGID_X_EN: 1
; COMPUTE_PGM_RSRC2:TGID_Y_EN: 0
; COMPUTE_PGM_RSRC2:TGID_Z_EN: 0
; COMPUTE_PGM_RSRC2:TIDIG_COMP_CNT: 0
	.section	.text._ZN12tensorrt_llm7kernels32fusedQKNormRopeKernelNTokenHeadsIN3c104HalfENS2_8BFloat16ELi64ELb0ELi2EEEvPviiifPKvS7_S7_PKlii,"axG",@progbits,_ZN12tensorrt_llm7kernels32fusedQKNormRopeKernelNTokenHeadsIN3c104HalfENS2_8BFloat16ELi64ELb0ELi2EEEvPviiifPKvS7_S7_PKlii,comdat
	.protected	_ZN12tensorrt_llm7kernels32fusedQKNormRopeKernelNTokenHeadsIN3c104HalfENS2_8BFloat16ELi64ELb0ELi2EEEvPviiifPKvS7_S7_PKlii ; -- Begin function _ZN12tensorrt_llm7kernels32fusedQKNormRopeKernelNTokenHeadsIN3c104HalfENS2_8BFloat16ELi64ELb0ELi2EEEvPviiifPKvS7_S7_PKlii
	.globl	_ZN12tensorrt_llm7kernels32fusedQKNormRopeKernelNTokenHeadsIN3c104HalfENS2_8BFloat16ELi64ELb0ELi2EEEvPviiifPKvS7_S7_PKlii
	.p2align	8
	.type	_ZN12tensorrt_llm7kernels32fusedQKNormRopeKernelNTokenHeadsIN3c104HalfENS2_8BFloat16ELi64ELb0ELi2EEEvPviiifPKvS7_S7_PKlii,@function
_ZN12tensorrt_llm7kernels32fusedQKNormRopeKernelNTokenHeadsIN3c104HalfENS2_8BFloat16ELi64ELb0ELi2EEEvPviiifPKvS7_S7_PKlii: ; @_ZN12tensorrt_llm7kernels32fusedQKNormRopeKernelNTokenHeadsIN3c104HalfENS2_8BFloat16ELi64ELb0ELi2EEEvPviiifPKvS7_S7_PKlii
; %bb.0:
	s_clause 0x1
	s_load_b128 s[16:19], s[0:1], 0x8
	s_load_b64 s[2:3], s[0:1], 0x38
	v_lshrrev_b32_e32 v2, 5, v0
	s_waitcnt lgkmcnt(0)
	s_add_i32 s4, s17, s16
	s_delay_alu instid0(SALU_CYCLE_1) | instskip(NEXT) | instid1(SALU_CYCLE_1)
	s_add_i32 s5, s4, 1
	s_lshr_b32 s6, s5, 31
	s_delay_alu instid0(SALU_CYCLE_1) | instskip(NEXT) | instid1(SALU_CYCLE_1)
	s_add_i32 s5, s5, s6
	s_ashr_i32 s14, s5, 1
	s_load_b32 s5, s[0:1], 0x4c
	s_abs_i32 s6, s14
	s_delay_alu instid0(SALU_CYCLE_1) | instskip(SKIP_1) | instid1(VALU_DEP_1)
	v_cvt_f32_u32_e32 v1, s6
	s_sub_i32 s7, 0, s6
	v_rcp_iflag_f32_e32 v1, v1
	s_waitcnt_depctr 0xfff
	v_mul_f32_e32 v1, 0x4f7ffffe, v1
	s_waitcnt lgkmcnt(0)
	s_bfe_u32 s5, s5, 0xb0005
	s_delay_alu instid0(SALU_CYCLE_1) | instskip(NEXT) | instid1(VALU_DEP_2)
	v_mad_u64_u32 v[3:4], null, s15, s5, v[2:3]
	v_cvt_u32_f32_e32 v1, v1
	s_delay_alu instid0(VALU_DEP_1) | instskip(NEXT) | instid1(VALU_DEP_1)
	v_mul_lo_u32 v5, s7, v1
	v_mul_hi_u32 v4, v1, v5
	s_delay_alu instid0(VALU_DEP_4) | instskip(NEXT) | instid1(VALU_DEP_1)
	v_sub_nc_u32_e32 v5, 0, v3
	v_max_i32_e32 v5, v3, v5
	s_delay_alu instid0(VALU_DEP_3) | instskip(NEXT) | instid1(VALU_DEP_1)
	v_add_nc_u32_e32 v1, v1, v4
	v_mul_hi_u32 v1, v5, v1
	s_delay_alu instid0(VALU_DEP_1) | instskip(NEXT) | instid1(VALU_DEP_1)
	v_mul_lo_u32 v4, v1, s6
	v_sub_nc_u32_e32 v4, v5, v4
	v_add_nc_u32_e32 v5, 1, v1
	s_delay_alu instid0(VALU_DEP_2) | instskip(SKIP_1) | instid1(VALU_DEP_2)
	v_subrev_nc_u32_e32 v6, s6, v4
	v_cmp_le_u32_e32 vcc_lo, s6, v4
	v_dual_cndmask_b32 v4, v4, v6 :: v_dual_cndmask_b32 v1, v1, v5
	v_xor_b32_e32 v5, s14, v3
	s_delay_alu instid0(VALU_DEP_2) | instskip(NEXT) | instid1(VALU_DEP_3)
	v_cmp_le_u32_e32 vcc_lo, s6, v4
	v_add_nc_u32_e32 v6, 1, v1
	s_delay_alu instid0(VALU_DEP_3) | instskip(NEXT) | instid1(VALU_DEP_2)
	v_ashrrev_i32_e32 v5, 31, v5
	v_cndmask_b32_e32 v1, v1, v6, vcc_lo
	s_delay_alu instid0(VALU_DEP_1) | instskip(NEXT) | instid1(VALU_DEP_1)
	v_xor_b32_e32 v1, v1, v5
	v_sub_nc_u32_e32 v1, v1, v5
	s_delay_alu instid0(VALU_DEP_1)
	v_cmp_gt_i32_e32 vcc_lo, s2, v1
	s_and_saveexec_b32 s2, vcc_lo
	s_cbranch_execz .LBB55_12
; %bb.1:
	v_mul_lo_u32 v4, v1, s14
	s_load_b64 s[12:13], s[0:1], 0x0
	v_and_b32_e32 v0, 31, v0
	v_lshlrev_b32_e32 v9, 8, v2
	v_lshlrev_b32_e32 v8, 7, v3
	s_lshl_b32 s20, s3, 1
	s_delay_alu instid0(VALU_DEP_3) | instskip(SKIP_2) | instid1(VALU_DEP_1)
	v_lshlrev_b32_e32 v7, 2, v0
	v_sub_nc_u32_e32 v4, v3, v4
	s_mul_i32 s15, s20, s5
	v_lshlrev_b32_e32 v5, 1, v4
	s_delay_alu instid0(VALU_DEP_1) | instskip(SKIP_1) | instid1(VALU_DEP_2)
	v_add_nc_u32_e32 v4, 2, v5
	v_sub_nc_u32_e32 v6, s4, v5
	v_cmp_lt_i32_e32 vcc_lo, s4, v4
	s_delay_alu instid0(VALU_DEP_2) | instskip(NEXT) | instid1(VALU_DEP_1)
	v_cndmask_b32_e32 v6, 2, v6, vcc_lo
	v_cmp_lt_i32_e32 vcc_lo, 0, v6
	s_and_saveexec_b32 s4, vcc_lo
	s_cbranch_execz .LBB55_4
; %bb.2:
	s_add_i32 s2, s18, s17
	s_lshl_b32 s5, s14, 1
	s_add_i32 s2, s2, s16
	s_mov_b32 s6, 0
	s_sub_i32 s2, s2, s5
	s_mov_b32 s5, 0
	v_mul_lo_u32 v3, s2, v1
	s_add_i32 s2, s15, 0
	s_delay_alu instid0(SALU_CYCLE_1) | instskip(NEXT) | instid1(VALU_DEP_2)
	v_add3_u32 v10, s2, v9, v7
	v_lshl_add_u32 v3, v3, 6, v8
	s_delay_alu instid0(VALU_DEP_1)
	v_lshl_or_b32 v3, v0, 1, v3
	.p2align	6
.LBB55_3:                               ; =>This Inner Loop Header: Depth=1
	s_delay_alu instid0(VALU_DEP_1) | instskip(SKIP_1) | instid1(VALU_DEP_1)
	v_ashrrev_i32_e32 v4, 31, v3
	s_add_i32 s6, s6, 1
	v_lshlrev_b64 v[11:12], 1, v[3:4]
	v_add_nc_u32_e32 v3, 64, v3
	s_waitcnt lgkmcnt(0)
	s_delay_alu instid0(VALU_DEP_2) | instskip(NEXT) | instid1(VALU_DEP_1)
	v_add_co_u32 v11, s2, s12, v11
	v_add_co_ci_u32_e64 v12, s2, s13, v12, s2
	v_cmp_ge_i32_e64 s2, s6, v6
	global_load_b32 v4, v[11:12], off
	s_or_b32 s5, s2, s5
	s_waitcnt vmcnt(0)
	ds_store_b32 v10, v4
	v_add_nc_u32_e32 v10, 0x80, v10
	s_and_not1_b32 exec_lo, exec_lo, s5
	s_cbranch_execnz .LBB55_3
.LBB55_4:
	s_or_b32 exec_lo, exec_lo, s4
	s_load_b256 s[4:11], s[0:1], 0x18
	s_add_i32 s0, s20, 15
	v_mul_lo_u32 v4, v2, s3
	s_ashr_i32 s1, s0, 31
	s_mov_b32 s20, exec_lo
	s_lshr_b32 s1, s1, 28
	s_delay_alu instid0(SALU_CYCLE_1) | instskip(NEXT) | instid1(SALU_CYCLE_1)
	s_add_i32 s0, s0, s1
	s_ashr_i32 s2, s0, 4
	s_delay_alu instid0(SALU_CYCLE_1)
	v_cmpx_gt_i32_e64 s2, v0
	s_cbranch_execz .LBB55_7
; %bb.5:
	v_ashrrev_i32_e32 v2, 31, v1
	s_delay_alu instid0(VALU_DEP_1) | instskip(SKIP_1) | instid1(VALU_DEP_1)
	v_lshlrev_b64 v[2:3], 3, v[1:2]
	s_waitcnt lgkmcnt(0)
	v_add_co_u32 v2, s0, s10, v2
	s_delay_alu instid0(VALU_DEP_1)
	v_add_co_ci_u32_e64 v3, s0, s11, v3, s0
	s_ashr_i32 s0, s3, 31
	global_load_b64 v[2:3], v[2:3], off
	s_waitcnt vmcnt(0)
	v_mul_lo_u32 v3, v3, s3
	v_mul_lo_u32 v12, v2, s0
	v_mad_u64_u32 v[10:11], null, v2, s3, 0
	s_delay_alu instid0(VALU_DEP_1) | instskip(NEXT) | instid1(VALU_DEP_1)
	v_add3_u32 v11, v11, v12, v3
	v_lshlrev_b64 v[2:3], 1, v[10:11]
	v_lshlrev_b32_e32 v10, 4, v0
	v_lshlrev_b32_e32 v11, 1, v4
	s_delay_alu instid0(VALU_DEP_2) | instskip(NEXT) | instid1(VALU_DEP_1)
	v_add_co_u32 v2, s0, v2, v10
	v_add_co_ci_u32_e64 v3, s0, 0, v3, s0
	s_delay_alu instid0(VALU_DEP_3) | instskip(SKIP_1) | instid1(VALU_DEP_4)
	v_add3_u32 v10, v11, v10, 0
	v_mov_b32_e32 v11, v0
	v_add_co_u32 v2, s0, s8, v2
	s_delay_alu instid0(VALU_DEP_1)
	v_add_co_ci_u32_e64 v3, s0, s9, v3, s0
	s_mov_b32 s8, 0
	.p2align	6
.LBB55_6:                               ; =>This Inner Loop Header: Depth=1
	global_load_b128 v[12:15], v[2:3], off
	v_add_nc_u32_e32 v11, 32, v11
	v_add_co_u32 v2, s0, 0x200, v2
	s_delay_alu instid0(VALU_DEP_1) | instskip(NEXT) | instid1(VALU_DEP_3)
	v_add_co_ci_u32_e64 v3, s0, 0, v3, s0
	v_cmp_le_i32_e64 s1, s2, v11
	s_delay_alu instid0(VALU_DEP_1)
	s_or_b32 s8, s1, s8
	s_waitcnt vmcnt(0)
	ds_store_b128 v10, v[12:15]
	v_add_nc_u32_e32 v10, 0x200, v10
	s_and_not1_b32 exec_lo, exec_lo, s8
	s_cbranch_execnz .LBB55_6
.LBB55_7:
	s_or_b32 exec_lo, exec_lo, s20
	s_delay_alu instid0(SALU_CYCLE_1)
	s_and_b32 exec_lo, exec_lo, vcc_lo
	s_cbranch_execz .LBB55_12
; %bb.8:
	s_waitcnt lgkmcnt(0)
	s_clause 0x1
	global_load_b32 v2, v7, s[4:5]
	global_load_b32 v3, v7, s[6:7]
	s_abs_i32 s2, s3
	v_lshl_add_u32 v15, v4, 1, 0
	v_cvt_f32_u32_e32 v10, s2
	s_sub_i32 s0, 0, s2
	v_mbcnt_lo_u32_b32 v4, -1, 0
	v_or_b32_e32 v12, 2, v7
	s_add_i32 s1, s18, s17
	v_rcp_iflag_f32_e32 v10, v10
	s_lshl_b32 s4, s14, 1
	s_add_i32 s1, s1, s16
	v_xor_b32_e32 v13, 4, v4
	s_sub_i32 s1, s1, s4
	v_xor_b32_e32 v16, 2, v4
	v_mul_lo_u32 v1, s1, v1
	v_xor_b32_e32 v17, 1, v4
	s_mov_b32 s4, 0
	s_waitcnt_depctr 0xfff
	v_dual_mul_f32 v10, 0x4f7ffffe, v10 :: v_dual_add_nc_u32 v19, s15, v9
	v_lshl_add_u32 v1, v1, 6, v8
	s_delay_alu instid0(VALU_DEP_2) | instskip(NEXT) | instid1(VALU_DEP_1)
	v_cvt_u32_f32_e32 v10, v10
	v_mul_lo_u32 v11, s0, v10
	s_lshr_b32 s0, s3, 31
	s_delay_alu instid0(SALU_CYCLE_1) | instskip(NEXT) | instid1(SALU_CYCLE_1)
	s_add_i32 s0, s3, s0
	s_ashr_i32 s3, s0, 1
	s_and_b32 s0, s0, -2
	v_cmp_gt_i32_e32 vcc_lo, s3, v0
	s_delay_alu instid0(VALU_DEP_2)
	v_mul_hi_u32 v11, v10, v11
	v_add_nc_u32_e32 v18, s0, v15
	s_lshr_b32 s0, s3, 1
	s_mov_b32 s3, 0
	v_xor_b32_e32 v20, s0, v4
	v_cmp_gt_u32_e64 s0, s0, v0
	v_lshl_or_b32 v0, v0, 1, v1
	v_add_nc_u32_e32 v9, v10, v11
	v_xor_b32_e32 v10, 16, v4
	v_xor_b32_e32 v11, 8, v4
	s_delay_alu instid0(VALU_DEP_3) | instskip(SKIP_1) | instid1(VALU_DEP_4)
	v_mul_hi_u32 v14, v7, v9
	v_mul_hi_u32 v9, v12, v9
	v_cmp_gt_i32_e64 s1, 32, v10
	s_delay_alu instid0(VALU_DEP_1) | instskip(SKIP_1) | instid1(VALU_DEP_4)
	v_cndmask_b32_e64 v10, v4, v10, s1
	v_cmp_gt_i32_e64 s1, 32, v11
	v_mul_lo_u32 v9, v9, s2
	v_mul_lo_u32 v14, v14, s2
	s_delay_alu instid0(VALU_DEP_3) | instskip(SKIP_1) | instid1(VALU_DEP_4)
	v_cndmask_b32_e64 v11, v4, v11, s1
	v_cmp_gt_i32_e64 s1, 32, v13
	v_sub_nc_u32_e32 v9, v12, v9
	s_delay_alu instid0(VALU_DEP_4) | instskip(NEXT) | instid1(VALU_DEP_3)
	v_sub_nc_u32_e32 v14, v7, v14
	v_cndmask_b32_e64 v12, v4, v13, s1
	v_cmp_gt_i32_e64 s1, 32, v16
	v_lshlrev_b32_e32 v8, 2, v11
	v_subrev_nc_u32_e32 v21, s2, v9
	v_add3_u32 v7, v19, v7, 0
	s_delay_alu instid0(VALU_DEP_4) | instskip(SKIP_2) | instid1(VALU_DEP_2)
	v_cndmask_b32_e64 v13, v4, v16, s1
	v_cmp_gt_i32_e64 s1, 32, v17
	v_subrev_nc_u32_e32 v16, s2, v14
	v_cndmask_b32_e64 v17, v4, v17, s1
	v_cmp_le_u32_e64 s1, s2, v14
	s_delay_alu instid0(VALU_DEP_1) | instskip(SKIP_1) | instid1(VALU_DEP_1)
	v_cndmask_b32_e64 v14, v14, v16, s1
	v_cmp_le_u32_e64 s1, s2, v9
	v_cndmask_b32_e64 v9, v9, v21, s1
	v_cmp_gt_i32_e64 s1, 32, v20
	s_delay_alu instid0(VALU_DEP_1) | instskip(SKIP_4) | instid1(VALU_DEP_3)
	v_cndmask_b32_e64 v16, v4, v20, s1
	v_subrev_nc_u32_e32 v20, s2, v14
	v_cmp_le_u32_e64 s1, s2, v14
	v_lshlrev_b32_e32 v4, 2, v10
	v_subrev_nc_u32_e32 v10, s2, v9
	v_cndmask_b32_e64 v11, v14, v20, s1
	v_cmp_le_u32_e64 s1, s2, v9
	s_delay_alu instid0(VALU_DEP_2) | instskip(NEXT) | instid1(VALU_DEP_2)
	v_and_b32_e32 v20, -2, v11
	v_cndmask_b32_e64 v14, v9, v10, s1
	v_lshlrev_b32_e32 v11, 2, v17
	v_lshlrev_b32_e32 v9, 2, v12
	;; [unrolled: 1-line block ×4, first 2 shown]
	v_and_b32_e32 v17, -2, v14
	v_add_nc_u32_e32 v13, v15, v20
	v_add_nc_u32_e32 v14, v18, v20
	s_delay_alu instid0(VALU_DEP_3)
	v_add_nc_u32_e32 v15, v15, v17
	v_add_nc_u32_e32 v16, v18, v17
	s_waitcnt vmcnt(1)
	v_lshrrev_b32_e32 v17, 16, v2
	s_waitcnt vmcnt(0)
	v_lshrrev_b32_e32 v18, 16, v3
	s_branch .LBB55_10
.LBB55_9:                               ;   in Loop: Header=BB55_10 Depth=1
	s_or_b32 exec_lo, exec_lo, s1
	v_ashrrev_i32_e32 v1, 31, v0
	v_cvt_f16_f32_e32 v21, v20
	v_cvt_f16_f32_e32 v22, v19
	s_add_i32 s4, s4, 1
	v_add_nc_u32_e32 v7, 0x80, v7
	v_lshlrev_b64 v[19:20], 1, v[0:1]
	v_cmp_ge_i32_e64 s1, s4, v6
	v_pack_b32_f16 v1, v21, v22
	v_add_nc_u32_e32 v0, 64, v0
	s_delay_alu instid0(VALU_DEP_3) | instskip(NEXT) | instid1(VALU_DEP_4)
	s_or_b32 s3, s1, s3
	v_add_co_u32 v19, s2, s12, v19
	s_delay_alu instid0(VALU_DEP_1)
	v_add_co_ci_u32_e64 v20, s2, s13, v20, s2
	global_store_b32 v[19:20], v1, off
	s_and_not1_b32 exec_lo, exec_lo, s3
	s_cbranch_execz .LBB55_12
.LBB55_10:                              ; =>This Inner Loop Header: Depth=1
	ds_load_b32 v1, v7
	s_waitcnt lgkmcnt(0)
	v_cvt_f32_f16_e32 v19, v1
	s_delay_alu instid0(VALU_DEP_1) | instskip(NEXT) | instid1(VALU_DEP_1)
	v_mul_f32_e32 v20, v19, v19
	v_fma_mix_f32 v20, v1, v1, v20 op_sel:[1,1,0] op_sel_hi:[1,1,0]
	v_lshrrev_b32_e32 v1, 16, v1
	ds_bpermute_b32 v21, v4, v20
	v_cvt_f32_f16_e32 v1, v1
	s_waitcnt lgkmcnt(0)
	v_add_f32_e32 v20, v20, v21
	ds_bpermute_b32 v21, v8, v20
	s_waitcnt lgkmcnt(0)
	v_add_f32_e32 v20, v20, v21
	ds_bpermute_b32 v21, v9, v20
	;; [unrolled: 3-line block ×4, first 2 shown]
	s_waitcnt lgkmcnt(0)
	v_add_f32_e32 v20, v20, v21
	s_delay_alu instid0(VALU_DEP_1) | instskip(NEXT) | instid1(VALU_DEP_1)
	v_fma_f32 v20, 0x3c800000, v20, s19
	v_mul_f32_e32 v21, 0x4b800000, v20
	v_cmp_gt_f32_e64 s1, 0x800000, v20
	s_delay_alu instid0(VALU_DEP_1) | instskip(SKIP_1) | instid1(VALU_DEP_2)
	v_cndmask_b32_e64 v20, v20, v21, s1
	v_add_nc_u32_e32 v21, s4, v5
	v_rsq_f32_e32 v20, v20
	s_delay_alu instid0(VALU_DEP_1) | instskip(NEXT) | instid1(VALU_DEP_1)
	v_cmp_gt_i32_e64 s2, s16, v21
	v_cndmask_b32_e64 v21, v3, v2, s2
	v_cndmask_b32_e64 v23, v18, v17, s2
	s_delay_alu instid0(VALU_DEP_2) | instskip(SKIP_2) | instid1(VALU_DEP_1)
	v_cvt_f32_f16_e32 v21, v21
	s_waitcnt_depctr 0xfff
	v_mul_f32_e32 v22, 0x45800000, v20
	v_cndmask_b32_e64 v20, v20, v22, s1
	v_cvt_f32_f16_e32 v22, v23
	s_delay_alu instid0(VALU_DEP_2) | instskip(NEXT) | instid1(VALU_DEP_2)
	v_mul_f32_e32 v21, v20, v21
	v_mul_f32_e32 v22, v20, v22
	s_delay_alu instid0(VALU_DEP_1)
	v_dual_mul_f32 v20, v21, v19 :: v_dual_mul_f32 v19, v22, v1
	s_and_saveexec_b32 s1, vcc_lo
	s_cbranch_execz .LBB55_9
; %bb.11:                               ;   in Loop: Header=BB55_10 Depth=1
	; wave barrier
	ds_bpermute_b32 v1, v12, v20
	ds_load_u16 v21, v14
	ds_bpermute_b32 v22, v12, v19
	ds_load_u16 v23, v16
	ds_load_u16 v24, v13
	ds_load_u16 v25, v15
	; wave barrier
	s_waitcnt lgkmcnt(5)
	v_cndmask_b32_e64 v1, v1, -v1, s0
	s_waitcnt lgkmcnt(4)
	v_lshlrev_b32_e32 v21, 16, v21
	s_waitcnt lgkmcnt(3)
	v_cndmask_b32_e64 v22, v22, -v22, s0
	s_waitcnt lgkmcnt(2)
	v_lshlrev_b32_e32 v23, 16, v23
	s_waitcnt lgkmcnt(1)
	v_lshlrev_b32_e32 v24, 16, v24
	;; [unrolled: 2-line block ×3, first 2 shown]
	v_mul_f32_e32 v1, v1, v21
	v_mul_f32_e32 v21, v22, v23
	s_delay_alu instid0(VALU_DEP_2) | instskip(NEXT) | instid1(VALU_DEP_1)
	v_fmac_f32_e32 v1, v20, v24
	v_dual_fmac_f32 v21, v19, v25 :: v_dual_mov_b32 v20, v1
	s_delay_alu instid0(VALU_DEP_1)
	v_mov_b32_e32 v19, v21
	s_branch .LBB55_9
.LBB55_12:
	s_nop 0
	s_sendmsg sendmsg(MSG_DEALLOC_VGPRS)
	s_endpgm
	.section	.rodata,"a",@progbits
	.p2align	6, 0x0
	.amdhsa_kernel _ZN12tensorrt_llm7kernels32fusedQKNormRopeKernelNTokenHeadsIN3c104HalfENS2_8BFloat16ELi64ELb0ELi2EEEvPviiifPKvS7_S7_PKlii
		.amdhsa_group_segment_fixed_size 0
		.amdhsa_private_segment_fixed_size 0
		.amdhsa_kernarg_size 320
		.amdhsa_user_sgpr_count 15
		.amdhsa_user_sgpr_dispatch_ptr 0
		.amdhsa_user_sgpr_queue_ptr 0
		.amdhsa_user_sgpr_kernarg_segment_ptr 1
		.amdhsa_user_sgpr_dispatch_id 0
		.amdhsa_user_sgpr_private_segment_size 0
		.amdhsa_wavefront_size32 1
		.amdhsa_uses_dynamic_stack 0
		.amdhsa_enable_private_segment 0
		.amdhsa_system_sgpr_workgroup_id_x 1
		.amdhsa_system_sgpr_workgroup_id_y 0
		.amdhsa_system_sgpr_workgroup_id_z 0
		.amdhsa_system_sgpr_workgroup_info 0
		.amdhsa_system_vgpr_workitem_id 0
		.amdhsa_next_free_vgpr 26
		.amdhsa_next_free_sgpr 21
		.amdhsa_reserve_vcc 1
		.amdhsa_float_round_mode_32 0
		.amdhsa_float_round_mode_16_64 0
		.amdhsa_float_denorm_mode_32 3
		.amdhsa_float_denorm_mode_16_64 3
		.amdhsa_dx10_clamp 1
		.amdhsa_ieee_mode 1
		.amdhsa_fp16_overflow 0
		.amdhsa_workgroup_processor_mode 1
		.amdhsa_memory_ordered 1
		.amdhsa_forward_progress 0
		.amdhsa_shared_vgpr_count 0
		.amdhsa_exception_fp_ieee_invalid_op 0
		.amdhsa_exception_fp_denorm_src 0
		.amdhsa_exception_fp_ieee_div_zero 0
		.amdhsa_exception_fp_ieee_overflow 0
		.amdhsa_exception_fp_ieee_underflow 0
		.amdhsa_exception_fp_ieee_inexact 0
		.amdhsa_exception_int_div_zero 0
	.end_amdhsa_kernel
	.section	.text._ZN12tensorrt_llm7kernels32fusedQKNormRopeKernelNTokenHeadsIN3c104HalfENS2_8BFloat16ELi64ELb0ELi2EEEvPviiifPKvS7_S7_PKlii,"axG",@progbits,_ZN12tensorrt_llm7kernels32fusedQKNormRopeKernelNTokenHeadsIN3c104HalfENS2_8BFloat16ELi64ELb0ELi2EEEvPviiifPKvS7_S7_PKlii,comdat
.Lfunc_end55:
	.size	_ZN12tensorrt_llm7kernels32fusedQKNormRopeKernelNTokenHeadsIN3c104HalfENS2_8BFloat16ELi64ELb0ELi2EEEvPviiifPKvS7_S7_PKlii, .Lfunc_end55-_ZN12tensorrt_llm7kernels32fusedQKNormRopeKernelNTokenHeadsIN3c104HalfENS2_8BFloat16ELi64ELb0ELi2EEEvPviiifPKvS7_S7_PKlii
                                        ; -- End function
	.section	.AMDGPU.csdata,"",@progbits
; Kernel info:
; codeLenInByte = 1916
; NumSgprs: 23
; NumVgprs: 26
; ScratchSize: 0
; MemoryBound: 0
; FloatMode: 240
; IeeeMode: 1
; LDSByteSize: 0 bytes/workgroup (compile time only)
; SGPRBlocks: 2
; VGPRBlocks: 3
; NumSGPRsForWavesPerEU: 23
; NumVGPRsForWavesPerEU: 26
; Occupancy: 16
; WaveLimiterHint : 0
; COMPUTE_PGM_RSRC2:SCRATCH_EN: 0
; COMPUTE_PGM_RSRC2:USER_SGPR: 15
; COMPUTE_PGM_RSRC2:TRAP_HANDLER: 0
; COMPUTE_PGM_RSRC2:TGID_X_EN: 1
; COMPUTE_PGM_RSRC2:TGID_Y_EN: 0
; COMPUTE_PGM_RSRC2:TGID_Z_EN: 0
; COMPUTE_PGM_RSRC2:TIDIG_COMP_CNT: 0
	.section	.text._ZN12tensorrt_llm7kernels32fusedQKNormRopeKernelNTokenHeadsIN3c104HalfENS2_8BFloat16ELi128ELb1ELi2EEEvPviiifPKvS7_S7_PKlii,"axG",@progbits,_ZN12tensorrt_llm7kernels32fusedQKNormRopeKernelNTokenHeadsIN3c104HalfENS2_8BFloat16ELi128ELb1ELi2EEEvPviiifPKvS7_S7_PKlii,comdat
	.protected	_ZN12tensorrt_llm7kernels32fusedQKNormRopeKernelNTokenHeadsIN3c104HalfENS2_8BFloat16ELi128ELb1ELi2EEEvPviiifPKvS7_S7_PKlii ; -- Begin function _ZN12tensorrt_llm7kernels32fusedQKNormRopeKernelNTokenHeadsIN3c104HalfENS2_8BFloat16ELi128ELb1ELi2EEEvPviiifPKvS7_S7_PKlii
	.globl	_ZN12tensorrt_llm7kernels32fusedQKNormRopeKernelNTokenHeadsIN3c104HalfENS2_8BFloat16ELi128ELb1ELi2EEEvPviiifPKvS7_S7_PKlii
	.p2align	8
	.type	_ZN12tensorrt_llm7kernels32fusedQKNormRopeKernelNTokenHeadsIN3c104HalfENS2_8BFloat16ELi128ELb1ELi2EEEvPviiifPKvS7_S7_PKlii,@function
_ZN12tensorrt_llm7kernels32fusedQKNormRopeKernelNTokenHeadsIN3c104HalfENS2_8BFloat16ELi128ELb1ELi2EEEvPviiifPKvS7_S7_PKlii: ; @_ZN12tensorrt_llm7kernels32fusedQKNormRopeKernelNTokenHeadsIN3c104HalfENS2_8BFloat16ELi128ELb1ELi2EEEvPviiifPKvS7_S7_PKlii
; %bb.0:
	s_clause 0x1
	s_load_b128 s[16:19], s[0:1], 0x8
	s_load_b64 s[2:3], s[0:1], 0x38
	s_waitcnt lgkmcnt(0)
	s_add_i32 s4, s17, s16
	s_delay_alu instid0(SALU_CYCLE_1) | instskip(NEXT) | instid1(SALU_CYCLE_1)
	s_add_i32 s5, s4, 1
	s_lshr_b32 s6, s5, 31
	s_delay_alu instid0(SALU_CYCLE_1) | instskip(NEXT) | instid1(SALU_CYCLE_1)
	s_add_i32 s5, s5, s6
	s_ashr_i32 s14, s5, 1
	s_load_b32 s5, s[0:1], 0x4c
	s_abs_i32 s6, s14
	s_delay_alu instid0(SALU_CYCLE_1) | instskip(SKIP_1) | instid1(VALU_DEP_1)
	v_cvt_f32_u32_e32 v1, s6
	s_sub_i32 s7, 0, s6
	v_rcp_iflag_f32_e32 v1, v1
	s_waitcnt_depctr 0xfff
	v_mul_f32_e32 v1, 0x4f7ffffe, v1
	s_waitcnt lgkmcnt(0)
	s_bfe_u32 s5, s5, 0xb0005
	s_delay_alu instid0(VALU_DEP_1) | instskip(SKIP_1) | instid1(VALU_DEP_2)
	v_cvt_u32_f32_e32 v4, v1
	v_lshrrev_b32_e32 v1, 5, v0
	v_mul_lo_u32 v5, s7, v4
	s_delay_alu instid0(VALU_DEP_2) | instskip(NEXT) | instid1(VALU_DEP_2)
	v_mad_u64_u32 v[2:3], null, s15, s5, v[1:2]
	v_mul_hi_u32 v3, v4, v5
	s_delay_alu instid0(VALU_DEP_2) | instskip(NEXT) | instid1(VALU_DEP_1)
	v_sub_nc_u32_e32 v5, 0, v2
	v_max_i32_e32 v5, v2, v5
	s_delay_alu instid0(VALU_DEP_3) | instskip(NEXT) | instid1(VALU_DEP_1)
	v_add_nc_u32_e32 v3, v4, v3
	v_mul_hi_u32 v3, v5, v3
	s_delay_alu instid0(VALU_DEP_1) | instskip(NEXT) | instid1(VALU_DEP_1)
	v_mul_lo_u32 v4, v3, s6
	v_sub_nc_u32_e32 v4, v5, v4
	v_add_nc_u32_e32 v5, 1, v3
	s_delay_alu instid0(VALU_DEP_2) | instskip(SKIP_1) | instid1(VALU_DEP_2)
	v_subrev_nc_u32_e32 v6, s6, v4
	v_cmp_le_u32_e32 vcc_lo, s6, v4
	v_dual_cndmask_b32 v4, v4, v6 :: v_dual_cndmask_b32 v3, v3, v5
	v_xor_b32_e32 v5, s14, v2
	s_delay_alu instid0(VALU_DEP_2) | instskip(NEXT) | instid1(VALU_DEP_3)
	v_cmp_le_u32_e32 vcc_lo, s6, v4
	v_add_nc_u32_e32 v6, 1, v3
	s_delay_alu instid0(VALU_DEP_3) | instskip(NEXT) | instid1(VALU_DEP_2)
	v_ashrrev_i32_e32 v5, 31, v5
	v_cndmask_b32_e32 v3, v3, v6, vcc_lo
	s_delay_alu instid0(VALU_DEP_1) | instskip(NEXT) | instid1(VALU_DEP_1)
	v_xor_b32_e32 v3, v3, v5
	v_sub_nc_u32_e32 v4, v3, v5
	s_delay_alu instid0(VALU_DEP_1)
	v_cmp_gt_i32_e32 vcc_lo, s2, v4
	s_and_saveexec_b32 s2, vcc_lo
	s_cbranch_execz .LBB56_12
; %bb.1:
	v_mul_lo_u32 v3, v4, s14
	s_load_b64 s[12:13], s[0:1], 0x0
	v_and_b32_e32 v9, 31, v0
	v_lshlrev_b32_e32 v11, 9, v1
	v_lshlrev_b32_e32 v8, 8, v2
	s_lshl_b32 s20, s3, 1
	s_delay_alu instid0(VALU_DEP_3) | instskip(SKIP_2) | instid1(VALU_DEP_1)
	v_lshlrev_b32_e32 v10, 3, v9
	v_sub_nc_u32_e32 v3, v2, v3
	s_mul_i32 s15, s20, s5
	v_lshlrev_b32_e32 v6, 1, v3
	s_delay_alu instid0(VALU_DEP_1) | instskip(SKIP_1) | instid1(VALU_DEP_2)
	v_add_nc_u32_e32 v3, 2, v6
	v_sub_nc_u32_e32 v5, s4, v6
	v_cmp_lt_i32_e32 vcc_lo, s4, v3
	s_delay_alu instid0(VALU_DEP_2) | instskip(NEXT) | instid1(VALU_DEP_1)
	v_cndmask_b32_e32 v7, 2, v5, vcc_lo
	v_cmp_lt_i32_e32 vcc_lo, 0, v7
	s_and_saveexec_b32 s4, vcc_lo
	s_cbranch_execz .LBB56_4
; %bb.2:
	s_add_i32 s2, s18, s17
	s_lshl_b32 s5, s14, 1
	s_add_i32 s2, s2, s16
	s_mov_b32 s6, 0
	s_sub_i32 s2, s2, s5
	s_mov_b32 s5, 0
	v_mul_lo_u32 v0, s2, v4
	s_add_i32 s2, s15, 0
	s_delay_alu instid0(VALU_DEP_1) | instskip(SKIP_1) | instid1(VALU_DEP_2)
	v_lshl_add_u32 v2, v0, 7, v8
	v_add3_u32 v0, s2, v11, v10
	v_lshl_or_b32 v2, v9, 2, v2
	.p2align	6
.LBB56_3:                               ; =>This Inner Loop Header: Depth=1
	s_delay_alu instid0(VALU_DEP_1) | instskip(SKIP_1) | instid1(VALU_DEP_1)
	v_ashrrev_i32_e32 v3, 31, v2
	s_add_i32 s6, s6, 1
	v_lshlrev_b64 v[12:13], 1, v[2:3]
	v_add_nc_u32_e32 v2, 0x80, v2
	s_waitcnt lgkmcnt(0)
	s_delay_alu instid0(VALU_DEP_2) | instskip(NEXT) | instid1(VALU_DEP_1)
	v_add_co_u32 v12, s2, s12, v12
	v_add_co_ci_u32_e64 v13, s2, s13, v13, s2
	v_cmp_ge_i32_e64 s2, s6, v7
	global_load_b64 v[12:13], v[12:13], off
	s_or_b32 s5, s2, s5
	s_waitcnt vmcnt(0)
	ds_store_b64 v0, v[12:13]
	v_add_nc_u32_e32 v0, 0x100, v0
	s_and_not1_b32 exec_lo, exec_lo, s5
	s_cbranch_execnz .LBB56_3
.LBB56_4:
	s_or_b32 exec_lo, exec_lo, s4
	s_load_b256 s[4:11], s[0:1], 0x18
	v_mul_lo_u32 v0, v1, s3
	s_add_i32 s0, s20, 15
	s_mov_b32 s20, exec_lo
	s_ashr_i32 s1, s0, 31
	s_delay_alu instid0(SALU_CYCLE_1) | instskip(NEXT) | instid1(SALU_CYCLE_1)
	s_lshr_b32 s1, s1, 28
	s_add_i32 s0, s0, s1
	s_delay_alu instid0(VALU_DEP_1) | instskip(SKIP_1) | instid1(SALU_CYCLE_1)
	v_lshlrev_b32_e32 v12, 1, v0
	s_ashr_i32 s2, s0, 4
	v_cmpx_gt_i32_e64 s2, v9
	s_cbranch_execz .LBB56_7
; %bb.5:
	v_ashrrev_i32_e32 v5, 31, v4
	s_delay_alu instid0(VALU_DEP_1) | instskip(SKIP_1) | instid1(VALU_DEP_1)
	v_lshlrev_b64 v[0:1], 3, v[4:5]
	s_waitcnt lgkmcnt(0)
	v_add_co_u32 v0, s0, s10, v0
	s_delay_alu instid0(VALU_DEP_1)
	v_add_co_ci_u32_e64 v1, s0, s11, v1, s0
	s_ashr_i32 s0, s3, 31
	global_load_b64 v[0:1], v[0:1], off
	s_waitcnt vmcnt(0)
	v_mul_lo_u32 v3, v1, s3
	v_mul_lo_u32 v5, v0, s0
	v_mad_u64_u32 v[1:2], null, v0, s3, 0
	s_delay_alu instid0(VALU_DEP_1) | instskip(SKIP_1) | instid1(VALU_DEP_2)
	v_add3_u32 v2, v2, v5, v3
	v_mov_b32_e32 v3, v9
	v_lshlrev_b64 v[0:1], 1, v[1:2]
	v_lshlrev_b32_e32 v2, 4, v9
	s_delay_alu instid0(VALU_DEP_1) | instskip(NEXT) | instid1(VALU_DEP_1)
	v_add_co_u32 v0, s0, v0, v2
	v_add_co_ci_u32_e64 v1, s0, 0, v1, s0
	v_add3_u32 v2, v12, v2, 0
	s_delay_alu instid0(VALU_DEP_3) | instskip(NEXT) | instid1(VALU_DEP_1)
	v_add_co_u32 v0, s0, s8, v0
	v_add_co_ci_u32_e64 v1, s0, s9, v1, s0
	s_mov_b32 s8, 0
	.p2align	6
.LBB56_6:                               ; =>This Inner Loop Header: Depth=1
	global_load_b128 v[13:16], v[0:1], off
	v_add_nc_u32_e32 v3, 32, v3
	v_add_co_u32 v0, s0, 0x200, v0
	s_delay_alu instid0(VALU_DEP_1) | instskip(NEXT) | instid1(VALU_DEP_3)
	v_add_co_ci_u32_e64 v1, s0, 0, v1, s0
	v_cmp_le_i32_e64 s1, s2, v3
	s_delay_alu instid0(VALU_DEP_1)
	s_or_b32 s8, s1, s8
	s_waitcnt vmcnt(0)
	ds_store_b128 v2, v[13:16]
	v_add_nc_u32_e32 v2, 0x200, v2
	s_and_not1_b32 exec_lo, exec_lo, s8
	s_cbranch_execnz .LBB56_6
.LBB56_7:
	s_or_b32 exec_lo, exec_lo, s20
	s_delay_alu instid0(SALU_CYCLE_1)
	s_and_b32 exec_lo, exec_lo, vcc_lo
	s_cbranch_execz .LBB56_12
; %bb.8:
	s_waitcnt lgkmcnt(0)
	s_clause 0x1
	global_load_b64 v[0:1], v10, s[4:5]
	global_load_b64 v[2:3], v10, s[6:7]
	v_mbcnt_lo_u32_b32 v13, -1, 0
	s_lshr_b32 s0, s3, 31
	s_ashr_i32 s1, s3, 31
	s_add_i32 s0, s3, s0
	s_lshr_b32 s1, s1, 30
	v_xor_b32_e32 v15, 16, v13
	s_and_b32 s5, s0, -2
	s_add_i32 s0, s3, s1
	v_lshlrev_b32_e32 v5, 2, v9
	s_ashr_i32 s0, s0, 2
	v_xor_b32_e32 v16, 8, v13
	v_cmp_gt_i32_e32 vcc_lo, s0, v9
	v_cmp_gt_i32_e64 s0, 32, v15
	v_add_nc_u32_e32 v14, s15, v11
	v_xor_b32_e32 v17, 4, v13
	v_add3_u32 v11, 0, v12, v5
	v_xor_b32_e32 v18, 2, v13
	v_cndmask_b32_e64 v12, v13, v15, s0
	v_cmp_gt_i32_e64 s0, 32, v16
	v_add3_u32 v10, v14, v10, 0
	s_add_i32 s2, s18, s17
	s_lshl_b32 s4, s14, 1
	s_add_i32 s2, s2, s16
	v_cndmask_b32_e64 v14, v13, v16, s0
	v_cmp_gt_i32_e64 s0, 32, v17
	s_sub_i32 s1, s2, s4
	v_xor_b32_e32 v19, 1, v13
	v_mul_lo_u32 v4, s1, v4
	v_add_nc_u32_e32 v9, s5, v11
	v_cndmask_b32_e64 v15, v13, v17, s0
	v_cmp_gt_i32_e64 s0, 32, v18
	s_mov_b32 s2, 0
	s_mov_b32 s3, 0
	s_delay_alu instid0(VALU_DEP_1)
	v_cndmask_b32_e64 v16, v13, v18, s0
	v_cmp_gt_i32_e64 s0, 32, v19
	v_lshl_add_u32 v4, v4, 7, v8
	v_lshlrev_b32_e32 v8, 2, v12
	v_lshlrev_b32_e32 v12, 2, v14
	;; [unrolled: 1-line block ×3, first 2 shown]
	v_cndmask_b32_e64 v17, v13, v19, s0
	v_lshlrev_b32_e32 v13, 2, v15
	v_or_b32_e32 v4, v4, v5
	s_delay_alu instid0(VALU_DEP_3)
	v_lshlrev_b32_e32 v15, 2, v17
	s_waitcnt vmcnt(1)
	v_lshrrev_b32_e32 v16, 16, v0
	s_waitcnt vmcnt(0)
	v_lshrrev_b32_e32 v17, 16, v2
	v_lshrrev_b32_e32 v18, 16, v1
	;; [unrolled: 1-line block ×3, first 2 shown]
	s_branch .LBB56_10
.LBB56_9:                               ;   in Loop: Header=BB56_10 Depth=1
	s_or_b32 exec_lo, exec_lo, s0
	v_ashrrev_i32_e32 v5, 31, v4
	s_delay_alu instid0(VALU_DEP_2)
	v_cvt_f16_f32_e32 v24, v23
	v_cvt_f16_f32_e32 v25, v22
	;; [unrolled: 1-line block ×3, first 2 shown]
	s_add_i32 s3, s3, 1
	v_lshlrev_b64 v[22:23], 1, v[4:5]
	v_cvt_f16_f32_e32 v5, v21
	v_pack_b32_f16 v21, v24, v25
	v_add_nc_u32_e32 v4, 0x80, v4
	v_add_nc_u32_e32 v10, 0x100, v10
	s_delay_alu instid0(VALU_DEP_4) | instskip(SKIP_1) | instid1(VALU_DEP_1)
	v_pack_b32_f16 v20, v5, v20
	v_add_co_u32 v22, s0, s12, v22
	v_add_co_ci_u32_e64 v23, s0, s13, v23, s0
	v_cmp_ge_i32_e64 s0, s3, v7
	global_store_b64 v[22:23], v[20:21], off
	s_or_b32 s2, s0, s2
	s_delay_alu instid0(SALU_CYCLE_1)
	s_and_not1_b32 exec_lo, exec_lo, s2
	s_cbranch_execz .LBB56_12
.LBB56_10:                              ; =>This Inner Loop Header: Depth=1
	ds_load_b64 v[20:21], v10
	s_waitcnt lgkmcnt(0)
	v_lshrrev_b32_e32 v5, 16, v20
	v_lshrrev_b32_e32 v28, 16, v21
	s_delay_alu instid0(VALU_DEP_2) | instskip(NEXT) | instid1(VALU_DEP_2)
	v_cvt_f32_f16_e32 v5, v5
	v_cvt_f32_f16_e32 v28, v28
	s_delay_alu instid0(VALU_DEP_2) | instskip(NEXT) | instid1(VALU_DEP_1)
	v_mul_f32_e32 v22, v5, v5
	v_fma_mix_f32 v22, v20, v20, v22 op_sel_hi:[1,1,0]
	s_delay_alu instid0(VALU_DEP_1) | instskip(NEXT) | instid1(VALU_DEP_1)
	v_fma_mix_f32 v22, v21, v21, v22 op_sel_hi:[1,1,0]
	v_fma_mix_f32 v22, v21, v21, v22 op_sel:[1,1,0] op_sel_hi:[1,1,0]
	ds_bpermute_b32 v23, v8, v22
	s_waitcnt lgkmcnt(0)
	v_add_f32_e32 v22, v22, v23
	ds_bpermute_b32 v23, v12, v22
	s_waitcnt lgkmcnt(0)
	v_add_f32_e32 v22, v22, v23
	;; [unrolled: 3-line block ×5, first 2 shown]
	s_delay_alu instid0(VALU_DEP_1) | instskip(NEXT) | instid1(VALU_DEP_1)
	v_fma_f32 v22, 0x3c000000, v22, s19
	v_mul_f32_e32 v23, 0x4b800000, v22
	v_cmp_gt_f32_e64 s0, 0x800000, v22
	s_delay_alu instid0(VALU_DEP_1) | instskip(SKIP_1) | instid1(VALU_DEP_2)
	v_cndmask_b32_e64 v22, v22, v23, s0
	v_add_nc_u32_e32 v23, s3, v6
	v_rsq_f32_e32 v22, v22
	s_delay_alu instid0(VALU_DEP_1) | instskip(NEXT) | instid1(VALU_DEP_1)
	v_cmp_gt_i32_e64 s1, s16, v23
	v_cndmask_b32_e64 v24, v2, v0, s1
	v_cndmask_b32_e64 v23, v17, v16, s1
	;; [unrolled: 1-line block ×4, first 2 shown]
	s_delay_alu instid0(VALU_DEP_4) | instskip(NEXT) | instid1(TRANS32_DEP_1)
	v_cvt_f32_f16_e32 v24, v24
	v_mul_f32_e32 v26, 0x45800000, v22
	v_cvt_f32_f16_e32 v23, v23
	v_cvt_f32_f16_e32 v25, v25
	s_delay_alu instid0(VALU_DEP_3) | instskip(SKIP_3) | instid1(VALU_DEP_4)
	v_cndmask_b32_e64 v22, v22, v26, s0
	v_cvt_f32_f16_e32 v26, v27
	v_cvt_f32_f16_e32 v27, v21
	;; [unrolled: 1-line block ×3, first 2 shown]
	v_mul_f32_e32 v20, v22, v23
	v_mul_f32_e32 v23, v22, v24
	;; [unrolled: 1-line block ×3, first 2 shown]
	s_delay_alu instid0(VALU_DEP_3) | instskip(NEXT) | instid1(VALU_DEP_2)
	v_dual_mul_f32 v25, v22, v26 :: v_dual_mul_f32 v20, v20, v5
	v_dual_mul_f32 v21, v23, v21 :: v_dual_mul_f32 v22, v24, v28
	s_delay_alu instid0(VALU_DEP_2)
	v_mul_f32_e32 v23, v25, v27
	s_and_saveexec_b32 s0, vcc_lo
	s_cbranch_execz .LBB56_9
; %bb.11:                               ;   in Loop: Header=BB56_10 Depth=1
	ds_load_u16 v5, v9
	ds_load_u16 v24, v9 offset:2
	ds_load_u16 v25, v11
	ds_load_u16 v26, v11 offset:2
	s_waitcnt lgkmcnt(2)
	v_lshlrev_b32_e32 v24, 16, v24
	v_lshlrev_b32_e32 v5, 16, v5
	s_waitcnt lgkmcnt(0)
	v_lshlrev_b32_e32 v26, 16, v26
	s_delay_alu instid0(VALU_DEP_3) | instskip(NEXT) | instid1(VALU_DEP_2)
	v_dual_mul_f32 v28, v22, v24 :: v_dual_lshlrev_b32 v25, 16, v25
	v_dual_mul_f32 v27, v20, v5 :: v_dual_mul_f32 v22, v22, v26
	s_delay_alu instid0(VALU_DEP_2) | instskip(NEXT) | instid1(VALU_DEP_2)
	v_mul_f32_e32 v20, v20, v25
	v_fma_f32 v25, v21, v25, -v27
	s_delay_alu instid0(VALU_DEP_3) | instskip(NEXT) | instid1(VALU_DEP_3)
	v_fmac_f32_e32 v22, v23, v24
	v_fmac_f32_e32 v20, v21, v5
	s_delay_alu instid0(VALU_DEP_3) | instskip(SKIP_1) | instid1(VALU_DEP_1)
	v_mov_b32_e32 v21, v25
	v_fma_f32 v26, v23, v26, -v28
	v_mov_b32_e32 v23, v26
	s_branch .LBB56_9
.LBB56_12:
	s_nop 0
	s_sendmsg sendmsg(MSG_DEALLOC_VGPRS)
	s_endpgm
	.section	.rodata,"a",@progbits
	.p2align	6, 0x0
	.amdhsa_kernel _ZN12tensorrt_llm7kernels32fusedQKNormRopeKernelNTokenHeadsIN3c104HalfENS2_8BFloat16ELi128ELb1ELi2EEEvPviiifPKvS7_S7_PKlii
		.amdhsa_group_segment_fixed_size 0
		.amdhsa_private_segment_fixed_size 0
		.amdhsa_kernarg_size 320
		.amdhsa_user_sgpr_count 15
		.amdhsa_user_sgpr_dispatch_ptr 0
		.amdhsa_user_sgpr_queue_ptr 0
		.amdhsa_user_sgpr_kernarg_segment_ptr 1
		.amdhsa_user_sgpr_dispatch_id 0
		.amdhsa_user_sgpr_private_segment_size 0
		.amdhsa_wavefront_size32 1
		.amdhsa_uses_dynamic_stack 0
		.amdhsa_enable_private_segment 0
		.amdhsa_system_sgpr_workgroup_id_x 1
		.amdhsa_system_sgpr_workgroup_id_y 0
		.amdhsa_system_sgpr_workgroup_id_z 0
		.amdhsa_system_sgpr_workgroup_info 0
		.amdhsa_system_vgpr_workitem_id 0
		.amdhsa_next_free_vgpr 29
		.amdhsa_next_free_sgpr 21
		.amdhsa_reserve_vcc 1
		.amdhsa_float_round_mode_32 0
		.amdhsa_float_round_mode_16_64 0
		.amdhsa_float_denorm_mode_32 3
		.amdhsa_float_denorm_mode_16_64 3
		.amdhsa_dx10_clamp 1
		.amdhsa_ieee_mode 1
		.amdhsa_fp16_overflow 0
		.amdhsa_workgroup_processor_mode 1
		.amdhsa_memory_ordered 1
		.amdhsa_forward_progress 0
		.amdhsa_shared_vgpr_count 0
		.amdhsa_exception_fp_ieee_invalid_op 0
		.amdhsa_exception_fp_denorm_src 0
		.amdhsa_exception_fp_ieee_div_zero 0
		.amdhsa_exception_fp_ieee_overflow 0
		.amdhsa_exception_fp_ieee_underflow 0
		.amdhsa_exception_fp_ieee_inexact 0
		.amdhsa_exception_int_div_zero 0
	.end_amdhsa_kernel
	.section	.text._ZN12tensorrt_llm7kernels32fusedQKNormRopeKernelNTokenHeadsIN3c104HalfENS2_8BFloat16ELi128ELb1ELi2EEEvPviiifPKvS7_S7_PKlii,"axG",@progbits,_ZN12tensorrt_llm7kernels32fusedQKNormRopeKernelNTokenHeadsIN3c104HalfENS2_8BFloat16ELi128ELb1ELi2EEEvPviiifPKvS7_S7_PKlii,comdat
.Lfunc_end56:
	.size	_ZN12tensorrt_llm7kernels32fusedQKNormRopeKernelNTokenHeadsIN3c104HalfENS2_8BFloat16ELi128ELb1ELi2EEEvPviiifPKvS7_S7_PKlii, .Lfunc_end56-_ZN12tensorrt_llm7kernels32fusedQKNormRopeKernelNTokenHeadsIN3c104HalfENS2_8BFloat16ELi128ELb1ELi2EEEvPviiifPKvS7_S7_PKlii
                                        ; -- End function
	.section	.AMDGPU.csdata,"",@progbits
; Kernel info:
; codeLenInByte = 1740
; NumSgprs: 23
; NumVgprs: 29
; ScratchSize: 0
; MemoryBound: 0
; FloatMode: 240
; IeeeMode: 1
; LDSByteSize: 0 bytes/workgroup (compile time only)
; SGPRBlocks: 2
; VGPRBlocks: 3
; NumSGPRsForWavesPerEU: 23
; NumVGPRsForWavesPerEU: 29
; Occupancy: 16
; WaveLimiterHint : 0
; COMPUTE_PGM_RSRC2:SCRATCH_EN: 0
; COMPUTE_PGM_RSRC2:USER_SGPR: 15
; COMPUTE_PGM_RSRC2:TRAP_HANDLER: 0
; COMPUTE_PGM_RSRC2:TGID_X_EN: 1
; COMPUTE_PGM_RSRC2:TGID_Y_EN: 0
; COMPUTE_PGM_RSRC2:TGID_Z_EN: 0
; COMPUTE_PGM_RSRC2:TIDIG_COMP_CNT: 0
	.section	.text._ZN12tensorrt_llm7kernels32fusedQKNormRopeKernelNTokenHeadsIN3c104HalfENS2_8BFloat16ELi128ELb0ELi2EEEvPviiifPKvS7_S7_PKlii,"axG",@progbits,_ZN12tensorrt_llm7kernels32fusedQKNormRopeKernelNTokenHeadsIN3c104HalfENS2_8BFloat16ELi128ELb0ELi2EEEvPviiifPKvS7_S7_PKlii,comdat
	.protected	_ZN12tensorrt_llm7kernels32fusedQKNormRopeKernelNTokenHeadsIN3c104HalfENS2_8BFloat16ELi128ELb0ELi2EEEvPviiifPKvS7_S7_PKlii ; -- Begin function _ZN12tensorrt_llm7kernels32fusedQKNormRopeKernelNTokenHeadsIN3c104HalfENS2_8BFloat16ELi128ELb0ELi2EEEvPviiifPKvS7_S7_PKlii
	.globl	_ZN12tensorrt_llm7kernels32fusedQKNormRopeKernelNTokenHeadsIN3c104HalfENS2_8BFloat16ELi128ELb0ELi2EEEvPviiifPKvS7_S7_PKlii
	.p2align	8
	.type	_ZN12tensorrt_llm7kernels32fusedQKNormRopeKernelNTokenHeadsIN3c104HalfENS2_8BFloat16ELi128ELb0ELi2EEEvPviiifPKvS7_S7_PKlii,@function
_ZN12tensorrt_llm7kernels32fusedQKNormRopeKernelNTokenHeadsIN3c104HalfENS2_8BFloat16ELi128ELb0ELi2EEEvPviiifPKvS7_S7_PKlii: ; @_ZN12tensorrt_llm7kernels32fusedQKNormRopeKernelNTokenHeadsIN3c104HalfENS2_8BFloat16ELi128ELb0ELi2EEEvPviiifPKvS7_S7_PKlii
; %bb.0:
	s_clause 0x1
	s_load_b128 s[16:19], s[0:1], 0x8
	s_load_b64 s[2:3], s[0:1], 0x38
	s_waitcnt lgkmcnt(0)
	s_add_i32 s4, s17, s16
	s_delay_alu instid0(SALU_CYCLE_1) | instskip(NEXT) | instid1(SALU_CYCLE_1)
	s_add_i32 s5, s4, 1
	s_lshr_b32 s6, s5, 31
	s_delay_alu instid0(SALU_CYCLE_1) | instskip(NEXT) | instid1(SALU_CYCLE_1)
	s_add_i32 s5, s5, s6
	s_ashr_i32 s14, s5, 1
	s_load_b32 s5, s[0:1], 0x4c
	s_abs_i32 s6, s14
	s_delay_alu instid0(SALU_CYCLE_1) | instskip(SKIP_1) | instid1(VALU_DEP_1)
	v_cvt_f32_u32_e32 v1, s6
	s_sub_i32 s7, 0, s6
	v_rcp_iflag_f32_e32 v1, v1
	s_waitcnt_depctr 0xfff
	v_mul_f32_e32 v1, 0x4f7ffffe, v1
	s_waitcnt lgkmcnt(0)
	s_bfe_u32 s5, s5, 0xb0005
	s_delay_alu instid0(VALU_DEP_1) | instskip(SKIP_1) | instid1(VALU_DEP_2)
	v_cvt_u32_f32_e32 v4, v1
	v_lshrrev_b32_e32 v1, 5, v0
	v_mul_lo_u32 v5, s7, v4
	s_delay_alu instid0(VALU_DEP_2) | instskip(NEXT) | instid1(VALU_DEP_2)
	v_mad_u64_u32 v[2:3], null, s15, s5, v[1:2]
	v_mul_hi_u32 v3, v4, v5
	s_delay_alu instid0(VALU_DEP_2) | instskip(NEXT) | instid1(VALU_DEP_1)
	v_sub_nc_u32_e32 v5, 0, v2
	v_max_i32_e32 v5, v2, v5
	s_delay_alu instid0(VALU_DEP_3) | instskip(NEXT) | instid1(VALU_DEP_1)
	v_add_nc_u32_e32 v3, v4, v3
	v_mul_hi_u32 v3, v5, v3
	s_delay_alu instid0(VALU_DEP_1) | instskip(NEXT) | instid1(VALU_DEP_1)
	v_mul_lo_u32 v4, v3, s6
	v_sub_nc_u32_e32 v4, v5, v4
	v_add_nc_u32_e32 v5, 1, v3
	s_delay_alu instid0(VALU_DEP_2) | instskip(SKIP_1) | instid1(VALU_DEP_2)
	v_subrev_nc_u32_e32 v6, s6, v4
	v_cmp_le_u32_e32 vcc_lo, s6, v4
	v_dual_cndmask_b32 v4, v4, v6 :: v_dual_cndmask_b32 v3, v3, v5
	v_xor_b32_e32 v5, s14, v2
	s_delay_alu instid0(VALU_DEP_2) | instskip(NEXT) | instid1(VALU_DEP_3)
	v_cmp_le_u32_e32 vcc_lo, s6, v4
	v_add_nc_u32_e32 v6, 1, v3
	s_delay_alu instid0(VALU_DEP_3) | instskip(NEXT) | instid1(VALU_DEP_2)
	v_ashrrev_i32_e32 v5, 31, v5
	v_cndmask_b32_e32 v3, v3, v6, vcc_lo
	s_delay_alu instid0(VALU_DEP_1) | instskip(NEXT) | instid1(VALU_DEP_1)
	v_xor_b32_e32 v3, v3, v5
	v_sub_nc_u32_e32 v4, v3, v5
	s_delay_alu instid0(VALU_DEP_1)
	v_cmp_gt_i32_e32 vcc_lo, s2, v4
	s_and_saveexec_b32 s2, vcc_lo
	s_cbranch_execz .LBB57_12
; %bb.1:
	v_mul_lo_u32 v3, v4, s14
	s_load_b64 s[12:13], s[0:1], 0x0
	v_and_b32_e32 v9, 31, v0
	v_lshlrev_b32_e32 v11, 9, v1
	v_lshlrev_b32_e32 v10, 8, v2
	s_lshl_b32 s20, s3, 1
	s_delay_alu instid0(VALU_DEP_3) | instskip(SKIP_2) | instid1(VALU_DEP_1)
	v_lshlrev_b32_e32 v8, 3, v9
	v_sub_nc_u32_e32 v3, v2, v3
	s_mul_i32 s15, s20, s5
	v_lshlrev_b32_e32 v6, 1, v3
	s_delay_alu instid0(VALU_DEP_1) | instskip(SKIP_1) | instid1(VALU_DEP_2)
	v_add_nc_u32_e32 v3, 2, v6
	v_sub_nc_u32_e32 v5, s4, v6
	v_cmp_lt_i32_e32 vcc_lo, s4, v3
	s_delay_alu instid0(VALU_DEP_2) | instskip(NEXT) | instid1(VALU_DEP_1)
	v_cndmask_b32_e32 v7, 2, v5, vcc_lo
	v_cmp_lt_i32_e32 vcc_lo, 0, v7
	s_and_saveexec_b32 s4, vcc_lo
	s_cbranch_execz .LBB57_4
; %bb.2:
	s_add_i32 s2, s18, s17
	s_lshl_b32 s5, s14, 1
	s_add_i32 s2, s2, s16
	s_mov_b32 s6, 0
	s_sub_i32 s2, s2, s5
	s_mov_b32 s5, 0
	v_mul_lo_u32 v0, s2, v4
	s_add_i32 s2, s15, 0
	s_delay_alu instid0(VALU_DEP_1) | instskip(SKIP_1) | instid1(VALU_DEP_2)
	v_lshl_add_u32 v2, v0, 7, v10
	v_add3_u32 v0, s2, v11, v8
	v_lshl_or_b32 v2, v9, 2, v2
	.p2align	6
.LBB57_3:                               ; =>This Inner Loop Header: Depth=1
	s_delay_alu instid0(VALU_DEP_1) | instskip(SKIP_1) | instid1(VALU_DEP_1)
	v_ashrrev_i32_e32 v3, 31, v2
	s_add_i32 s6, s6, 1
	v_lshlrev_b64 v[12:13], 1, v[2:3]
	v_add_nc_u32_e32 v2, 0x80, v2
	s_waitcnt lgkmcnt(0)
	s_delay_alu instid0(VALU_DEP_2) | instskip(NEXT) | instid1(VALU_DEP_1)
	v_add_co_u32 v12, s2, s12, v12
	v_add_co_ci_u32_e64 v13, s2, s13, v13, s2
	v_cmp_ge_i32_e64 s2, s6, v7
	global_load_b64 v[12:13], v[12:13], off
	s_or_b32 s5, s2, s5
	s_waitcnt vmcnt(0)
	ds_store_b64 v0, v[12:13]
	v_add_nc_u32_e32 v0, 0x100, v0
	s_and_not1_b32 exec_lo, exec_lo, s5
	s_cbranch_execnz .LBB57_3
.LBB57_4:
	s_or_b32 exec_lo, exec_lo, s4
	s_load_b256 s[4:11], s[0:1], 0x18
	s_add_i32 s0, s20, 15
	v_mul_lo_u32 v12, v1, s3
	s_ashr_i32 s1, s0, 31
	s_mov_b32 s20, exec_lo
	s_lshr_b32 s1, s1, 28
	s_delay_alu instid0(SALU_CYCLE_1) | instskip(NEXT) | instid1(SALU_CYCLE_1)
	s_add_i32 s0, s0, s1
	s_ashr_i32 s2, s0, 4
	s_delay_alu instid0(SALU_CYCLE_1)
	v_cmpx_gt_i32_e64 s2, v9
	s_cbranch_execz .LBB57_7
; %bb.5:
	v_ashrrev_i32_e32 v5, 31, v4
	s_delay_alu instid0(VALU_DEP_1) | instskip(SKIP_1) | instid1(VALU_DEP_1)
	v_lshlrev_b64 v[0:1], 3, v[4:5]
	s_waitcnt lgkmcnt(0)
	v_add_co_u32 v0, s0, s10, v0
	s_delay_alu instid0(VALU_DEP_1)
	v_add_co_ci_u32_e64 v1, s0, s11, v1, s0
	s_ashr_i32 s0, s3, 31
	global_load_b64 v[0:1], v[0:1], off
	s_waitcnt vmcnt(0)
	v_mul_lo_u32 v3, v1, s3
	v_mul_lo_u32 v5, v0, s0
	v_mad_u64_u32 v[1:2], null, v0, s3, 0
	s_delay_alu instid0(VALU_DEP_1) | instskip(SKIP_1) | instid1(VALU_DEP_2)
	v_add3_u32 v2, v2, v5, v3
	v_lshlrev_b32_e32 v3, 1, v12
	v_lshlrev_b64 v[0:1], 1, v[1:2]
	v_lshlrev_b32_e32 v2, 4, v9
	s_delay_alu instid0(VALU_DEP_1) | instskip(NEXT) | instid1(VALU_DEP_1)
	v_add_co_u32 v0, s0, v0, v2
	v_add_co_ci_u32_e64 v1, s0, 0, v1, s0
	v_add3_u32 v2, v3, v2, 0
	v_mov_b32_e32 v3, v9
	s_delay_alu instid0(VALU_DEP_4) | instskip(NEXT) | instid1(VALU_DEP_1)
	v_add_co_u32 v0, s0, s8, v0
	v_add_co_ci_u32_e64 v1, s0, s9, v1, s0
	s_mov_b32 s8, 0
	.p2align	6
.LBB57_6:                               ; =>This Inner Loop Header: Depth=1
	global_load_b128 v[13:16], v[0:1], off
	v_add_nc_u32_e32 v3, 32, v3
	v_add_co_u32 v0, s0, 0x200, v0
	s_delay_alu instid0(VALU_DEP_1) | instskip(NEXT) | instid1(VALU_DEP_3)
	v_add_co_ci_u32_e64 v1, s0, 0, v1, s0
	v_cmp_le_i32_e64 s1, s2, v3
	s_delay_alu instid0(VALU_DEP_1)
	s_or_b32 s8, s1, s8
	s_waitcnt vmcnt(0)
	ds_store_b128 v2, v[13:16]
	v_add_nc_u32_e32 v2, 0x200, v2
	s_and_not1_b32 exec_lo, exec_lo, s8
	s_cbranch_execnz .LBB57_6
.LBB57_7:
	s_or_b32 exec_lo, exec_lo, s20
	s_delay_alu instid0(SALU_CYCLE_1)
	s_and_b32 exec_lo, exec_lo, vcc_lo
	s_cbranch_execz .LBB57_12
; %bb.8:
	s_waitcnt lgkmcnt(0)
	s_clause 0x1
	global_load_b64 v[0:1], v8, s[4:5]
	global_load_b64 v[2:3], v8, s[6:7]
	s_abs_i32 s2, s3
	v_lshl_add_u32 v21, v12, 1, 0
	v_cvt_f32_u32_e32 v5, s2
	v_mbcnt_lo_u32_b32 v12, -1, 0
	s_lshr_b32 s0, s3, 31
	s_ashr_i32 s1, s3, 31
	s_add_i32 s0, s3, s0
	s_lshr_b32 s6, s1, 30
	s_lshr_b32 s1, s1, 29
	v_rcp_iflag_f32_e32 v5, v5
	v_add_nc_u32_e32 v27, s15, v11
	v_xor_b32_e32 v11, 16, v12
	s_add_i32 s4, s18, s17
	s_and_b32 s0, s0, -2
	s_add_i32 s6, s3, s6
	s_add_i32 s1, s3, s1
	s_lshl_b32 s5, s14, 1
	s_add_i32 s4, s4, s16
	v_add_nc_u32_e32 v22, s0, v21
	s_ashr_i32 s0, s6, 2
	s_ashr_i32 s1, s1, 3
	s_sub_i32 s3, s4, s5
	v_cmp_gt_i32_e32 vcc_lo, s0, v9
	v_xor_b32_e32 v23, s1, v12
	v_cmp_gt_i32_e64 s0, s1, v9
	v_cmp_gt_i32_e64 s1, 32, v11
	v_mul_lo_u32 v4, s3, v4
	s_sub_i32 s7, 0, s2
	v_xor_b32_e32 v13, 8, v12
	v_xor_b32_e32 v18, 4, v12
	v_cndmask_b32_e64 v11, v12, v11, s1
	v_mul_f32_e32 v5, 0x4f7ffffe, v5
	v_xor_b32_e32 v19, 2, v12
	v_cmp_gt_i32_e64 s1, 32, v13
	v_lshl_add_u32 v4, v4, 7, v10
	v_lshlrev_b32_e32 v10, 2, v11
	v_cvt_u32_f32_e32 v5, v5
	v_or_b32_e32 v14, 2, v8
	v_cndmask_b32_e64 v13, v12, v13, s1
	v_cmp_gt_i32_e64 s1, 32, v18
	v_or_b32_e32 v15, 4, v8
	v_mul_lo_u32 v17, s7, v5
	v_or_b32_e32 v16, 6, v8
	v_xor_b32_e32 v20, 1, v12
	v_lshlrev_b32_e32 v11, 2, v13
	v_lshl_or_b32 v4, v9, 2, v4
	s_mov_b32 s3, 0
	s_mov_b32 s4, 0
	v_mul_hi_u32 v17, v5, v17
	s_delay_alu instid0(VALU_DEP_1) | instskip(SKIP_2) | instid1(VALU_DEP_3)
	v_add_nc_u32_e32 v5, v5, v17
	v_cndmask_b32_e64 v17, v12, v18, s1
	v_cmp_gt_i32_e64 s1, 32, v19
	v_mul_hi_u32 v24, v14, v5
	v_mul_hi_u32 v25, v15, v5
	s_delay_alu instid0(VALU_DEP_3) | instskip(SKIP_3) | instid1(VALU_DEP_4)
	v_cndmask_b32_e64 v18, v12, v19, s1
	v_mul_hi_u32 v19, v8, v5
	v_mul_hi_u32 v5, v16, v5
	v_cmp_gt_i32_e64 s1, 32, v20
	v_lshlrev_b32_e32 v13, 2, v18
	v_mul_lo_u32 v24, v24, s2
	v_mul_lo_u32 v25, v25, s2
	s_delay_alu instid0(VALU_DEP_4) | instskip(SKIP_4) | instid1(VALU_DEP_3)
	v_cndmask_b32_e64 v20, v12, v20, s1
	v_mul_lo_u32 v19, v19, s2
	v_cmp_gt_i32_e64 s1, 32, v23
	v_mul_lo_u32 v5, v5, s2
	v_sub_nc_u32_e32 v18, v14, v24
	v_cndmask_b32_e64 v23, v12, v23, s1
	v_lshlrev_b32_e32 v12, 2, v17
	v_sub_nc_u32_e32 v17, v8, v19
	v_sub_nc_u32_e32 v15, v15, v25
	;; [unrolled: 1-line block ×3, first 2 shown]
	v_subrev_nc_u32_e32 v19, s2, v18
	v_lshlrev_b32_e32 v14, 2, v20
	v_subrev_nc_u32_e32 v16, s2, v17
	v_cmp_le_u32_e64 s1, s2, v17
	v_subrev_nc_u32_e32 v20, s2, v15
	v_subrev_nc_u32_e32 v24, s2, v5
	v_add3_u32 v8, v27, v8, 0
	s_delay_alu instid0(VALU_DEP_4) | instskip(SKIP_1) | instid1(VALU_DEP_1)
	v_cndmask_b32_e64 v16, v17, v16, s1
	v_cmp_le_u32_e64 s1, s2, v18
	v_cndmask_b32_e64 v17, v18, v19, s1
	v_cmp_le_u32_e64 s1, s2, v15
	s_delay_alu instid0(VALU_DEP_4) | instskip(NEXT) | instid1(VALU_DEP_2)
	v_subrev_nc_u32_e32 v19, s2, v16
	v_cndmask_b32_e64 v18, v15, v20, s1
	v_cmp_le_u32_e64 s1, s2, v5
	v_subrev_nc_u32_e32 v20, s2, v17
	v_lshlrev_b32_e32 v15, 2, v23
	s_delay_alu instid0(VALU_DEP_4) | instskip(NEXT) | instid1(VALU_DEP_4)
	v_subrev_nc_u32_e32 v23, s2, v18
	v_cndmask_b32_e64 v5, v5, v24, s1
	v_cmp_le_u32_e64 s1, s2, v16
	s_delay_alu instid0(VALU_DEP_2) | instskip(NEXT) | instid1(VALU_DEP_2)
	v_subrev_nc_u32_e32 v24, s2, v5
	v_cndmask_b32_e64 v16, v16, v19, s1
	v_cmp_le_u32_e64 s1, s2, v17
	s_delay_alu instid0(VALU_DEP_2) | instskip(NEXT) | instid1(VALU_DEP_2)
	v_and_b32_e32 v16, -2, v16
	v_cndmask_b32_e64 v17, v17, v20, s1
	v_cmp_le_u32_e64 s1, s2, v18
	s_delay_alu instid0(VALU_DEP_3) | instskip(NEXT) | instid1(VALU_DEP_3)
	v_add_nc_u32_e32 v9, v21, v16
	v_and_b32_e32 v19, -2, v17
	s_delay_alu instid0(VALU_DEP_3) | instskip(SKIP_2) | instid1(VALU_DEP_4)
	v_cndmask_b32_e64 v18, v18, v23, s1
	v_cmp_le_u32_e64 s1, s2, v5
	v_add_nc_u32_e32 v16, v22, v16
	v_add_nc_u32_e32 v17, v21, v19
	s_delay_alu instid0(VALU_DEP_4) | instskip(NEXT) | instid1(VALU_DEP_4)
	v_and_b32_e32 v20, -2, v18
	v_cndmask_b32_e64 v5, v5, v24, s1
	v_add_nc_u32_e32 v18, v22, v19
	s_delay_alu instid0(VALU_DEP_3) | instskip(NEXT) | instid1(VALU_DEP_3)
	v_add_nc_u32_e32 v19, v21, v20
	v_and_b32_e32 v5, -2, v5
	v_add_nc_u32_e32 v20, v22, v20
	s_delay_alu instid0(VALU_DEP_2)
	v_add_nc_u32_e32 v21, v21, v5
	v_add_nc_u32_e32 v22, v22, v5
	s_waitcnt vmcnt(1)
	v_lshrrev_b32_e32 v23, 16, v0
	v_lshrrev_b32_e32 v24, 16, v1
	s_waitcnt vmcnt(0)
	v_lshrrev_b32_e32 v25, 16, v2
	v_lshrrev_b32_e32 v26, 16, v3
	s_branch .LBB57_10
.LBB57_9:                               ;   in Loop: Header=BB57_10 Depth=1
	s_or_b32 exec_lo, exec_lo, s1
	v_ashrrev_i32_e32 v5, 31, v4
	v_cvt_f16_f32_e32 v31, v30
	v_cvt_f16_f32_e32 v32, v29
	s_add_i32 s4, s4, 1
	v_add_nc_u32_e32 v8, 0x100, v8
	v_lshlrev_b64 v[29:30], 1, v[4:5]
	v_cvt_f16_f32_e32 v5, v27
	v_cvt_f16_f32_e32 v27, v28
	v_pack_b32_f16 v28, v31, v32
	v_add_nc_u32_e32 v4, 0x80, v4
	v_add_co_u32 v29, s1, s12, v29
	s_delay_alu instid0(VALU_DEP_1) | instskip(SKIP_2) | instid1(VALU_DEP_2)
	v_add_co_ci_u32_e64 v30, s1, s13, v30, s1
	v_cmp_ge_i32_e64 s1, s4, v7
	v_pack_b32_f16 v27, v5, v27
	s_or_b32 s3, s1, s3
	global_store_b64 v[29:30], v[27:28], off
	s_and_not1_b32 exec_lo, exec_lo, s3
	s_cbranch_execz .LBB57_12
.LBB57_10:                              ; =>This Inner Loop Header: Depth=1
	ds_load_b64 v[27:28], v8
	s_waitcnt lgkmcnt(0)
	v_lshrrev_b32_e32 v5, 16, v27
	v_lshrrev_b32_e32 v35, 16, v28
	s_delay_alu instid0(VALU_DEP_2) | instskip(NEXT) | instid1(VALU_DEP_2)
	v_cvt_f32_f16_e32 v5, v5
	v_cvt_f32_f16_e32 v35, v35
	s_delay_alu instid0(VALU_DEP_2) | instskip(NEXT) | instid1(VALU_DEP_1)
	v_mul_f32_e32 v29, v5, v5
	v_fma_mix_f32 v29, v27, v27, v29 op_sel_hi:[1,1,0]
	v_cvt_f32_f16_e32 v27, v27
	s_delay_alu instid0(VALU_DEP_2) | instskip(NEXT) | instid1(VALU_DEP_1)
	v_fma_mix_f32 v29, v28, v28, v29 op_sel_hi:[1,1,0]
	v_fma_mix_f32 v29, v28, v28, v29 op_sel:[1,1,0] op_sel_hi:[1,1,0]
	ds_bpermute_b32 v30, v10, v29
	s_waitcnt lgkmcnt(0)
	v_add_f32_e32 v29, v29, v30
	ds_bpermute_b32 v30, v11, v29
	s_waitcnt lgkmcnt(0)
	v_add_f32_e32 v29, v29, v30
	;; [unrolled: 3-line block ×5, first 2 shown]
	s_delay_alu instid0(VALU_DEP_1) | instskip(NEXT) | instid1(VALU_DEP_1)
	v_fma_f32 v29, 0x3c000000, v29, s19
	v_mul_f32_e32 v30, 0x4b800000, v29
	v_cmp_gt_f32_e64 s1, 0x800000, v29
	s_delay_alu instid0(VALU_DEP_1) | instskip(SKIP_1) | instid1(VALU_DEP_2)
	v_cndmask_b32_e64 v29, v29, v30, s1
	v_add_nc_u32_e32 v30, s4, v6
	v_rsq_f32_e32 v29, v29
	s_delay_alu instid0(VALU_DEP_1) | instskip(NEXT) | instid1(VALU_DEP_1)
	v_cmp_gt_i32_e64 s2, s16, v30
	v_cndmask_b32_e64 v30, v2, v0, s2
	v_cndmask_b32_e64 v31, v25, v23, s2
	;; [unrolled: 1-line block ×4, first 2 shown]
	s_delay_alu instid0(VALU_DEP_4) | instskip(NEXT) | instid1(TRANS32_DEP_1)
	v_cvt_f32_f16_e32 v30, v30
	v_mul_f32_e32 v33, 0x45800000, v29
	v_cvt_f32_f16_e32 v31, v31
	v_cvt_f32_f16_e32 v32, v32
	s_delay_alu instid0(VALU_DEP_3) | instskip(SKIP_2) | instid1(VALU_DEP_3)
	v_cndmask_b32_e64 v29, v29, v33, s1
	v_cvt_f32_f16_e32 v33, v34
	v_cvt_f32_f16_e32 v34, v28
	v_mul_f32_e32 v28, v29, v30
	v_mul_f32_e32 v30, v29, v31
	;; [unrolled: 1-line block ×4, first 2 shown]
	s_delay_alu instid0(VALU_DEP_3) | instskip(NEXT) | instid1(VALU_DEP_2)
	v_dual_mul_f32 v27, v28, v27 :: v_dual_mul_f32 v28, v30, v5
	v_dual_mul_f32 v30, v31, v34 :: v_dual_mul_f32 v29, v29, v35
	s_and_saveexec_b32 s1, vcc_lo
	s_cbranch_execz .LBB57_9
; %bb.11:                               ;   in Loop: Header=BB57_10 Depth=1
	; wave barrier
	ds_bpermute_b32 v5, v15, v27
	ds_load_u16 v31, v9
	ds_load_u16 v32, v16
	ds_bpermute_b32 v33, v15, v28
	ds_load_u16 v34, v17
	ds_load_u16 v35, v18
	ds_bpermute_b32 v36, v15, v30
	ds_load_u16 v37, v20
	ds_load_u16 v39, v22
	ds_load_u16 v40, v19
	ds_load_u16 v41, v21
	ds_bpermute_b32 v38, v15, v29
	; wave barrier
	s_waitcnt lgkmcnt(11)
	v_cndmask_b32_e64 v5, v5, -v5, s0
	s_waitcnt lgkmcnt(8)
	v_cndmask_b32_e64 v33, v33, -v33, s0
	s_waitcnt lgkmcnt(6)
	v_lshlrev_b32_e32 v35, 16, v35
	s_waitcnt lgkmcnt(5)
	v_cndmask_b32_e64 v36, v36, -v36, s0
	s_waitcnt lgkmcnt(4)
	v_lshlrev_b32_e32 v37, 16, v37
	v_lshlrev_b32_e32 v32, 16, v32
	;; [unrolled: 1-line block ×3, first 2 shown]
	s_waitcnt lgkmcnt(0)
	v_cndmask_b32_e64 v38, v38, -v38, s0
	s_delay_alu instid0(VALU_DEP_3) | instskip(SKIP_2) | instid1(VALU_DEP_2)
	v_mul_f32_e32 v5, v5, v32
	v_dual_mul_f32 v32, v33, v35 :: v_dual_lshlrev_b32 v33, 16, v40
	v_mul_f32_e32 v35, v36, v37
	v_dual_fmac_f32 v32, v28, v34 :: v_dual_lshlrev_b32 v31, 16, v31
	s_delay_alu instid0(VALU_DEP_2) | instskip(SKIP_1) | instid1(VALU_DEP_3)
	v_fmac_f32_e32 v35, v30, v33
	v_lshlrev_b32_e32 v39, 16, v39
	v_dual_fmac_f32 v5, v27, v31 :: v_dual_mov_b32 v28, v32
	s_delay_alu instid0(VALU_DEP_3) | instskip(NEXT) | instid1(VALU_DEP_3)
	v_mov_b32_e32 v30, v35
	v_dual_mul_f32 v37, v38, v39 :: v_dual_lshlrev_b32 v36, 16, v41
	s_delay_alu instid0(VALU_DEP_3) | instskip(NEXT) | instid1(VALU_DEP_2)
	v_mov_b32_e32 v27, v5
	v_fmac_f32_e32 v37, v29, v36
	s_delay_alu instid0(VALU_DEP_1)
	v_mov_b32_e32 v29, v37
	s_branch .LBB57_9
.LBB57_12:
	s_nop 0
	s_sendmsg sendmsg(MSG_DEALLOC_VGPRS)
	s_endpgm
	.section	.rodata,"a",@progbits
	.p2align	6, 0x0
	.amdhsa_kernel _ZN12tensorrt_llm7kernels32fusedQKNormRopeKernelNTokenHeadsIN3c104HalfENS2_8BFloat16ELi128ELb0ELi2EEEvPviiifPKvS7_S7_PKlii
		.amdhsa_group_segment_fixed_size 0
		.amdhsa_private_segment_fixed_size 0
		.amdhsa_kernarg_size 320
		.amdhsa_user_sgpr_count 15
		.amdhsa_user_sgpr_dispatch_ptr 0
		.amdhsa_user_sgpr_queue_ptr 0
		.amdhsa_user_sgpr_kernarg_segment_ptr 1
		.amdhsa_user_sgpr_dispatch_id 0
		.amdhsa_user_sgpr_private_segment_size 0
		.amdhsa_wavefront_size32 1
		.amdhsa_uses_dynamic_stack 0
		.amdhsa_enable_private_segment 0
		.amdhsa_system_sgpr_workgroup_id_x 1
		.amdhsa_system_sgpr_workgroup_id_y 0
		.amdhsa_system_sgpr_workgroup_id_z 0
		.amdhsa_system_sgpr_workgroup_info 0
		.amdhsa_system_vgpr_workitem_id 0
		.amdhsa_next_free_vgpr 42
		.amdhsa_next_free_sgpr 21
		.amdhsa_reserve_vcc 1
		.amdhsa_float_round_mode_32 0
		.amdhsa_float_round_mode_16_64 0
		.amdhsa_float_denorm_mode_32 3
		.amdhsa_float_denorm_mode_16_64 3
		.amdhsa_dx10_clamp 1
		.amdhsa_ieee_mode 1
		.amdhsa_fp16_overflow 0
		.amdhsa_workgroup_processor_mode 1
		.amdhsa_memory_ordered 1
		.amdhsa_forward_progress 0
		.amdhsa_shared_vgpr_count 0
		.amdhsa_exception_fp_ieee_invalid_op 0
		.amdhsa_exception_fp_denorm_src 0
		.amdhsa_exception_fp_ieee_div_zero 0
		.amdhsa_exception_fp_ieee_overflow 0
		.amdhsa_exception_fp_ieee_underflow 0
		.amdhsa_exception_fp_ieee_inexact 0
		.amdhsa_exception_int_div_zero 0
	.end_amdhsa_kernel
	.section	.text._ZN12tensorrt_llm7kernels32fusedQKNormRopeKernelNTokenHeadsIN3c104HalfENS2_8BFloat16ELi128ELb0ELi2EEEvPviiifPKvS7_S7_PKlii,"axG",@progbits,_ZN12tensorrt_llm7kernels32fusedQKNormRopeKernelNTokenHeadsIN3c104HalfENS2_8BFloat16ELi128ELb0ELi2EEEvPviiifPKvS7_S7_PKlii,comdat
.Lfunc_end57:
	.size	_ZN12tensorrt_llm7kernels32fusedQKNormRopeKernelNTokenHeadsIN3c104HalfENS2_8BFloat16ELi128ELb0ELi2EEEvPviiifPKvS7_S7_PKlii, .Lfunc_end57-_ZN12tensorrt_llm7kernels32fusedQKNormRopeKernelNTokenHeadsIN3c104HalfENS2_8BFloat16ELi128ELb0ELi2EEEvPviiifPKvS7_S7_PKlii
                                        ; -- End function
	.section	.AMDGPU.csdata,"",@progbits
; Kernel info:
; codeLenInByte = 2296
; NumSgprs: 23
; NumVgprs: 42
; ScratchSize: 0
; MemoryBound: 0
; FloatMode: 240
; IeeeMode: 1
; LDSByteSize: 0 bytes/workgroup (compile time only)
; SGPRBlocks: 2
; VGPRBlocks: 5
; NumSGPRsForWavesPerEU: 23
; NumVGPRsForWavesPerEU: 42
; Occupancy: 16
; WaveLimiterHint : 0
; COMPUTE_PGM_RSRC2:SCRATCH_EN: 0
; COMPUTE_PGM_RSRC2:USER_SGPR: 15
; COMPUTE_PGM_RSRC2:TRAP_HANDLER: 0
; COMPUTE_PGM_RSRC2:TGID_X_EN: 1
; COMPUTE_PGM_RSRC2:TGID_Y_EN: 0
; COMPUTE_PGM_RSRC2:TGID_Z_EN: 0
; COMPUTE_PGM_RSRC2:TIDIG_COMP_CNT: 0
	.section	.text._ZN12tensorrt_llm7kernels32fusedQKNormRopeKernelNTokenHeadsIN3c104HalfENS2_8BFloat16ELi256ELb1ELi2EEEvPviiifPKvS7_S7_PKlii,"axG",@progbits,_ZN12tensorrt_llm7kernels32fusedQKNormRopeKernelNTokenHeadsIN3c104HalfENS2_8BFloat16ELi256ELb1ELi2EEEvPviiifPKvS7_S7_PKlii,comdat
	.protected	_ZN12tensorrt_llm7kernels32fusedQKNormRopeKernelNTokenHeadsIN3c104HalfENS2_8BFloat16ELi256ELb1ELi2EEEvPviiifPKvS7_S7_PKlii ; -- Begin function _ZN12tensorrt_llm7kernels32fusedQKNormRopeKernelNTokenHeadsIN3c104HalfENS2_8BFloat16ELi256ELb1ELi2EEEvPviiifPKvS7_S7_PKlii
	.globl	_ZN12tensorrt_llm7kernels32fusedQKNormRopeKernelNTokenHeadsIN3c104HalfENS2_8BFloat16ELi256ELb1ELi2EEEvPviiifPKvS7_S7_PKlii
	.p2align	8
	.type	_ZN12tensorrt_llm7kernels32fusedQKNormRopeKernelNTokenHeadsIN3c104HalfENS2_8BFloat16ELi256ELb1ELi2EEEvPviiifPKvS7_S7_PKlii,@function
_ZN12tensorrt_llm7kernels32fusedQKNormRopeKernelNTokenHeadsIN3c104HalfENS2_8BFloat16ELi256ELb1ELi2EEEvPviiifPKvS7_S7_PKlii: ; @_ZN12tensorrt_llm7kernels32fusedQKNormRopeKernelNTokenHeadsIN3c104HalfENS2_8BFloat16ELi256ELb1ELi2EEEvPviiifPKvS7_S7_PKlii
; %bb.0:
	s_clause 0x1
	s_load_b128 s[16:19], s[0:1], 0x8
	s_load_b64 s[2:3], s[0:1], 0x38
	s_waitcnt lgkmcnt(0)
	s_add_i32 s4, s17, s16
	s_delay_alu instid0(SALU_CYCLE_1) | instskip(NEXT) | instid1(SALU_CYCLE_1)
	s_add_i32 s5, s4, 1
	s_lshr_b32 s6, s5, 31
	s_delay_alu instid0(SALU_CYCLE_1) | instskip(NEXT) | instid1(SALU_CYCLE_1)
	s_add_i32 s5, s5, s6
	s_ashr_i32 s14, s5, 1
	s_load_b32 s5, s[0:1], 0x4c
	s_abs_i32 s6, s14
	s_delay_alu instid0(SALU_CYCLE_1) | instskip(SKIP_1) | instid1(VALU_DEP_1)
	v_cvt_f32_u32_e32 v1, s6
	s_sub_i32 s7, 0, s6
	v_rcp_iflag_f32_e32 v1, v1
	s_waitcnt_depctr 0xfff
	v_mul_f32_e32 v1, 0x4f7ffffe, v1
	s_waitcnt lgkmcnt(0)
	s_bfe_u32 s5, s5, 0xb0005
	s_delay_alu instid0(VALU_DEP_1) | instskip(SKIP_1) | instid1(VALU_DEP_2)
	v_cvt_u32_f32_e32 v4, v1
	v_lshrrev_b32_e32 v1, 5, v0
	v_mul_lo_u32 v5, s7, v4
	s_delay_alu instid0(VALU_DEP_2) | instskip(NEXT) | instid1(VALU_DEP_2)
	v_mad_u64_u32 v[2:3], null, s15, s5, v[1:2]
	v_mul_hi_u32 v3, v4, v5
	s_delay_alu instid0(VALU_DEP_2) | instskip(NEXT) | instid1(VALU_DEP_1)
	v_sub_nc_u32_e32 v5, 0, v2
	v_max_i32_e32 v5, v2, v5
	s_delay_alu instid0(VALU_DEP_3) | instskip(NEXT) | instid1(VALU_DEP_1)
	v_add_nc_u32_e32 v3, v4, v3
	v_mul_hi_u32 v3, v5, v3
	s_delay_alu instid0(VALU_DEP_1) | instskip(NEXT) | instid1(VALU_DEP_1)
	v_mul_lo_u32 v4, v3, s6
	v_sub_nc_u32_e32 v4, v5, v4
	v_add_nc_u32_e32 v5, 1, v3
	s_delay_alu instid0(VALU_DEP_2) | instskip(SKIP_1) | instid1(VALU_DEP_2)
	v_subrev_nc_u32_e32 v6, s6, v4
	v_cmp_le_u32_e32 vcc_lo, s6, v4
	v_dual_cndmask_b32 v4, v4, v6 :: v_dual_cndmask_b32 v3, v3, v5
	v_xor_b32_e32 v5, s14, v2
	s_delay_alu instid0(VALU_DEP_2) | instskip(NEXT) | instid1(VALU_DEP_3)
	v_cmp_le_u32_e32 vcc_lo, s6, v4
	v_add_nc_u32_e32 v6, 1, v3
	s_delay_alu instid0(VALU_DEP_3) | instskip(NEXT) | instid1(VALU_DEP_2)
	v_ashrrev_i32_e32 v5, 31, v5
	v_cndmask_b32_e32 v3, v3, v6, vcc_lo
	s_delay_alu instid0(VALU_DEP_1) | instskip(NEXT) | instid1(VALU_DEP_1)
	v_xor_b32_e32 v3, v3, v5
	v_sub_nc_u32_e32 v4, v3, v5
	s_delay_alu instid0(VALU_DEP_1)
	v_cmp_gt_i32_e32 vcc_lo, s2, v4
	s_and_saveexec_b32 s2, vcc_lo
	s_cbranch_execz .LBB58_12
; %bb.1:
	v_mul_lo_u32 v3, v4, s14
	s_load_b64 s[12:13], s[0:1], 0x0
	v_and_b32_e32 v14, 31, v0
	v_lshlrev_b32_e32 v12, 10, v1
	v_lshlrev_b32_e32 v15, 9, v2
	s_lshl_b32 s20, s3, 1
	s_delay_alu instid0(VALU_DEP_3) | instskip(SKIP_2) | instid1(VALU_DEP_1)
	v_lshlrev_b32_e32 v13, 4, v14
	v_sub_nc_u32_e32 v3, v2, v3
	s_mul_i32 s15, s20, s5
	v_lshlrev_b32_e32 v6, 1, v3
	s_delay_alu instid0(VALU_DEP_1) | instskip(SKIP_1) | instid1(VALU_DEP_2)
	v_add_nc_u32_e32 v3, 2, v6
	v_sub_nc_u32_e32 v5, s4, v6
	v_cmp_lt_i32_e32 vcc_lo, s4, v3
	s_delay_alu instid0(VALU_DEP_2) | instskip(NEXT) | instid1(VALU_DEP_1)
	v_cndmask_b32_e32 v7, 2, v5, vcc_lo
	v_cmp_lt_i32_e32 vcc_lo, 0, v7
	s_and_saveexec_b32 s4, vcc_lo
	s_cbranch_execz .LBB58_4
; %bb.2:
	s_add_i32 s2, s18, s17
	s_lshl_b32 s5, s14, 1
	s_add_i32 s2, s2, s16
	s_mov_b32 s6, 0
	s_sub_i32 s2, s2, s5
	s_mov_b32 s5, 0
	v_mul_lo_u32 v2, s2, v4
	s_add_i32 s2, s15, 0
	s_delay_alu instid0(SALU_CYCLE_1) | instskip(NEXT) | instid1(VALU_DEP_2)
	v_add3_u32 v5, s2, v12, v13
	v_lshl_add_u32 v2, v2, 8, v15
	s_delay_alu instid0(VALU_DEP_1)
	v_lshl_or_b32 v2, v14, 3, v2
	.p2align	6
.LBB58_3:                               ; =>This Inner Loop Header: Depth=1
	s_delay_alu instid0(VALU_DEP_1) | instskip(SKIP_1) | instid1(VALU_DEP_1)
	v_ashrrev_i32_e32 v3, 31, v2
	s_add_i32 s6, s6, 1
	v_lshlrev_b64 v[8:9], 1, v[2:3]
	v_add_nc_u32_e32 v2, 0x100, v2
	s_waitcnt lgkmcnt(0)
	s_delay_alu instid0(VALU_DEP_2) | instskip(NEXT) | instid1(VALU_DEP_1)
	v_add_co_u32 v8, s2, s12, v8
	v_add_co_ci_u32_e64 v9, s2, s13, v9, s2
	v_cmp_ge_i32_e64 s2, s6, v7
	global_load_b128 v[8:11], v[8:9], off
	s_or_b32 s5, s2, s5
	s_waitcnt vmcnt(0)
	ds_store_b128 v5, v[8:11]
	v_add_nc_u32_e32 v5, 0x200, v5
	s_and_not1_b32 exec_lo, exec_lo, s5
	s_cbranch_execnz .LBB58_3
.LBB58_4:
	s_or_b32 exec_lo, exec_lo, s4
	s_load_b256 s[4:11], s[0:1], 0x18
	v_mul_lo_u32 v1, v1, s3
	s_add_i32 s0, s20, 15
	s_mov_b32 s20, exec_lo
	s_ashr_i32 s1, s0, 31
	s_delay_alu instid0(SALU_CYCLE_1) | instskip(NEXT) | instid1(SALU_CYCLE_1)
	s_lshr_b32 s1, s1, 28
	s_add_i32 s0, s0, s1
	s_delay_alu instid0(VALU_DEP_1) | instskip(SKIP_1) | instid1(SALU_CYCLE_1)
	v_lshlrev_b32_e32 v16, 1, v1
	s_ashr_i32 s2, s0, 4
	v_cmpx_gt_i32_e64 s2, v14
	s_cbranch_execz .LBB58_7
; %bb.5:
	v_ashrrev_i32_e32 v5, 31, v4
	s_delay_alu instid0(VALU_DEP_1) | instskip(SKIP_1) | instid1(VALU_DEP_1)
	v_lshlrev_b64 v[1:2], 3, v[4:5]
	s_waitcnt lgkmcnt(0)
	v_add_co_u32 v1, s0, s10, v1
	s_delay_alu instid0(VALU_DEP_1)
	v_add_co_ci_u32_e64 v2, s0, s11, v2, s0
	s_ashr_i32 s0, s3, 31
	global_load_b64 v[1:2], v[1:2], off
	s_waitcnt vmcnt(0)
	v_mul_lo_u32 v5, v2, s3
	v_mul_lo_u32 v8, v1, s0
	v_mad_u64_u32 v[2:3], null, v1, s3, 0
	s_delay_alu instid0(VALU_DEP_1) | instskip(SKIP_1) | instid1(VALU_DEP_2)
	v_add3_u32 v3, v3, v8, v5
	v_and_b32_e32 v5, 31, v0
	v_lshlrev_b64 v[0:1], 1, v[2:3]
	s_delay_alu instid0(VALU_DEP_2) | instskip(NEXT) | instid1(VALU_DEP_1)
	v_dual_mov_b32 v3, v14 :: v_dual_lshlrev_b32 v2, 4, v5
	v_add_co_u32 v0, s0, v0, v2
	s_delay_alu instid0(VALU_DEP_1) | instskip(SKIP_1) | instid1(VALU_DEP_3)
	v_add_co_ci_u32_e64 v1, s0, 0, v1, s0
	v_add3_u32 v2, v16, v13, 0
	v_add_co_u32 v0, s0, s8, v0
	s_delay_alu instid0(VALU_DEP_1)
	v_add_co_ci_u32_e64 v1, s0, s9, v1, s0
	s_mov_b32 s8, 0
	.p2align	6
.LBB58_6:                               ; =>This Inner Loop Header: Depth=1
	global_load_b128 v[8:11], v[0:1], off
	v_add_nc_u32_e32 v3, 32, v3
	v_add_co_u32 v0, s0, 0x200, v0
	s_delay_alu instid0(VALU_DEP_1) | instskip(NEXT) | instid1(VALU_DEP_3)
	v_add_co_ci_u32_e64 v1, s0, 0, v1, s0
	v_cmp_le_i32_e64 s1, s2, v3
	s_delay_alu instid0(VALU_DEP_1)
	s_or_b32 s8, s1, s8
	s_waitcnt vmcnt(0)
	ds_store_b128 v2, v[8:11]
	v_add_nc_u32_e32 v2, 0x200, v2
	s_and_not1_b32 exec_lo, exec_lo, s8
	s_cbranch_execnz .LBB58_6
.LBB58_7:
	s_or_b32 exec_lo, exec_lo, s20
	s_delay_alu instid0(SALU_CYCLE_1)
	s_and_b32 exec_lo, exec_lo, vcc_lo
	s_cbranch_execz .LBB58_12
; %bb.8:
	s_waitcnt lgkmcnt(0)
	s_clause 0x5
	global_load_b32 v8, v13, s[6:7] offset:2
	global_load_b64 v[0:1], v13, s[4:5] offset:8
	global_load_u16 v9, v13, s[4:5]
	global_load_u16 v10, v13, s[6:7]
	global_load_b32 v11, v13, s[4:5] offset:2
	global_load_b64 v[2:3], v13, s[6:7] offset:8
	v_mbcnt_lo_u32_b32 v17, -1, 0
	s_lshr_b32 s0, s3, 31
	s_ashr_i32 s1, s3, 31
	s_add_i32 s0, s3, s0
	s_lshr_b32 s1, s1, 29
	v_xor_b32_e32 v19, 16, v17
	v_lshlrev_b32_e32 v5, 3, v14
	v_xor_b32_e32 v20, 8, v17
	v_add_nc_u32_e32 v18, s15, v12
	v_xor_b32_e32 v21, 4, v17
	v_xor_b32_e32 v22, 2, v17
	v_add3_u32 v12, 0, v16, v5
	s_add_i32 s2, s18, s17
	v_xor_b32_e32 v23, 1, v17
	s_add_i32 s2, s2, s16
	s_clause 0x1
	global_load_d16_hi_b16 v9, v13, s[4:5] offset:6
	global_load_d16_hi_b16 v10, v13, s[6:7] offset:6
	s_and_b32 s5, s0, -2
	s_add_i32 s0, s3, s1
	v_add3_u32 v13, v18, v13, 0
	s_ashr_i32 s0, s0, 3
	s_lshl_b32 s4, s14, 1
	v_cmp_gt_i32_e32 vcc_lo, s0, v14
	v_cmp_gt_i32_e64 s0, 32, v19
	s_sub_i32 s1, s2, s4
	v_add_nc_u32_e32 v14, s5, v12
	v_mul_lo_u32 v4, s1, v4
	s_waitcnt vmcnt(6)
	v_lshrrev_b32_e32 v24, 16, v1
	v_cndmask_b32_e64 v16, v17, v19, s0
	v_cmp_gt_i32_e64 s0, 32, v20
	s_waitcnt vmcnt(2)
	v_lshrrev_b32_e32 v27, 16, v3
	s_mov_b32 s2, 0
	s_mov_b32 s3, 0
	v_cndmask_b32_e64 v18, v17, v20, s0
	v_cmp_gt_i32_e64 s0, 32, v21
	v_lshl_add_u32 v4, v4, 8, v15
	v_lshlrev_b32_e32 v15, 2, v16
	s_delay_alu instid0(VALU_DEP_4) | instskip(NEXT) | instid1(VALU_DEP_4)
	v_lshlrev_b32_e32 v16, 2, v18
	v_cndmask_b32_e64 v19, v17, v21, s0
	v_cmp_gt_i32_e64 s0, 32, v22
	v_or_b32_e32 v4, v4, v5
	s_delay_alu instid0(VALU_DEP_2) | instskip(SKIP_2) | instid1(VALU_DEP_3)
	v_cndmask_b32_e64 v20, v17, v22, s0
	v_cmp_gt_i32_e64 s0, 32, v23
	v_lshrrev_b32_e32 v22, 16, v0
	v_lshlrev_b32_e32 v18, 2, v20
	s_delay_alu instid0(VALU_DEP_3) | instskip(SKIP_3) | instid1(VALU_DEP_4)
	v_cndmask_b32_e64 v21, v17, v23, s0
	v_lshlrev_b32_e32 v17, 2, v19
	v_lshrrev_b32_e32 v20, 16, v11
	v_lshrrev_b32_e32 v23, 16, v2
	v_lshlrev_b32_e32 v19, 2, v21
	v_lshrrev_b32_e32 v21, 16, v8
	s_waitcnt vmcnt(1)
	v_lshrrev_b32_e32 v25, 16, v9
	s_waitcnt vmcnt(0)
	v_lshrrev_b32_e32 v26, 16, v10
	s_branch .LBB58_10
.LBB58_9:                               ;   in Loop: Header=BB58_10 Depth=1
	s_or_b32 exec_lo, exec_lo, s0
	v_ashrrev_i32_e32 v5, 31, v4
	v_cvt_f16_f32_e32 v36, v30
	v_cvt_f16_f32_e32 v37, v31
	v_cvt_f16_f32_e32 v35, v35
	v_cvt_f16_f32_e32 v38, v33
	v_lshlrev_b64 v[30:31], 1, v[4:5]
	v_cvt_f16_f32_e32 v5, v34
	v_cvt_f16_f32_e32 v28, v28
	;; [unrolled: 1-line block ×4, first 2 shown]
	s_add_i32 s3, s3, 1
	v_add_co_u32 v32, s0, s12, v30
	s_delay_alu instid0(VALU_DEP_1)
	v_add_co_ci_u32_e64 v33, s0, s13, v31, s0
	v_cmp_ge_i32_e64 s0, s3, v7
	v_pack_b32_f16 v31, v34, v29
	v_pack_b32_f16 v30, v5, v28
	;; [unrolled: 1-line block ×4, first 2 shown]
	v_add_nc_u32_e32 v4, 0x100, v4
	v_add_nc_u32_e32 v13, 0x200, v13
	s_or_b32 s2, s0, s2
	global_store_b128 v[32:33], v[28:31], off
	s_and_not1_b32 exec_lo, exec_lo, s2
	s_cbranch_execz .LBB58_12
.LBB58_10:                              ; =>This Inner Loop Header: Depth=1
	ds_load_b128 v[28:31], v13
	s_waitcnt lgkmcnt(0)
	v_lshrrev_b32_e32 v5, 16, v28
	v_lshrrev_b32_e32 v41, 16, v29
	;; [unrolled: 1-line block ×3, first 2 shown]
	v_cvt_f32_f16_e32 v44, v31
	s_delay_alu instid0(VALU_DEP_4) | instskip(NEXT) | instid1(VALU_DEP_3)
	v_cvt_f32_f16_e32 v5, v5
	v_cvt_f32_f16_e32 v42, v42
	s_delay_alu instid0(VALU_DEP_2) | instskip(NEXT) | instid1(VALU_DEP_1)
	v_mul_f32_e32 v32, v5, v5
	v_fma_mix_f32 v32, v28, v28, v32 op_sel_hi:[1,1,0]
	v_cvt_f32_f16_e32 v28, v28
	s_delay_alu instid0(VALU_DEP_2) | instskip(NEXT) | instid1(VALU_DEP_1)
	v_fma_mix_f32 v32, v29, v29, v32 op_sel_hi:[1,1,0]
	v_fma_mix_f32 v32, v29, v29, v32 op_sel:[1,1,0] op_sel_hi:[1,1,0]
	v_cvt_f32_f16_e32 v29, v29
	s_delay_alu instid0(VALU_DEP_2) | instskip(NEXT) | instid1(VALU_DEP_1)
	v_fma_mix_f32 v32, v30, v30, v32 op_sel_hi:[1,1,0]
	v_fma_mix_f32 v32, v30, v30, v32 op_sel:[1,1,0] op_sel_hi:[1,1,0]
	s_delay_alu instid0(VALU_DEP_1) | instskip(NEXT) | instid1(VALU_DEP_1)
	v_fma_mix_f32 v32, v31, v31, v32 op_sel_hi:[1,1,0]
	v_fma_mix_f32 v32, v31, v31, v32 op_sel:[1,1,0] op_sel_hi:[1,1,0]
	v_lshrrev_b32_e32 v31, 16, v30
	ds_bpermute_b32 v33, v15, v32
	s_waitcnt lgkmcnt(0)
	v_add_f32_e32 v32, v32, v33
	ds_bpermute_b32 v33, v16, v32
	s_waitcnt lgkmcnt(0)
	v_add_f32_e32 v32, v32, v33
	;; [unrolled: 3-line block ×5, first 2 shown]
	s_delay_alu instid0(VALU_DEP_1) | instskip(NEXT) | instid1(VALU_DEP_1)
	v_fma_f32 v32, 0x3b800000, v32, s19
	v_dual_mul_f32 v35, 0x4b800000, v32 :: v_dual_add_nc_u32 v34, s3, v6
	v_cmp_gt_f32_e64 s1, 0x800000, v32
	s_delay_alu instid0(VALU_DEP_2) | instskip(NEXT) | instid1(VALU_DEP_2)
	v_cmp_gt_i32_e64 s0, s16, v34
	v_cndmask_b32_e64 v32, v32, v35, s1
	s_delay_alu instid0(VALU_DEP_2)
	v_cndmask_b32_e64 v34, v8, v11, s0
	v_cndmask_b32_e64 v33, v21, v20, s0
	;; [unrolled: 1-line block ×4, first 2 shown]
	v_rsq_f32_e32 v32, v32
	v_cndmask_b32_e64 v35, v23, v22, s0
	v_cndmask_b32_e64 v38, v2, v0, s0
	;; [unrolled: 1-line block ×4, first 2 shown]
	v_cvt_f32_f16_e32 v34, v34
	v_cvt_f32_f16_e32 v33, v33
	;; [unrolled: 1-line block ×5, first 2 shown]
	v_mul_f32_e32 v43, 0x45800000, v32
	v_cvt_f32_f16_e32 v38, v38
	v_cvt_f32_f16_e32 v39, v39
	;; [unrolled: 1-line block ×3, first 2 shown]
	s_delay_alu instid0(VALU_DEP_4) | instskip(SKIP_3) | instid1(VALU_DEP_4)
	v_cndmask_b32_e64 v32, v32, v43, s1
	v_cvt_f32_f16_e32 v43, v30
	v_cvt_f32_f16_e32 v30, v41
	;; [unrolled: 1-line block ×3, first 2 shown]
	v_mul_f32_e32 v34, v32, v34
	v_mul_f32_e32 v38, v32, v38
	;; [unrolled: 1-line block ×7, first 2 shown]
	s_delay_alu instid0(VALU_DEP_4) | instskip(NEXT) | instid1(VALU_DEP_4)
	v_dual_mul_f32 v32, v32, v39 :: v_dual_mul_f32 v35, v37, v29
	v_dual_mul_f32 v33, v36, v30 :: v_dual_mul_f32 v30, v31, v28
	v_mul_f32_e32 v31, v34, v5
	s_delay_alu instid0(VALU_DEP_3)
	v_dual_mul_f32 v28, v45, v41 :: v_dual_mul_f32 v29, v32, v42
	v_mul_f32_e32 v34, v38, v43
	v_mul_f32_e32 v32, v40, v44
	s_and_saveexec_b32 s0, vcc_lo
	s_cbranch_execz .LBB58_9
; %bb.11:                               ;   in Loop: Header=BB58_10 Depth=1
	ds_load_b64 v[36:37], v12
	ds_load_b64 v[38:39], v14
	s_waitcnt lgkmcnt(0)
	v_and_b32_e32 v40, 0xffff0000, v38
	v_lshlrev_b32_e32 v41, 16, v37
	v_and_b32_e32 v5, 0xffff0000, v36
	v_and_b32_e32 v37, 0xffff0000, v37
	v_lshlrev_b32_e32 v38, 16, v38
	v_lshlrev_b32_e32 v42, 16, v39
	v_and_b32_e32 v39, 0xffff0000, v39
	s_delay_alu instid0(VALU_DEP_1) | instskip(SKIP_2) | instid1(VALU_DEP_2)
	v_mul_f32_e32 v46, v29, v39
	v_dual_mul_f32 v29, v29, v37 :: v_dual_lshlrev_b32 v36, 16, v36
	v_mul_f32_e32 v43, v31, v38
	v_mul_f32_e32 v31, v31, v36
	;; [unrolled: 1-line block ×4, first 2 shown]
	s_delay_alu instid0(VALU_DEP_4) | instskip(NEXT) | instid1(VALU_DEP_4)
	v_fma_f32 v36, v30, v36, -v43
	v_fmac_f32_e32 v31, v30, v38
	v_mul_f32_e32 v45, v28, v42
	v_mul_f32_e32 v28, v28, v41
	v_fmac_f32_e32 v40, v33, v5
	v_fma_f32 v35, v35, v5, -v44
	v_fmac_f32_e32 v29, v32, v39
	v_fma_f32 v5, v34, v41, -v45
	s_delay_alu instid0(VALU_DEP_4) | instskip(SKIP_2) | instid1(VALU_DEP_4)
	v_dual_fmac_f32 v28, v34, v42 :: v_dual_mov_b32 v33, v40
	v_fma_f32 v37, v32, v37, -v46
	v_mov_b32_e32 v30, v36
	v_mov_b32_e32 v34, v5
	s_delay_alu instid0(VALU_DEP_3)
	v_mov_b32_e32 v32, v37
	s_branch .LBB58_9
.LBB58_12:
	s_nop 0
	s_sendmsg sendmsg(MSG_DEALLOC_VGPRS)
	s_endpgm
	.section	.rodata,"a",@progbits
	.p2align	6, 0x0
	.amdhsa_kernel _ZN12tensorrt_llm7kernels32fusedQKNormRopeKernelNTokenHeadsIN3c104HalfENS2_8BFloat16ELi256ELb1ELi2EEEvPviiifPKvS7_S7_PKlii
		.amdhsa_group_segment_fixed_size 0
		.amdhsa_private_segment_fixed_size 0
		.amdhsa_kernarg_size 320
		.amdhsa_user_sgpr_count 15
		.amdhsa_user_sgpr_dispatch_ptr 0
		.amdhsa_user_sgpr_queue_ptr 0
		.amdhsa_user_sgpr_kernarg_segment_ptr 1
		.amdhsa_user_sgpr_dispatch_id 0
		.amdhsa_user_sgpr_private_segment_size 0
		.amdhsa_wavefront_size32 1
		.amdhsa_uses_dynamic_stack 0
		.amdhsa_enable_private_segment 0
		.amdhsa_system_sgpr_workgroup_id_x 1
		.amdhsa_system_sgpr_workgroup_id_y 0
		.amdhsa_system_sgpr_workgroup_id_z 0
		.amdhsa_system_sgpr_workgroup_info 0
		.amdhsa_system_vgpr_workitem_id 0
		.amdhsa_next_free_vgpr 47
		.amdhsa_next_free_sgpr 21
		.amdhsa_reserve_vcc 1
		.amdhsa_float_round_mode_32 0
		.amdhsa_float_round_mode_16_64 0
		.amdhsa_float_denorm_mode_32 3
		.amdhsa_float_denorm_mode_16_64 3
		.amdhsa_dx10_clamp 1
		.amdhsa_ieee_mode 1
		.amdhsa_fp16_overflow 0
		.amdhsa_workgroup_processor_mode 1
		.amdhsa_memory_ordered 1
		.amdhsa_forward_progress 0
		.amdhsa_shared_vgpr_count 0
		.amdhsa_exception_fp_ieee_invalid_op 0
		.amdhsa_exception_fp_denorm_src 0
		.amdhsa_exception_fp_ieee_div_zero 0
		.amdhsa_exception_fp_ieee_overflow 0
		.amdhsa_exception_fp_ieee_underflow 0
		.amdhsa_exception_fp_ieee_inexact 0
		.amdhsa_exception_int_div_zero 0
	.end_amdhsa_kernel
	.section	.text._ZN12tensorrt_llm7kernels32fusedQKNormRopeKernelNTokenHeadsIN3c104HalfENS2_8BFloat16ELi256ELb1ELi2EEEvPviiifPKvS7_S7_PKlii,"axG",@progbits,_ZN12tensorrt_llm7kernels32fusedQKNormRopeKernelNTokenHeadsIN3c104HalfENS2_8BFloat16ELi256ELb1ELi2EEEvPviiifPKvS7_S7_PKlii,comdat
.Lfunc_end58:
	.size	_ZN12tensorrt_llm7kernels32fusedQKNormRopeKernelNTokenHeadsIN3c104HalfENS2_8BFloat16ELi256ELb1ELi2EEEvPviiifPKvS7_S7_PKlii, .Lfunc_end58-_ZN12tensorrt_llm7kernels32fusedQKNormRopeKernelNTokenHeadsIN3c104HalfENS2_8BFloat16ELi256ELb1ELi2EEEvPviiifPKvS7_S7_PKlii
                                        ; -- End function
	.section	.AMDGPU.csdata,"",@progbits
; Kernel info:
; codeLenInByte = 2056
; NumSgprs: 23
; NumVgprs: 47
; ScratchSize: 0
; MemoryBound: 0
; FloatMode: 240
; IeeeMode: 1
; LDSByteSize: 0 bytes/workgroup (compile time only)
; SGPRBlocks: 2
; VGPRBlocks: 5
; NumSGPRsForWavesPerEU: 23
; NumVGPRsForWavesPerEU: 47
; Occupancy: 16
; WaveLimiterHint : 0
; COMPUTE_PGM_RSRC2:SCRATCH_EN: 0
; COMPUTE_PGM_RSRC2:USER_SGPR: 15
; COMPUTE_PGM_RSRC2:TRAP_HANDLER: 0
; COMPUTE_PGM_RSRC2:TGID_X_EN: 1
; COMPUTE_PGM_RSRC2:TGID_Y_EN: 0
; COMPUTE_PGM_RSRC2:TGID_Z_EN: 0
; COMPUTE_PGM_RSRC2:TIDIG_COMP_CNT: 0
	.section	.text._ZN12tensorrt_llm7kernels32fusedQKNormRopeKernelNTokenHeadsIN3c104HalfENS2_8BFloat16ELi256ELb0ELi2EEEvPviiifPKvS7_S7_PKlii,"axG",@progbits,_ZN12tensorrt_llm7kernels32fusedQKNormRopeKernelNTokenHeadsIN3c104HalfENS2_8BFloat16ELi256ELb0ELi2EEEvPviiifPKvS7_S7_PKlii,comdat
	.protected	_ZN12tensorrt_llm7kernels32fusedQKNormRopeKernelNTokenHeadsIN3c104HalfENS2_8BFloat16ELi256ELb0ELi2EEEvPviiifPKvS7_S7_PKlii ; -- Begin function _ZN12tensorrt_llm7kernels32fusedQKNormRopeKernelNTokenHeadsIN3c104HalfENS2_8BFloat16ELi256ELb0ELi2EEEvPviiifPKvS7_S7_PKlii
	.globl	_ZN12tensorrt_llm7kernels32fusedQKNormRopeKernelNTokenHeadsIN3c104HalfENS2_8BFloat16ELi256ELb0ELi2EEEvPviiifPKvS7_S7_PKlii
	.p2align	8
	.type	_ZN12tensorrt_llm7kernels32fusedQKNormRopeKernelNTokenHeadsIN3c104HalfENS2_8BFloat16ELi256ELb0ELi2EEEvPviiifPKvS7_S7_PKlii,@function
_ZN12tensorrt_llm7kernels32fusedQKNormRopeKernelNTokenHeadsIN3c104HalfENS2_8BFloat16ELi256ELb0ELi2EEEvPviiifPKvS7_S7_PKlii: ; @_ZN12tensorrt_llm7kernels32fusedQKNormRopeKernelNTokenHeadsIN3c104HalfENS2_8BFloat16ELi256ELb0ELi2EEEvPviiifPKvS7_S7_PKlii
; %bb.0:
	s_clause 0x1
	s_load_b128 s[16:19], s[0:1], 0x8
	s_load_b64 s[2:3], s[0:1], 0x38
	s_waitcnt lgkmcnt(0)
	s_add_i32 s4, s17, s16
	s_delay_alu instid0(SALU_CYCLE_1) | instskip(NEXT) | instid1(SALU_CYCLE_1)
	s_add_i32 s5, s4, 1
	s_lshr_b32 s6, s5, 31
	s_delay_alu instid0(SALU_CYCLE_1) | instskip(NEXT) | instid1(SALU_CYCLE_1)
	s_add_i32 s5, s5, s6
	s_ashr_i32 s14, s5, 1
	s_load_b32 s5, s[0:1], 0x4c
	s_abs_i32 s6, s14
	s_delay_alu instid0(SALU_CYCLE_1) | instskip(SKIP_1) | instid1(VALU_DEP_1)
	v_cvt_f32_u32_e32 v1, s6
	s_sub_i32 s7, 0, s6
	v_rcp_iflag_f32_e32 v1, v1
	s_waitcnt_depctr 0xfff
	v_mul_f32_e32 v1, 0x4f7ffffe, v1
	s_waitcnt lgkmcnt(0)
	s_bfe_u32 s5, s5, 0xb0005
	s_delay_alu instid0(VALU_DEP_1) | instskip(SKIP_1) | instid1(VALU_DEP_2)
	v_cvt_u32_f32_e32 v4, v1
	v_lshrrev_b32_e32 v1, 5, v0
	v_mul_lo_u32 v5, s7, v4
	s_delay_alu instid0(VALU_DEP_2) | instskip(NEXT) | instid1(VALU_DEP_2)
	v_mad_u64_u32 v[2:3], null, s15, s5, v[1:2]
	v_mul_hi_u32 v3, v4, v5
	s_delay_alu instid0(VALU_DEP_2) | instskip(NEXT) | instid1(VALU_DEP_1)
	v_sub_nc_u32_e32 v5, 0, v2
	v_max_i32_e32 v5, v2, v5
	s_delay_alu instid0(VALU_DEP_3) | instskip(NEXT) | instid1(VALU_DEP_1)
	v_add_nc_u32_e32 v3, v4, v3
	v_mul_hi_u32 v3, v5, v3
	s_delay_alu instid0(VALU_DEP_1) | instskip(NEXT) | instid1(VALU_DEP_1)
	v_mul_lo_u32 v4, v3, s6
	v_sub_nc_u32_e32 v4, v5, v4
	v_add_nc_u32_e32 v5, 1, v3
	s_delay_alu instid0(VALU_DEP_2) | instskip(SKIP_1) | instid1(VALU_DEP_2)
	v_subrev_nc_u32_e32 v6, s6, v4
	v_cmp_le_u32_e32 vcc_lo, s6, v4
	v_dual_cndmask_b32 v4, v4, v6 :: v_dual_cndmask_b32 v3, v3, v5
	v_xor_b32_e32 v5, s14, v2
	s_delay_alu instid0(VALU_DEP_2) | instskip(NEXT) | instid1(VALU_DEP_3)
	v_cmp_le_u32_e32 vcc_lo, s6, v4
	v_add_nc_u32_e32 v6, 1, v3
	s_delay_alu instid0(VALU_DEP_3) | instskip(NEXT) | instid1(VALU_DEP_2)
	v_ashrrev_i32_e32 v5, 31, v5
	v_cndmask_b32_e32 v3, v3, v6, vcc_lo
	s_delay_alu instid0(VALU_DEP_1) | instskip(NEXT) | instid1(VALU_DEP_1)
	v_xor_b32_e32 v3, v3, v5
	v_sub_nc_u32_e32 v8, v3, v5
	s_delay_alu instid0(VALU_DEP_1)
	v_cmp_gt_i32_e32 vcc_lo, s2, v8
	s_and_saveexec_b32 s2, vcc_lo
	s_cbranch_execz .LBB59_12
; %bb.1:
	v_mul_lo_u32 v3, v8, s14
	s_load_b64 s[12:13], s[0:1], 0x0
	v_and_b32_e32 v19, 31, v0
	v_lshlrev_b32_e32 v14, 10, v1
	v_lshlrev_b32_e32 v13, 9, v2
	s_lshl_b32 s20, s3, 1
	s_delay_alu instid0(VALU_DEP_3) | instskip(SKIP_2) | instid1(VALU_DEP_1)
	v_lshlrev_b32_e32 v12, 4, v19
	v_sub_nc_u32_e32 v3, v2, v3
	s_mul_i32 s15, s20, s5
	v_lshlrev_b32_e32 v10, 1, v3
	s_delay_alu instid0(VALU_DEP_1) | instskip(SKIP_1) | instid1(VALU_DEP_2)
	v_add_nc_u32_e32 v3, 2, v10
	v_sub_nc_u32_e32 v4, s4, v10
	v_cmp_lt_i32_e32 vcc_lo, s4, v3
	s_delay_alu instid0(VALU_DEP_2) | instskip(NEXT) | instid1(VALU_DEP_1)
	v_cndmask_b32_e32 v11, 2, v4, vcc_lo
	v_cmp_lt_i32_e32 vcc_lo, 0, v11
	s_and_saveexec_b32 s4, vcc_lo
	s_cbranch_execz .LBB59_4
; %bb.2:
	s_add_i32 s2, s18, s17
	s_lshl_b32 s5, s14, 1
	s_add_i32 s2, s2, s16
	s_mov_b32 s6, 0
	s_sub_i32 s2, s2, s5
	s_mov_b32 s5, 0
	v_mul_lo_u32 v2, s2, v8
	s_add_i32 s2, s15, 0
	s_delay_alu instid0(SALU_CYCLE_1) | instskip(NEXT) | instid1(VALU_DEP_2)
	v_add3_u32 v4, s2, v14, v12
	v_lshl_add_u32 v2, v2, 8, v13
	s_delay_alu instid0(VALU_DEP_1)
	v_lshl_or_b32 v2, v19, 3, v2
	.p2align	6
.LBB59_3:                               ; =>This Inner Loop Header: Depth=1
	s_delay_alu instid0(VALU_DEP_1) | instskip(SKIP_1) | instid1(VALU_DEP_1)
	v_ashrrev_i32_e32 v3, 31, v2
	s_add_i32 s6, s6, 1
	v_lshlrev_b64 v[5:6], 1, v[2:3]
	v_add_nc_u32_e32 v2, 0x100, v2
	s_waitcnt lgkmcnt(0)
	s_delay_alu instid0(VALU_DEP_2) | instskip(NEXT) | instid1(VALU_DEP_1)
	v_add_co_u32 v5, s2, s12, v5
	v_add_co_ci_u32_e64 v6, s2, s13, v6, s2
	v_cmp_ge_i32_e64 s2, s6, v11
	global_load_b128 v[15:18], v[5:6], off
	s_or_b32 s5, s2, s5
	s_waitcnt vmcnt(0)
	ds_store_b128 v4, v[15:18]
	v_add_nc_u32_e32 v4, 0x200, v4
	s_and_not1_b32 exec_lo, exec_lo, s5
	s_cbranch_execnz .LBB59_3
.LBB59_4:
	s_or_b32 exec_lo, exec_lo, s4
	s_load_b256 s[4:11], s[0:1], 0x18
	s_add_i32 s0, s20, 15
	v_mul_lo_u32 v15, v1, s3
	s_ashr_i32 s1, s0, 31
	s_mov_b32 s20, exec_lo
	s_lshr_b32 s1, s1, 28
	s_delay_alu instid0(SALU_CYCLE_1) | instskip(NEXT) | instid1(SALU_CYCLE_1)
	s_add_i32 s0, s0, s1
	s_ashr_i32 s2, s0, 4
	s_delay_alu instid0(SALU_CYCLE_1)
	v_cmpx_gt_i32_e64 s2, v19
	s_cbranch_execz .LBB59_7
; %bb.5:
	v_ashrrev_i32_e32 v9, 31, v8
	s_delay_alu instid0(VALU_DEP_1) | instskip(SKIP_1) | instid1(VALU_DEP_1)
	v_lshlrev_b64 v[1:2], 3, v[8:9]
	s_waitcnt lgkmcnt(0)
	v_add_co_u32 v1, s0, s10, v1
	s_delay_alu instid0(VALU_DEP_1)
	v_add_co_ci_u32_e64 v2, s0, s11, v2, s0
	s_ashr_i32 s0, s3, 31
	global_load_b64 v[1:2], v[1:2], off
	s_waitcnt vmcnt(0)
	v_mul_lo_u32 v4, v2, s3
	v_mul_lo_u32 v5, v1, s0
	v_mad_u64_u32 v[2:3], null, v1, s3, 0
	s_delay_alu instid0(VALU_DEP_1) | instskip(SKIP_1) | instid1(VALU_DEP_2)
	v_add3_u32 v3, v3, v5, v4
	v_and_b32_e32 v4, 31, v0
	v_lshlrev_b64 v[0:1], 1, v[2:3]
	s_delay_alu instid0(VALU_DEP_2) | instskip(SKIP_1) | instid1(VALU_DEP_2)
	v_lshlrev_b32_e32 v2, 4, v4
	v_lshlrev_b32_e32 v3, 1, v15
	v_add_co_u32 v0, s0, v0, v2
	s_delay_alu instid0(VALU_DEP_1) | instskip(NEXT) | instid1(VALU_DEP_3)
	v_add_co_ci_u32_e64 v1, s0, 0, v1, s0
	v_add3_u32 v2, v3, v12, 0
	v_mov_b32_e32 v3, v19
	s_delay_alu instid0(VALU_DEP_4) | instskip(NEXT) | instid1(VALU_DEP_1)
	v_add_co_u32 v0, s0, s8, v0
	v_add_co_ci_u32_e64 v1, s0, s9, v1, s0
	s_mov_b32 s8, 0
	.p2align	6
.LBB59_6:                               ; =>This Inner Loop Header: Depth=1
	global_load_b128 v[4:7], v[0:1], off
	v_add_nc_u32_e32 v3, 32, v3
	v_add_co_u32 v0, s0, 0x200, v0
	s_delay_alu instid0(VALU_DEP_1) | instskip(NEXT) | instid1(VALU_DEP_3)
	v_add_co_ci_u32_e64 v1, s0, 0, v1, s0
	v_cmp_le_i32_e64 s1, s2, v3
	s_delay_alu instid0(VALU_DEP_1)
	s_or_b32 s8, s1, s8
	s_waitcnt vmcnt(0)
	ds_store_b128 v2, v[4:7]
	v_add_nc_u32_e32 v2, 0x200, v2
	s_and_not1_b32 exec_lo, exec_lo, s8
	s_cbranch_execnz .LBB59_6
.LBB59_7:
	s_or_b32 exec_lo, exec_lo, s20
	s_delay_alu instid0(SALU_CYCLE_1)
	s_and_b32 exec_lo, exec_lo, vcc_lo
	s_cbranch_execz .LBB59_12
; %bb.8:
	s_waitcnt lgkmcnt(0)
	s_clause 0x1
	global_load_b128 v[0:3], v12, s[4:5]
	global_load_b128 v[4:7], v12, s[6:7]
	s_abs_i32 s2, s3
	v_add_nc_u32_e32 v43, s15, v14
	v_cvt_f32_u32_e32 v14, s2
	v_lshl_add_u32 v9, v15, 1, 0
	v_mbcnt_lo_u32_b32 v15, -1, 0
	s_lshr_b32 s0, s3, 31
	s_ashr_i32 s1, s3, 31
	v_rcp_iflag_f32_e32 v14, v14
	s_add_i32 s0, s3, s0
	s_lshr_b32 s6, s1, 29
	s_lshr_b32 s1, s1, 28
	v_xor_b32_e32 v16, 16, v15
	s_and_b32 s0, s0, -2
	s_add_i32 s6, s3, s6
	s_add_i32 s1, s3, s1
	s_sub_i32 s7, 0, s2
	v_add_nc_u32_e32 v34, s0, v9
	s_waitcnt_depctr 0xfff
	v_mul_f32_e32 v14, 0x4f7ffffe, v14
	s_ashr_i32 s0, s6, 3
	s_ashr_i32 s1, s1, 4
	v_xor_b32_e32 v17, 8, v15
	v_cmp_gt_i32_e32 vcc_lo, s0, v19
	v_cvt_u32_f32_e32 v29, v14
	v_xor_b32_e32 v14, s1, v15
	v_cmp_gt_i32_e64 s0, s1, v19
	v_cmp_gt_i32_e64 s1, 32, v16
	s_add_i32 s4, s18, s17
	v_mul_lo_u32 v30, s7, v29
	s_lshl_b32 s5, s14, 1
	s_add_i32 s4, s4, s16
	v_xor_b32_e32 v18, 4, v15
	s_sub_i32 s3, s4, s5
	v_cndmask_b32_e64 v16, v15, v16, s1
	v_cmp_gt_i32_e64 s1, 32, v17
	v_mul_lo_u32 v8, s3, v8
	v_mul_hi_u32 v30, v29, v30
	v_xor_b32_e32 v27, 2, v15
	v_xor_b32_e32 v28, 1, v15
	v_cndmask_b32_e64 v17, v15, v17, s1
	v_cmp_gt_i32_e64 s1, 32, v18
	v_or_b32_e32 v20, 2, v12
	v_or_b32_e32 v21, 4, v12
	v_lshl_add_u32 v8, v8, 8, v13
	v_lshlrev_b32_e32 v13, 2, v16
	v_cndmask_b32_e64 v18, v15, v18, s1
	v_cmp_gt_i32_e64 s1, 32, v27
	v_add_nc_u32_e32 v29, v29, v30
	v_lshl_or_b32 v8, v19, 3, v8
	v_or_b32_e32 v22, 6, v12
	v_or_b32_e32 v23, 8, v12
	v_cndmask_b32_e64 v27, v15, v27, s1
	v_cmp_gt_i32_e64 s1, 32, v28
	v_mul_hi_u32 v19, v12, v29
	v_or_b32_e32 v24, 10, v12
	v_or_b32_e32 v25, 12, v12
	v_lshlrev_b32_e32 v16, 2, v27
	v_cndmask_b32_e64 v28, v15, v28, s1
	v_cmp_gt_i32_e64 s1, 32, v14
	v_mul_hi_u32 v27, v20, v29
	v_or_b32_e32 v26, 14, v12
	v_mul_lo_u32 v19, v19, s2
	v_mul_hi_u32 v30, v22, v29
	v_cndmask_b32_e64 v31, v15, v14, s1
	v_lshlrev_b32_e32 v14, 2, v17
	v_lshlrev_b32_e32 v17, 2, v28
	v_mul_hi_u32 v28, v21, v29
	v_mul_lo_u32 v27, v27, s2
	v_lshlrev_b32_e32 v15, 2, v18
	v_lshlrev_b32_e32 v18, 2, v31
	v_mul_hi_u32 v31, v23, v29
	v_mul_hi_u32 v32, v24, v29
	;; [unrolled: 1-line block ×4, first 2 shown]
	v_sub_nc_u32_e32 v19, v12, v19
	v_mul_lo_u32 v28, v28, s2
	v_sub_nc_u32_e32 v20, v20, v27
	v_mul_lo_u32 v30, v30, s2
	v_mul_lo_u32 v31, v31, s2
	v_subrev_nc_u32_e32 v27, s2, v19
	v_cmp_le_u32_e64 s1, s2, v19
	v_mul_lo_u32 v29, v29, s2
	v_mul_lo_u32 v32, v32, s2
	v_sub_nc_u32_e32 v21, v21, v28
	v_subrev_nc_u32_e32 v28, s2, v20
	v_cndmask_b32_e64 v19, v19, v27, s1
	v_cmp_le_u32_e64 s1, s2, v20
	v_sub_nc_u32_e32 v22, v22, v30
	v_sub_nc_u32_e32 v23, v23, v31
	;; [unrolled: 1-line block ×3, first 2 shown]
	v_subrev_nc_u32_e32 v29, s2, v21
	v_cndmask_b32_e64 v20, v20, v28, s1
	v_cmp_le_u32_e64 s1, s2, v21
	v_subrev_nc_u32_e32 v30, s2, v22
	v_mul_lo_u32 v33, v33, s2
	v_sub_nc_u32_e32 v24, v24, v32
	v_subrev_nc_u32_e32 v31, s2, v23
	v_cndmask_b32_e64 v21, v21, v29, s1
	v_cmp_le_u32_e64 s1, s2, v22
	v_subrev_nc_u32_e32 v35, s2, v26
	v_subrev_nc_u32_e32 v32, s2, v24
	;; [unrolled: 1-line block ×3, first 2 shown]
	v_sub_nc_u32_e32 v25, v25, v33
	v_cndmask_b32_e64 v22, v22, v30, s1
	v_cmp_le_u32_e64 s1, s2, v23
	v_subrev_nc_u32_e32 v28, s2, v20
	v_subrev_nc_u32_e32 v29, s2, v21
	;; [unrolled: 1-line block ×4, first 2 shown]
	v_cndmask_b32_e64 v23, v23, v31, s1
	v_cmp_le_u32_e64 s1, s2, v24
	v_add3_u32 v12, v43, v12, 0
	s_mov_b32 s3, 0
	s_mov_b32 s4, 0
	v_subrev_nc_u32_e32 v31, s2, v23
	v_cndmask_b32_e64 v24, v24, v32, s1
	v_cmp_le_u32_e64 s1, s2, v25
	s_delay_alu instid0(VALU_DEP_2) | instskip(NEXT) | instid1(VALU_DEP_2)
	v_subrev_nc_u32_e32 v32, s2, v24
	v_cndmask_b32_e64 v25, v25, v33, s1
	v_cmp_le_u32_e64 s1, s2, v26
	s_delay_alu instid0(VALU_DEP_2) | instskip(NEXT) | instid1(VALU_DEP_2)
	;; [unrolled: 4-line block ×4, first 2 shown]
	v_and_b32_e32 v27, -2, v19
	v_cndmask_b32_e64 v20, v20, v28, s1
	v_cmp_le_u32_e64 s1, s2, v21
	s_delay_alu instid0(VALU_DEP_3) | instskip(NEXT) | instid1(VALU_DEP_3)
	v_add_nc_u32_e32 v19, v9, v27
	v_and_b32_e32 v28, -2, v20
	s_delay_alu instid0(VALU_DEP_3) | instskip(SKIP_2) | instid1(VALU_DEP_3)
	v_cndmask_b32_e64 v21, v21, v29, s1
	v_cmp_le_u32_e64 s1, s2, v22
	v_add_nc_u32_e32 v20, v34, v27
	v_and_b32_e32 v29, -2, v21
	s_delay_alu instid0(VALU_DEP_3) | instskip(SKIP_2) | instid1(VALU_DEP_3)
	v_cndmask_b32_e64 v22, v22, v30, s1
	v_cmp_le_u32_e64 s1, s2, v23
	;; [unrolled: 5-line block ×3, first 2 shown]
	v_add_nc_u32_e32 v22, v34, v28
	v_and_b32_e32 v31, -2, v23
	s_delay_alu instid0(VALU_DEP_3) | instskip(SKIP_2) | instid1(VALU_DEP_4)
	v_cndmask_b32_e64 v24, v24, v32, s1
	v_cmp_le_u32_e64 s1, s2, v25
	v_add_nc_u32_e32 v23, v9, v29
	v_add_nc_u32_e32 v27, v9, v31
	s_delay_alu instid0(VALU_DEP_4) | instskip(NEXT) | instid1(VALU_DEP_4)
	v_and_b32_e32 v32, -2, v24
	v_cndmask_b32_e64 v25, v25, v33, s1
	v_cmp_le_u32_e64 s1, s2, v26
	v_add_nc_u32_e32 v24, v34, v29
	v_add_nc_u32_e32 v28, v34, v31
	;; [unrolled: 1-line block ×3, first 2 shown]
	v_and_b32_e32 v33, -2, v25
	v_cndmask_b32_e64 v26, v26, v35, s1
	v_add_nc_u32_e32 v25, v9, v30
	s_delay_alu instid0(VALU_DEP_3) | instskip(NEXT) | instid1(VALU_DEP_3)
	v_add_nc_u32_e32 v31, v9, v33
	v_and_b32_e32 v35, -2, v26
	v_add_nc_u32_e32 v26, v34, v30
	v_add_nc_u32_e32 v30, v34, v32
	;; [unrolled: 1-line block ×3, first 2 shown]
	s_delay_alu instid0(VALU_DEP_4)
	v_add_nc_u32_e32 v33, v9, v35
	v_add_nc_u32_e32 v34, v34, v35
	s_waitcnt vmcnt(1)
	v_lshrrev_b32_e32 v35, 16, v0
	v_lshrrev_b32_e32 v36, 16, v1
	;; [unrolled: 1-line block ×4, first 2 shown]
	s_waitcnt vmcnt(0)
	v_lshrrev_b32_e32 v39, 16, v4
	v_lshrrev_b32_e32 v40, 16, v5
	;; [unrolled: 1-line block ×4, first 2 shown]
	s_branch .LBB59_10
.LBB59_9:                               ;   in Loop: Header=BB59_10 Depth=1
	s_or_b32 exec_lo, exec_lo, s1
	v_ashrrev_i32_e32 v9, 31, v8
	v_cvt_f16_f32_e32 v51, v48
	v_cvt_f16_f32_e32 v52, v47
	;; [unrolled: 1-line block ×4, first 2 shown]
	v_lshlrev_b64 v[47:48], 1, v[8:9]
	v_cvt_f16_f32_e32 v9, v44
	v_cvt_f16_f32_e32 v44, v45
	;; [unrolled: 1-line block ×4, first 2 shown]
	s_add_i32 s4, s4, 1
	v_add_co_u32 v47, s1, s12, v47
	s_delay_alu instid0(VALU_DEP_1)
	v_add_co_ci_u32_e64 v48, s1, s13, v48, s1
	v_cmp_ge_i32_e64 s1, s4, v11
	v_pack_b32_f16 v46, v45, v43
	v_pack_b32_f16 v45, v9, v44
	;; [unrolled: 1-line block ×4, first 2 shown]
	v_add_nc_u32_e32 v8, 0x100, v8
	v_add_nc_u32_e32 v12, 0x200, v12
	s_or_b32 s3, s1, s3
	global_store_b128 v[47:48], v[43:46], off
	s_and_not1_b32 exec_lo, exec_lo, s3
	s_cbranch_execz .LBB59_12
.LBB59_10:                              ; =>This Inner Loop Header: Depth=1
	ds_load_b128 v[43:46], v12
	v_add_nc_u32_e32 v49, s4, v10
	s_delay_alu instid0(VALU_DEP_1) | instskip(NEXT) | instid1(VALU_DEP_1)
	v_cmp_gt_i32_e64 s1, s16, v49
	v_cndmask_b32_e64 v50, v39, v35, s1
	v_cndmask_b32_e64 v52, v40, v36, s1
	;; [unrolled: 1-line block ×5, first 2 shown]
	v_cvt_f32_f16_e32 v50, v50
	v_cndmask_b32_e64 v55, v42, v38, s1
	v_cvt_f32_f16_e32 v52, v52
	v_cvt_f32_f16_e32 v51, v51
	s_waitcnt lgkmcnt(0)
	v_lshrrev_b32_e32 v9, 16, v43
	v_cvt_f32_f16_e32 v56, v44
	v_lshrrev_b32_e32 v59, 16, v46
	v_cvt_f32_f16_e32 v53, v53
	v_cvt_f32_f16_e32 v54, v54
	v_cvt_f32_f16_e32 v9, v9
	v_cvt_f32_f16_e32 v55, v55
	v_cvt_f32_f16_e32 v58, v45
	s_delay_alu instid0(VALU_DEP_3) | instskip(NEXT) | instid1(VALU_DEP_1)
	v_mul_f32_e32 v47, v9, v9
	v_fma_mix_f32 v47, v43, v43, v47 op_sel_hi:[1,1,0]
	v_cvt_f32_f16_e32 v43, v43
	s_delay_alu instid0(VALU_DEP_2) | instskip(NEXT) | instid1(VALU_DEP_1)
	v_fma_mix_f32 v47, v44, v44, v47 op_sel_hi:[1,1,0]
	v_fma_mix_f32 v47, v44, v44, v47 op_sel:[1,1,0] op_sel_hi:[1,1,0]
	v_lshrrev_b32_e32 v44, 16, v44
	s_delay_alu instid0(VALU_DEP_2) | instskip(NEXT) | instid1(VALU_DEP_2)
	v_fma_mix_f32 v47, v45, v45, v47 op_sel_hi:[1,1,0]
	v_cvt_f32_f16_e32 v44, v44
	s_delay_alu instid0(VALU_DEP_2) | instskip(SKIP_1) | instid1(VALU_DEP_2)
	v_fma_mix_f32 v47, v45, v45, v47 op_sel:[1,1,0] op_sel_hi:[1,1,0]
	v_lshrrev_b32_e32 v45, 16, v45
	v_fma_mix_f32 v47, v46, v46, v47 op_sel_hi:[1,1,0]
	s_delay_alu instid0(VALU_DEP_2) | instskip(NEXT) | instid1(VALU_DEP_2)
	v_cvt_f32_f16_e32 v45, v45
	v_fma_mix_f32 v47, v46, v46, v47 op_sel:[1,1,0] op_sel_hi:[1,1,0]
	v_cvt_f32_f16_e32 v46, v46
	ds_bpermute_b32 v48, v13, v47
	s_waitcnt lgkmcnt(0)
	v_add_f32_e32 v47, v47, v48
	ds_bpermute_b32 v48, v14, v47
	s_waitcnt lgkmcnt(0)
	v_add_f32_e32 v47, v47, v48
	;; [unrolled: 3-line block ×5, first 2 shown]
	v_cndmask_b32_e64 v48, v4, v0, s1
	s_delay_alu instid0(VALU_DEP_2) | instskip(NEXT) | instid1(VALU_DEP_2)
	v_fma_f32 v47, 0x3b800000, v47, s19
	v_cvt_f32_f16_e32 v48, v48
	s_delay_alu instid0(VALU_DEP_2) | instskip(SKIP_1) | instid1(VALU_DEP_1)
	v_mul_f32_e32 v49, 0x4b800000, v47
	v_cmp_gt_f32_e64 s2, 0x800000, v47
	v_cndmask_b32_e64 v47, v47, v49, s2
	v_cndmask_b32_e64 v49, v6, v2, s1
	s_delay_alu instid0(VALU_DEP_2) | instskip(NEXT) | instid1(VALU_DEP_1)
	v_rsq_f32_e32 v47, v47
	v_cvt_f32_f16_e32 v49, v49
	s_waitcnt_depctr 0xfff
	v_mul_f32_e32 v57, 0x45800000, v47
	s_delay_alu instid0(VALU_DEP_1) | instskip(SKIP_1) | instid1(VALU_DEP_2)
	v_cndmask_b32_e64 v47, v47, v57, s2
	v_cvt_f32_f16_e32 v57, v59
	v_mul_f32_e32 v52, v47, v52
	v_mul_f32_e32 v48, v47, v48
	;; [unrolled: 1-line block ×6, first 2 shown]
	v_dual_mul_f32 v54, v47, v54 :: v_dual_mul_f32 v49, v48, v43
	v_dual_mul_f32 v55, v47, v55 :: v_dual_mul_f32 v50, v50, v9
	v_mul_f32_e32 v48, v51, v56
	v_dual_mul_f32 v47, v52, v44 :: v_dual_mul_f32 v44, v59, v58
	s_delay_alu instid0(VALU_DEP_4) | instskip(NEXT) | instid1(VALU_DEP_4)
	v_dual_mul_f32 v45, v53, v45 :: v_dual_mul_f32 v46, v54, v46
	v_mul_f32_e32 v43, v55, v57
	s_and_saveexec_b32 s1, vcc_lo
	s_cbranch_execz .LBB59_9
; %bb.11:                               ;   in Loop: Header=BB59_10 Depth=1
	; wave barrier
	ds_bpermute_b32 v9, v18, v49
	ds_load_u16 v51, v19
	ds_load_u16 v52, v20
	ds_bpermute_b32 v53, v18, v50
	ds_load_u16 v54, v21
	ds_load_u16 v55, v22
	;; [unrolled: 1-line block ×4, first 2 shown]
	ds_bpermute_b32 v56, v18, v48
	ds_bpermute_b32 v59, v18, v47
	ds_load_u16 v60, v25
	ds_load_u16 v61, v26
	ds_bpermute_b32 v62, v18, v44
	ds_load_u16 v63, v27
	ds_load_u16 v64, v28
	;; [unrolled: 1-line block ×8, first 2 shown]
	ds_bpermute_b32 v65, v18, v43
	; wave barrier
	s_waitcnt lgkmcnt(21)
	v_cndmask_b32_e64 v9, v9, -v9, s0
	s_waitcnt lgkmcnt(19)
	v_lshlrev_b32_e32 v52, 16, v52
	s_waitcnt lgkmcnt(18)
	v_cndmask_b32_e64 v53, v53, -v53, s0
	s_waitcnt lgkmcnt(16)
	v_lshlrev_b32_e32 v55, 16, v55
	v_lshlrev_b32_e32 v54, 16, v54
	s_waitcnt lgkmcnt(13)
	v_cndmask_b32_e64 v56, v56, -v56, s0
	v_mul_f32_e32 v9, v9, v52
	v_dual_mul_f32 v52, v53, v55 :: v_dual_lshlrev_b32 v53, 16, v57
	ds_bpermute_b32 v55, v18, v45
	ds_bpermute_b32 v57, v18, v46
	v_dual_fmac_f32 v52, v50, v54 :: v_dual_lshlrev_b32 v51, 16, v51
	s_waitcnt lgkmcnt(14)
	v_cndmask_b32_e64 v50, v59, -v59, s0
	s_waitcnt lgkmcnt(11)
	v_cndmask_b32_e64 v54, v62, -v62, s0
	s_waitcnt lgkmcnt(2)
	v_cndmask_b32_e64 v59, v65, -v65, s0
	v_fmac_f32_e32 v9, v49, v51
	v_dual_mul_f32 v51, v56, v53 :: v_dual_lshlrev_b32 v56, 16, v64
	s_delay_alu instid0(VALU_DEP_1) | instskip(NEXT) | instid1(VALU_DEP_1)
	v_dual_mul_f32 v54, v54, v56 :: v_dual_lshlrev_b32 v53, 16, v61
	v_dual_mul_f32 v53, v50, v53 :: v_dual_lshlrev_b32 v56, 16, v67
	s_waitcnt lgkmcnt(1)
	v_cndmask_b32_e64 v50, v55, -v55, s0
	v_lshlrev_b32_e32 v49, 16, v58
	s_waitcnt lgkmcnt(0)
	v_cndmask_b32_e64 v57, v57, -v57, s0
	s_delay_alu instid0(VALU_DEP_2) | instskip(SKIP_4) | instid1(VALU_DEP_4)
	v_dual_mul_f32 v56, v50, v56 :: v_dual_fmac_f32 v51, v48, v49
	v_lshlrev_b32_e32 v48, 16, v60
	v_lshlrev_b32_e32 v60, 16, v71
	;; [unrolled: 1-line block ×4, first 2 shown]
	v_fmac_f32_e32 v53, v47, v48
	s_delay_alu instid0(VALU_DEP_4) | instskip(NEXT) | instid1(VALU_DEP_4)
	v_mul_f32_e32 v59, v59, v60
	v_mul_f32_e32 v57, v57, v58
	v_lshlrev_b32_e32 v58, 16, v70
	v_lshlrev_b32_e32 v50, 16, v68
	v_dual_mov_b32 v48, v51 :: v_dual_mov_b32 v47, v53
	s_delay_alu instid0(VALU_DEP_3) | instskip(NEXT) | instid1(VALU_DEP_3)
	v_fmac_f32_e32 v59, v43, v58
	v_dual_fmac_f32 v57, v46, v50 :: v_dual_mov_b32 v50, v52
	v_dual_fmac_f32 v54, v44, v49 :: v_dual_lshlrev_b32 v55, 16, v66
	v_mov_b32_e32 v49, v9
	s_delay_alu instid0(VALU_DEP_3) | instskip(NEXT) | instid1(VALU_DEP_3)
	v_dual_mov_b32 v46, v57 :: v_dual_mov_b32 v43, v59
	v_fmac_f32_e32 v56, v45, v55
	s_delay_alu instid0(VALU_DEP_1)
	v_dual_mov_b32 v44, v54 :: v_dual_mov_b32 v45, v56
	s_branch .LBB59_9
.LBB59_12:
	s_nop 0
	s_sendmsg sendmsg(MSG_DEALLOC_VGPRS)
	s_endpgm
	.section	.rodata,"a",@progbits
	.p2align	6, 0x0
	.amdhsa_kernel _ZN12tensorrt_llm7kernels32fusedQKNormRopeKernelNTokenHeadsIN3c104HalfENS2_8BFloat16ELi256ELb0ELi2EEEvPviiifPKvS7_S7_PKlii
		.amdhsa_group_segment_fixed_size 0
		.amdhsa_private_segment_fixed_size 0
		.amdhsa_kernarg_size 320
		.amdhsa_user_sgpr_count 15
		.amdhsa_user_sgpr_dispatch_ptr 0
		.amdhsa_user_sgpr_queue_ptr 0
		.amdhsa_user_sgpr_kernarg_segment_ptr 1
		.amdhsa_user_sgpr_dispatch_id 0
		.amdhsa_user_sgpr_private_segment_size 0
		.amdhsa_wavefront_size32 1
		.amdhsa_uses_dynamic_stack 0
		.amdhsa_enable_private_segment 0
		.amdhsa_system_sgpr_workgroup_id_x 1
		.amdhsa_system_sgpr_workgroup_id_y 0
		.amdhsa_system_sgpr_workgroup_id_z 0
		.amdhsa_system_sgpr_workgroup_info 0
		.amdhsa_system_vgpr_workitem_id 0
		.amdhsa_next_free_vgpr 72
		.amdhsa_next_free_sgpr 21
		.amdhsa_reserve_vcc 1
		.amdhsa_float_round_mode_32 0
		.amdhsa_float_round_mode_16_64 0
		.amdhsa_float_denorm_mode_32 3
		.amdhsa_float_denorm_mode_16_64 3
		.amdhsa_dx10_clamp 1
		.amdhsa_ieee_mode 1
		.amdhsa_fp16_overflow 0
		.amdhsa_workgroup_processor_mode 1
		.amdhsa_memory_ordered 1
		.amdhsa_forward_progress 0
		.amdhsa_shared_vgpr_count 0
		.amdhsa_exception_fp_ieee_invalid_op 0
		.amdhsa_exception_fp_denorm_src 0
		.amdhsa_exception_fp_ieee_div_zero 0
		.amdhsa_exception_fp_ieee_overflow 0
		.amdhsa_exception_fp_ieee_underflow 0
		.amdhsa_exception_fp_ieee_inexact 0
		.amdhsa_exception_int_div_zero 0
	.end_amdhsa_kernel
	.section	.text._ZN12tensorrt_llm7kernels32fusedQKNormRopeKernelNTokenHeadsIN3c104HalfENS2_8BFloat16ELi256ELb0ELi2EEEvPviiifPKvS7_S7_PKlii,"axG",@progbits,_ZN12tensorrt_llm7kernels32fusedQKNormRopeKernelNTokenHeadsIN3c104HalfENS2_8BFloat16ELi256ELb0ELi2EEEvPviiifPKvS7_S7_PKlii,comdat
.Lfunc_end59:
	.size	_ZN12tensorrt_llm7kernels32fusedQKNormRopeKernelNTokenHeadsIN3c104HalfENS2_8BFloat16ELi256ELb0ELi2EEEvPviiifPKvS7_S7_PKlii, .Lfunc_end59-_ZN12tensorrt_llm7kernels32fusedQKNormRopeKernelNTokenHeadsIN3c104HalfENS2_8BFloat16ELi256ELb0ELi2EEEvPviiifPKvS7_S7_PKlii
                                        ; -- End function
	.section	.AMDGPU.csdata,"",@progbits
; Kernel info:
; codeLenInByte = 3036
; NumSgprs: 23
; NumVgprs: 72
; ScratchSize: 0
; MemoryBound: 0
; FloatMode: 240
; IeeeMode: 1
; LDSByteSize: 0 bytes/workgroup (compile time only)
; SGPRBlocks: 2
; VGPRBlocks: 8
; NumSGPRsForWavesPerEU: 23
; NumVGPRsForWavesPerEU: 72
; Occupancy: 16
; WaveLimiterHint : 0
; COMPUTE_PGM_RSRC2:SCRATCH_EN: 0
; COMPUTE_PGM_RSRC2:USER_SGPR: 15
; COMPUTE_PGM_RSRC2:TRAP_HANDLER: 0
; COMPUTE_PGM_RSRC2:TGID_X_EN: 1
; COMPUTE_PGM_RSRC2:TGID_Y_EN: 0
; COMPUTE_PGM_RSRC2:TGID_Z_EN: 0
; COMPUTE_PGM_RSRC2:TIDIG_COMP_CNT: 0
	.section	.text._ZN12tensorrt_llm7kernels32fusedQKNormRopeKernelNTokenHeadsIN3c104HalfENS2_8BFloat16ELi64ELb1ELi4EEEvPviiifPKvS7_S7_PKlii,"axG",@progbits,_ZN12tensorrt_llm7kernels32fusedQKNormRopeKernelNTokenHeadsIN3c104HalfENS2_8BFloat16ELi64ELb1ELi4EEEvPviiifPKvS7_S7_PKlii,comdat
	.protected	_ZN12tensorrt_llm7kernels32fusedQKNormRopeKernelNTokenHeadsIN3c104HalfENS2_8BFloat16ELi64ELb1ELi4EEEvPviiifPKvS7_S7_PKlii ; -- Begin function _ZN12tensorrt_llm7kernels32fusedQKNormRopeKernelNTokenHeadsIN3c104HalfENS2_8BFloat16ELi64ELb1ELi4EEEvPviiifPKvS7_S7_PKlii
	.globl	_ZN12tensorrt_llm7kernels32fusedQKNormRopeKernelNTokenHeadsIN3c104HalfENS2_8BFloat16ELi64ELb1ELi4EEEvPviiifPKvS7_S7_PKlii
	.p2align	8
	.type	_ZN12tensorrt_llm7kernels32fusedQKNormRopeKernelNTokenHeadsIN3c104HalfENS2_8BFloat16ELi64ELb1ELi4EEEvPviiifPKvS7_S7_PKlii,@function
_ZN12tensorrt_llm7kernels32fusedQKNormRopeKernelNTokenHeadsIN3c104HalfENS2_8BFloat16ELi64ELb1ELi4EEEvPviiifPKvS7_S7_PKlii: ; @_ZN12tensorrt_llm7kernels32fusedQKNormRopeKernelNTokenHeadsIN3c104HalfENS2_8BFloat16ELi64ELb1ELi4EEEvPviiifPKvS7_S7_PKlii
; %bb.0:
	s_clause 0x1
	s_load_b128 s[16:19], s[0:1], 0x8
	s_load_b64 s[2:3], s[0:1], 0x38
	v_lshrrev_b32_e32 v2, 5, v0
	s_waitcnt lgkmcnt(0)
	s_add_i32 s4, s17, s16
	s_delay_alu instid0(SALU_CYCLE_1) | instskip(NEXT) | instid1(SALU_CYCLE_1)
	s_add_i32 s5, s4, 3
	s_ashr_i32 s6, s5, 31
	s_delay_alu instid0(SALU_CYCLE_1) | instskip(NEXT) | instid1(SALU_CYCLE_1)
	s_lshr_b32 s6, s6, 30
	s_add_i32 s5, s5, s6
	s_delay_alu instid0(SALU_CYCLE_1) | instskip(SKIP_2) | instid1(SALU_CYCLE_1)
	s_ashr_i32 s14, s5, 2
	s_load_b32 s5, s[0:1], 0x4c
	s_abs_i32 s6, s14
	v_cvt_f32_u32_e32 v1, s6
	s_sub_i32 s7, 0, s6
	s_delay_alu instid0(VALU_DEP_1) | instskip(SKIP_4) | instid1(SALU_CYCLE_1)
	v_rcp_iflag_f32_e32 v1, v1
	s_waitcnt_depctr 0xfff
	v_mul_f32_e32 v1, 0x4f7ffffe, v1
	s_waitcnt lgkmcnt(0)
	s_bfe_u32 s5, s5, 0xb0005
	v_mad_u64_u32 v[3:4], null, s15, s5, v[2:3]
	s_delay_alu instid0(VALU_DEP_2) | instskip(NEXT) | instid1(VALU_DEP_1)
	v_cvt_u32_f32_e32 v1, v1
	v_mul_lo_u32 v5, s7, v1
	s_delay_alu instid0(VALU_DEP_1) | instskip(NEXT) | instid1(VALU_DEP_4)
	v_mul_hi_u32 v4, v1, v5
	v_sub_nc_u32_e32 v5, 0, v3
	s_delay_alu instid0(VALU_DEP_1) | instskip(NEXT) | instid1(VALU_DEP_3)
	v_max_i32_e32 v5, v3, v5
	v_add_nc_u32_e32 v1, v1, v4
	s_delay_alu instid0(VALU_DEP_1) | instskip(NEXT) | instid1(VALU_DEP_1)
	v_mul_hi_u32 v1, v5, v1
	v_mul_lo_u32 v4, v1, s6
	s_delay_alu instid0(VALU_DEP_1) | instskip(SKIP_1) | instid1(VALU_DEP_2)
	v_sub_nc_u32_e32 v4, v5, v4
	v_add_nc_u32_e32 v5, 1, v1
	v_subrev_nc_u32_e32 v6, s6, v4
	v_cmp_le_u32_e32 vcc_lo, s6, v4
	s_delay_alu instid0(VALU_DEP_2) | instskip(SKIP_1) | instid1(VALU_DEP_2)
	v_dual_cndmask_b32 v4, v4, v6 :: v_dual_cndmask_b32 v1, v1, v5
	v_xor_b32_e32 v5, s14, v3
	v_cmp_le_u32_e32 vcc_lo, s6, v4
	s_delay_alu instid0(VALU_DEP_3) | instskip(NEXT) | instid1(VALU_DEP_3)
	v_add_nc_u32_e32 v6, 1, v1
	v_ashrrev_i32_e32 v5, 31, v5
	s_delay_alu instid0(VALU_DEP_2) | instskip(NEXT) | instid1(VALU_DEP_1)
	v_cndmask_b32_e32 v1, v1, v6, vcc_lo
	v_xor_b32_e32 v1, v1, v5
	s_delay_alu instid0(VALU_DEP_1) | instskip(NEXT) | instid1(VALU_DEP_1)
	v_sub_nc_u32_e32 v1, v1, v5
	v_cmp_gt_i32_e32 vcc_lo, s2, v1
	s_and_saveexec_b32 s2, vcc_lo
	s_cbranch_execz .LBB60_12
; %bb.1:
	v_mul_lo_u32 v4, v1, s14
	s_load_b64 s[12:13], s[0:1], 0x0
	v_and_b32_e32 v7, 31, v0
	v_lshlrev_b32_e32 v9, 9, v2
	v_lshlrev_b32_e32 v0, 8, v3
	s_lshl_b32 s20, s3, 1
	s_delay_alu instid0(VALU_DEP_3) | instskip(SKIP_2) | instid1(VALU_DEP_1)
	v_lshlrev_b32_e32 v8, 2, v7
	v_sub_nc_u32_e32 v4, v3, v4
	s_mul_i32 s15, s20, s5
	v_lshlrev_b32_e32 v5, 2, v4
	s_delay_alu instid0(VALU_DEP_1) | instskip(SKIP_1) | instid1(VALU_DEP_2)
	v_add_nc_u32_e32 v4, 4, v5
	v_sub_nc_u32_e32 v6, s4, v5
	v_cmp_lt_i32_e32 vcc_lo, s4, v4
	s_delay_alu instid0(VALU_DEP_2) | instskip(NEXT) | instid1(VALU_DEP_1)
	v_cndmask_b32_e32 v6, 4, v6, vcc_lo
	v_cmp_lt_i32_e32 vcc_lo, 0, v6
	s_and_saveexec_b32 s4, vcc_lo
	s_cbranch_execz .LBB60_4
; %bb.2:
	s_add_i32 s2, s18, s17
	s_lshl_b32 s5, s14, 2
	s_add_i32 s2, s2, s16
	s_mov_b32 s6, 0
	s_sub_i32 s2, s2, s5
	s_mov_b32 s5, 0
	v_mul_lo_u32 v3, s2, v1
	s_add_i32 s2, s15, 0
	s_delay_alu instid0(SALU_CYCLE_1) | instskip(NEXT) | instid1(VALU_DEP_2)
	v_add3_u32 v10, s2, v9, v8
	v_lshl_add_u32 v3, v3, 6, v0
	s_delay_alu instid0(VALU_DEP_1)
	v_lshl_or_b32 v3, v7, 1, v3
	.p2align	6
.LBB60_3:                               ; =>This Inner Loop Header: Depth=1
	s_delay_alu instid0(VALU_DEP_1) | instskip(SKIP_1) | instid1(VALU_DEP_1)
	v_ashrrev_i32_e32 v4, 31, v3
	s_add_i32 s6, s6, 1
	v_lshlrev_b64 v[11:12], 1, v[3:4]
	v_add_nc_u32_e32 v3, 64, v3
	s_waitcnt lgkmcnt(0)
	s_delay_alu instid0(VALU_DEP_2) | instskip(NEXT) | instid1(VALU_DEP_1)
	v_add_co_u32 v11, s2, s12, v11
	v_add_co_ci_u32_e64 v12, s2, s13, v12, s2
	v_cmp_ge_i32_e64 s2, s6, v6
	global_load_b32 v4, v[11:12], off
	s_or_b32 s5, s2, s5
	s_waitcnt vmcnt(0)
	ds_store_b32 v10, v4
	v_add_nc_u32_e32 v10, 0x80, v10
	s_and_not1_b32 exec_lo, exec_lo, s5
	s_cbranch_execnz .LBB60_3
.LBB60_4:
	s_or_b32 exec_lo, exec_lo, s4
	s_load_b256 s[4:11], s[0:1], 0x18
	v_mul_lo_u32 v2, v2, s3
	s_add_i32 s0, s20, 15
	s_mov_b32 s20, exec_lo
	s_ashr_i32 s1, s0, 31
	s_delay_alu instid0(SALU_CYCLE_1) | instskip(NEXT) | instid1(SALU_CYCLE_1)
	s_lshr_b32 s1, s1, 28
	s_add_i32 s0, s0, s1
	s_delay_alu instid0(VALU_DEP_1) | instskip(SKIP_1) | instid1(SALU_CYCLE_1)
	v_lshlrev_b32_e32 v4, 1, v2
	s_ashr_i32 s2, s0, 4
	v_cmpx_gt_i32_e64 s2, v7
	s_cbranch_execz .LBB60_7
; %bb.5:
	v_ashrrev_i32_e32 v2, 31, v1
	s_delay_alu instid0(VALU_DEP_1) | instskip(SKIP_1) | instid1(VALU_DEP_1)
	v_lshlrev_b64 v[2:3], 3, v[1:2]
	s_waitcnt lgkmcnt(0)
	v_add_co_u32 v2, s0, s10, v2
	s_delay_alu instid0(VALU_DEP_1)
	v_add_co_ci_u32_e64 v3, s0, s11, v3, s0
	s_ashr_i32 s0, s3, 31
	global_load_b64 v[2:3], v[2:3], off
	s_waitcnt vmcnt(0)
	v_mul_lo_u32 v3, v3, s3
	v_mul_lo_u32 v12, v2, s0
	v_mad_u64_u32 v[10:11], null, v2, s3, 0
	s_delay_alu instid0(VALU_DEP_1) | instskip(NEXT) | instid1(VALU_DEP_1)
	v_add3_u32 v11, v11, v12, v3
	v_lshlrev_b64 v[2:3], 1, v[10:11]
	v_dual_mov_b32 v11, v7 :: v_dual_lshlrev_b32 v10, 4, v7
	s_delay_alu instid0(VALU_DEP_1) | instskip(NEXT) | instid1(VALU_DEP_1)
	v_add_co_u32 v2, s0, v2, v10
	v_add_co_ci_u32_e64 v3, s0, 0, v3, s0
	v_add3_u32 v10, v4, v10, 0
	s_delay_alu instid0(VALU_DEP_3) | instskip(NEXT) | instid1(VALU_DEP_1)
	v_add_co_u32 v2, s0, s8, v2
	v_add_co_ci_u32_e64 v3, s0, s9, v3, s0
	s_mov_b32 s8, 0
	.p2align	6
.LBB60_6:                               ; =>This Inner Loop Header: Depth=1
	global_load_b128 v[12:15], v[2:3], off
	v_add_nc_u32_e32 v11, 32, v11
	v_add_co_u32 v2, s0, 0x200, v2
	s_delay_alu instid0(VALU_DEP_1) | instskip(NEXT) | instid1(VALU_DEP_3)
	v_add_co_ci_u32_e64 v3, s0, 0, v3, s0
	v_cmp_le_i32_e64 s1, s2, v11
	s_delay_alu instid0(VALU_DEP_1)
	s_or_b32 s8, s1, s8
	s_waitcnt vmcnt(0)
	ds_store_b128 v10, v[12:15]
	v_add_nc_u32_e32 v10, 0x200, v10
	s_and_not1_b32 exec_lo, exec_lo, s8
	s_cbranch_execnz .LBB60_6
.LBB60_7:
	s_or_b32 exec_lo, exec_lo, s20
	s_delay_alu instid0(SALU_CYCLE_1)
	s_and_b32 exec_lo, exec_lo, vcc_lo
	s_cbranch_execz .LBB60_12
; %bb.8:
	s_waitcnt lgkmcnt(0)
	s_clause 0x1
	global_load_b32 v2, v8, s[4:5]
	global_load_b32 v3, v8, s[6:7]
	v_mbcnt_lo_u32_b32 v10, -1, 0
	s_lshr_b32 s0, s3, 31
	s_add_i32 s1, s18, s17
	s_lshl_b32 s2, s14, 2
	s_add_i32 s0, s3, s0
	v_xor_b32_e32 v11, 16, v10
	s_add_i32 s1, s1, s16
	s_ashr_i32 s3, s0, 1
	s_and_b32 s4, s0, -2
	s_sub_i32 s0, s1, s2
	v_add_nc_u32_e32 v9, s15, v9
	v_xor_b32_e32 v12, 8, v10
	v_mul_lo_u32 v1, s0, v1
	v_cmp_gt_i32_e64 s0, 32, v11
	v_xor_b32_e32 v13, 4, v10
	v_add3_u32 v8, v9, v8, 0
	v_xor_b32_e32 v15, 2, v10
	v_xor_b32_e32 v16, 1, v10
	v_cndmask_b32_e64 v9, v10, v11, s0
	v_cmp_gt_i32_e64 s0, 32, v12
	v_lshlrev_b32_e32 v14, 1, v7
	v_lshl_add_u32 v0, v1, 6, v0
	v_cmp_gt_i32_e32 vcc_lo, s3, v7
	v_lshlrev_b32_e32 v9, 2, v9
	v_cndmask_b32_e64 v11, v10, v12, s0
	v_cmp_gt_i32_e64 s0, 32, v13
	v_add3_u32 v4, 0, v4, v14
	v_or_b32_e32 v0, v0, v14
	s_mov_b32 s2, 0
	s_mov_b32 s3, 0
	v_cndmask_b32_e64 v12, v10, v13, s0
	v_cmp_gt_i32_e64 s0, 32, v15
	v_add_nc_u32_e32 v7, s4, v4
	s_delay_alu instid0(VALU_DEP_2) | instskip(SKIP_1) | instid1(VALU_DEP_1)
	v_cndmask_b32_e64 v13, v10, v15, s0
	v_cmp_gt_i32_e64 s0, 32, v16
	v_cndmask_b32_e64 v15, v10, v16, s0
	v_lshlrev_b32_e32 v10, 2, v11
	v_lshlrev_b32_e32 v11, 2, v12
	;; [unrolled: 1-line block ×3, first 2 shown]
	s_delay_alu instid0(VALU_DEP_4)
	v_lshlrev_b32_e32 v13, 2, v15
	s_waitcnt vmcnt(1)
	v_lshrrev_b32_e32 v14, 16, v2
	s_waitcnt vmcnt(0)
	v_lshrrev_b32_e32 v15, 16, v3
	s_branch .LBB60_10
.LBB60_9:                               ;   in Loop: Header=BB60_10 Depth=1
	s_or_b32 exec_lo, exec_lo, s0
	v_ashrrev_i32_e32 v1, 31, v0
	s_delay_alu instid0(VALU_DEP_2)
	v_cvt_f16_f32_e32 v18, v17
	v_cvt_f16_f32_e32 v19, v16
	s_add_i32 s3, s3, 1
	v_add_nc_u32_e32 v8, 0x80, v8
	v_lshlrev_b64 v[16:17], 1, v[0:1]
	v_cmp_ge_i32_e64 s0, s3, v6
	v_pack_b32_f16 v1, v18, v19
	v_add_nc_u32_e32 v0, 64, v0
	s_delay_alu instid0(VALU_DEP_3) | instskip(NEXT) | instid1(VALU_DEP_4)
	s_or_b32 s2, s0, s2
	v_add_co_u32 v16, s1, s12, v16
	s_delay_alu instid0(VALU_DEP_1)
	v_add_co_ci_u32_e64 v17, s1, s13, v17, s1
	global_store_b32 v[16:17], v1, off
	s_and_not1_b32 exec_lo, exec_lo, s2
	s_cbranch_execz .LBB60_12
.LBB60_10:                              ; =>This Inner Loop Header: Depth=1
	ds_load_b32 v1, v8
	s_waitcnt lgkmcnt(0)
	v_cvt_f32_f16_e32 v17, v1
	s_delay_alu instid0(VALU_DEP_1) | instskip(NEXT) | instid1(VALU_DEP_1)
	v_mul_f32_e32 v16, v17, v17
	v_fma_mix_f32 v16, v1, v1, v16 op_sel:[1,1,0] op_sel_hi:[1,1,0]
	v_lshrrev_b32_e32 v1, 16, v1
	ds_bpermute_b32 v18, v9, v16
	v_cvt_f32_f16_e32 v1, v1
	s_waitcnt lgkmcnt(0)
	v_add_f32_e32 v16, v16, v18
	ds_bpermute_b32 v18, v10, v16
	s_waitcnt lgkmcnt(0)
	v_add_f32_e32 v16, v16, v18
	ds_bpermute_b32 v18, v11, v16
	;; [unrolled: 3-line block ×4, first 2 shown]
	s_waitcnt lgkmcnt(0)
	v_add_f32_e32 v16, v16, v18
	s_delay_alu instid0(VALU_DEP_1) | instskip(NEXT) | instid1(VALU_DEP_1)
	v_fma_f32 v16, 0x3c800000, v16, s19
	v_mul_f32_e32 v18, 0x4b800000, v16
	v_cmp_gt_f32_e64 s0, 0x800000, v16
	s_delay_alu instid0(VALU_DEP_1) | instskip(NEXT) | instid1(VALU_DEP_1)
	v_cndmask_b32_e64 v16, v16, v18, s0
	v_rsq_f32_e32 v16, v16
	s_waitcnt_depctr 0xfff
	v_dual_mul_f32 v19, 0x45800000, v16 :: v_dual_add_nc_u32 v18, s3, v5
	s_delay_alu instid0(VALU_DEP_1) | instskip(NEXT) | instid1(VALU_DEP_2)
	v_cmp_gt_i32_e64 s1, s16, v18
	v_cndmask_b32_e64 v16, v16, v19, s0
	s_delay_alu instid0(VALU_DEP_2) | instskip(SKIP_1) | instid1(VALU_DEP_2)
	v_cndmask_b32_e64 v18, v15, v14, s1
	v_cndmask_b32_e64 v20, v3, v2, s1
	v_cvt_f32_f16_e32 v18, v18
	s_delay_alu instid0(VALU_DEP_2) | instskip(NEXT) | instid1(VALU_DEP_2)
	v_cvt_f32_f16_e32 v19, v20
	v_mul_f32_e32 v18, v16, v18
	s_delay_alu instid0(VALU_DEP_1) | instskip(NEXT) | instid1(VALU_DEP_1)
	v_dual_mul_f32 v19, v16, v19 :: v_dual_mul_f32 v16, v18, v1
	v_mul_f32_e32 v17, v19, v17
	s_and_saveexec_b32 s0, vcc_lo
	s_cbranch_execz .LBB60_9
; %bb.11:                               ;   in Loop: Header=BB60_10 Depth=1
	ds_load_u16 v1, v7
	ds_load_u16 v18, v4
	s_waitcnt lgkmcnt(0)
	v_lshlrev_b32_e32 v18, 16, v18
	v_lshlrev_b32_e32 v1, 16, v1
	s_delay_alu instid0(VALU_DEP_1) | instskip(NEXT) | instid1(VALU_DEP_3)
	v_mul_f32_e32 v19, v16, v1
	v_mul_f32_e32 v16, v16, v18
	s_delay_alu instid0(VALU_DEP_2) | instskip(NEXT) | instid1(VALU_DEP_1)
	v_fma_f32 v18, v17, v18, -v19
	v_dual_fmac_f32 v16, v17, v1 :: v_dual_mov_b32 v17, v18
	s_branch .LBB60_9
.LBB60_12:
	s_nop 0
	s_sendmsg sendmsg(MSG_DEALLOC_VGPRS)
	s_endpgm
	.section	.rodata,"a",@progbits
	.p2align	6, 0x0
	.amdhsa_kernel _ZN12tensorrt_llm7kernels32fusedQKNormRopeKernelNTokenHeadsIN3c104HalfENS2_8BFloat16ELi64ELb1ELi4EEEvPviiifPKvS7_S7_PKlii
		.amdhsa_group_segment_fixed_size 0
		.amdhsa_private_segment_fixed_size 0
		.amdhsa_kernarg_size 320
		.amdhsa_user_sgpr_count 15
		.amdhsa_user_sgpr_dispatch_ptr 0
		.amdhsa_user_sgpr_queue_ptr 0
		.amdhsa_user_sgpr_kernarg_segment_ptr 1
		.amdhsa_user_sgpr_dispatch_id 0
		.amdhsa_user_sgpr_private_segment_size 0
		.amdhsa_wavefront_size32 1
		.amdhsa_uses_dynamic_stack 0
		.amdhsa_enable_private_segment 0
		.amdhsa_system_sgpr_workgroup_id_x 1
		.amdhsa_system_sgpr_workgroup_id_y 0
		.amdhsa_system_sgpr_workgroup_id_z 0
		.amdhsa_system_sgpr_workgroup_info 0
		.amdhsa_system_vgpr_workitem_id 0
		.amdhsa_next_free_vgpr 21
		.amdhsa_next_free_sgpr 21
		.amdhsa_reserve_vcc 1
		.amdhsa_float_round_mode_32 0
		.amdhsa_float_round_mode_16_64 0
		.amdhsa_float_denorm_mode_32 3
		.amdhsa_float_denorm_mode_16_64 3
		.amdhsa_dx10_clamp 1
		.amdhsa_ieee_mode 1
		.amdhsa_fp16_overflow 0
		.amdhsa_workgroup_processor_mode 1
		.amdhsa_memory_ordered 1
		.amdhsa_forward_progress 0
		.amdhsa_shared_vgpr_count 0
		.amdhsa_exception_fp_ieee_invalid_op 0
		.amdhsa_exception_fp_denorm_src 0
		.amdhsa_exception_fp_ieee_div_zero 0
		.amdhsa_exception_fp_ieee_overflow 0
		.amdhsa_exception_fp_ieee_underflow 0
		.amdhsa_exception_fp_ieee_inexact 0
		.amdhsa_exception_int_div_zero 0
	.end_amdhsa_kernel
	.section	.text._ZN12tensorrt_llm7kernels32fusedQKNormRopeKernelNTokenHeadsIN3c104HalfENS2_8BFloat16ELi64ELb1ELi4EEEvPviiifPKvS7_S7_PKlii,"axG",@progbits,_ZN12tensorrt_llm7kernels32fusedQKNormRopeKernelNTokenHeadsIN3c104HalfENS2_8BFloat16ELi64ELb1ELi4EEEvPviiifPKvS7_S7_PKlii,comdat
.Lfunc_end60:
	.size	_ZN12tensorrt_llm7kernels32fusedQKNormRopeKernelNTokenHeadsIN3c104HalfENS2_8BFloat16ELi64ELb1ELi4EEEvPviiifPKvS7_S7_PKlii, .Lfunc_end60-_ZN12tensorrt_llm7kernels32fusedQKNormRopeKernelNTokenHeadsIN3c104HalfENS2_8BFloat16ELi64ELb1ELi4EEEvPviiifPKvS7_S7_PKlii
                                        ; -- End function
	.section	.AMDGPU.csdata,"",@progbits
; Kernel info:
; codeLenInByte = 1568
; NumSgprs: 23
; NumVgprs: 21
; ScratchSize: 0
; MemoryBound: 0
; FloatMode: 240
; IeeeMode: 1
; LDSByteSize: 0 bytes/workgroup (compile time only)
; SGPRBlocks: 2
; VGPRBlocks: 2
; NumSGPRsForWavesPerEU: 23
; NumVGPRsForWavesPerEU: 21
; Occupancy: 16
; WaveLimiterHint : 0
; COMPUTE_PGM_RSRC2:SCRATCH_EN: 0
; COMPUTE_PGM_RSRC2:USER_SGPR: 15
; COMPUTE_PGM_RSRC2:TRAP_HANDLER: 0
; COMPUTE_PGM_RSRC2:TGID_X_EN: 1
; COMPUTE_PGM_RSRC2:TGID_Y_EN: 0
; COMPUTE_PGM_RSRC2:TGID_Z_EN: 0
; COMPUTE_PGM_RSRC2:TIDIG_COMP_CNT: 0
	.section	.text._ZN12tensorrt_llm7kernels32fusedQKNormRopeKernelNTokenHeadsIN3c104HalfENS2_8BFloat16ELi64ELb0ELi4EEEvPviiifPKvS7_S7_PKlii,"axG",@progbits,_ZN12tensorrt_llm7kernels32fusedQKNormRopeKernelNTokenHeadsIN3c104HalfENS2_8BFloat16ELi64ELb0ELi4EEEvPviiifPKvS7_S7_PKlii,comdat
	.protected	_ZN12tensorrt_llm7kernels32fusedQKNormRopeKernelNTokenHeadsIN3c104HalfENS2_8BFloat16ELi64ELb0ELi4EEEvPviiifPKvS7_S7_PKlii ; -- Begin function _ZN12tensorrt_llm7kernels32fusedQKNormRopeKernelNTokenHeadsIN3c104HalfENS2_8BFloat16ELi64ELb0ELi4EEEvPviiifPKvS7_S7_PKlii
	.globl	_ZN12tensorrt_llm7kernels32fusedQKNormRopeKernelNTokenHeadsIN3c104HalfENS2_8BFloat16ELi64ELb0ELi4EEEvPviiifPKvS7_S7_PKlii
	.p2align	8
	.type	_ZN12tensorrt_llm7kernels32fusedQKNormRopeKernelNTokenHeadsIN3c104HalfENS2_8BFloat16ELi64ELb0ELi4EEEvPviiifPKvS7_S7_PKlii,@function
_ZN12tensorrt_llm7kernels32fusedQKNormRopeKernelNTokenHeadsIN3c104HalfENS2_8BFloat16ELi64ELb0ELi4EEEvPviiifPKvS7_S7_PKlii: ; @_ZN12tensorrt_llm7kernels32fusedQKNormRopeKernelNTokenHeadsIN3c104HalfENS2_8BFloat16ELi64ELb0ELi4EEEvPviiifPKvS7_S7_PKlii
; %bb.0:
	s_clause 0x1
	s_load_b128 s[16:19], s[0:1], 0x8
	s_load_b64 s[2:3], s[0:1], 0x38
	v_lshrrev_b32_e32 v2, 5, v0
	s_waitcnt lgkmcnt(0)
	s_add_i32 s4, s17, s16
	s_delay_alu instid0(SALU_CYCLE_1) | instskip(NEXT) | instid1(SALU_CYCLE_1)
	s_add_i32 s5, s4, 3
	s_ashr_i32 s6, s5, 31
	s_delay_alu instid0(SALU_CYCLE_1) | instskip(NEXT) | instid1(SALU_CYCLE_1)
	s_lshr_b32 s6, s6, 30
	s_add_i32 s5, s5, s6
	s_delay_alu instid0(SALU_CYCLE_1) | instskip(SKIP_2) | instid1(SALU_CYCLE_1)
	s_ashr_i32 s14, s5, 2
	s_load_b32 s5, s[0:1], 0x4c
	s_abs_i32 s6, s14
	v_cvt_f32_u32_e32 v1, s6
	s_sub_i32 s7, 0, s6
	s_delay_alu instid0(VALU_DEP_1) | instskip(SKIP_4) | instid1(SALU_CYCLE_1)
	v_rcp_iflag_f32_e32 v1, v1
	s_waitcnt_depctr 0xfff
	v_mul_f32_e32 v1, 0x4f7ffffe, v1
	s_waitcnt lgkmcnt(0)
	s_bfe_u32 s5, s5, 0xb0005
	v_mad_u64_u32 v[3:4], null, s15, s5, v[2:3]
	s_delay_alu instid0(VALU_DEP_2) | instskip(NEXT) | instid1(VALU_DEP_1)
	v_cvt_u32_f32_e32 v1, v1
	v_mul_lo_u32 v5, s7, v1
	s_delay_alu instid0(VALU_DEP_1) | instskip(NEXT) | instid1(VALU_DEP_4)
	v_mul_hi_u32 v4, v1, v5
	v_sub_nc_u32_e32 v5, 0, v3
	s_delay_alu instid0(VALU_DEP_1) | instskip(NEXT) | instid1(VALU_DEP_3)
	v_max_i32_e32 v5, v3, v5
	v_add_nc_u32_e32 v1, v1, v4
	s_delay_alu instid0(VALU_DEP_1) | instskip(NEXT) | instid1(VALU_DEP_1)
	v_mul_hi_u32 v1, v5, v1
	v_mul_lo_u32 v4, v1, s6
	s_delay_alu instid0(VALU_DEP_1) | instskip(SKIP_1) | instid1(VALU_DEP_2)
	v_sub_nc_u32_e32 v4, v5, v4
	v_add_nc_u32_e32 v5, 1, v1
	v_subrev_nc_u32_e32 v6, s6, v4
	v_cmp_le_u32_e32 vcc_lo, s6, v4
	s_delay_alu instid0(VALU_DEP_2) | instskip(SKIP_1) | instid1(VALU_DEP_2)
	v_dual_cndmask_b32 v4, v4, v6 :: v_dual_cndmask_b32 v1, v1, v5
	v_xor_b32_e32 v5, s14, v3
	v_cmp_le_u32_e32 vcc_lo, s6, v4
	s_delay_alu instid0(VALU_DEP_3) | instskip(NEXT) | instid1(VALU_DEP_3)
	v_add_nc_u32_e32 v6, 1, v1
	v_ashrrev_i32_e32 v5, 31, v5
	s_delay_alu instid0(VALU_DEP_2) | instskip(NEXT) | instid1(VALU_DEP_1)
	v_cndmask_b32_e32 v1, v1, v6, vcc_lo
	v_xor_b32_e32 v1, v1, v5
	s_delay_alu instid0(VALU_DEP_1) | instskip(NEXT) | instid1(VALU_DEP_1)
	v_sub_nc_u32_e32 v1, v1, v5
	v_cmp_gt_i32_e32 vcc_lo, s2, v1
	s_and_saveexec_b32 s2, vcc_lo
	s_cbranch_execz .LBB61_12
; %bb.1:
	v_mul_lo_u32 v4, v1, s14
	s_load_b64 s[12:13], s[0:1], 0x0
	v_and_b32_e32 v0, 31, v0
	v_lshlrev_b32_e32 v9, 9, v2
	v_lshlrev_b32_e32 v8, 8, v3
	s_lshl_b32 s20, s3, 1
	s_delay_alu instid0(VALU_DEP_3) | instskip(SKIP_2) | instid1(VALU_DEP_1)
	v_lshlrev_b32_e32 v7, 2, v0
	v_sub_nc_u32_e32 v4, v3, v4
	s_mul_i32 s15, s20, s5
	v_lshlrev_b32_e32 v5, 2, v4
	s_delay_alu instid0(VALU_DEP_1) | instskip(SKIP_1) | instid1(VALU_DEP_2)
	v_add_nc_u32_e32 v4, 4, v5
	v_sub_nc_u32_e32 v6, s4, v5
	v_cmp_lt_i32_e32 vcc_lo, s4, v4
	s_delay_alu instid0(VALU_DEP_2) | instskip(NEXT) | instid1(VALU_DEP_1)
	v_cndmask_b32_e32 v6, 4, v6, vcc_lo
	v_cmp_lt_i32_e32 vcc_lo, 0, v6
	s_and_saveexec_b32 s4, vcc_lo
	s_cbranch_execz .LBB61_4
; %bb.2:
	s_add_i32 s2, s18, s17
	s_lshl_b32 s5, s14, 2
	s_add_i32 s2, s2, s16
	s_mov_b32 s6, 0
	s_sub_i32 s2, s2, s5
	s_mov_b32 s5, 0
	v_mul_lo_u32 v3, s2, v1
	s_add_i32 s2, s15, 0
	s_delay_alu instid0(SALU_CYCLE_1) | instskip(NEXT) | instid1(VALU_DEP_2)
	v_add3_u32 v10, s2, v9, v7
	v_lshl_add_u32 v3, v3, 6, v8
	s_delay_alu instid0(VALU_DEP_1)
	v_lshl_or_b32 v3, v0, 1, v3
	.p2align	6
.LBB61_3:                               ; =>This Inner Loop Header: Depth=1
	s_delay_alu instid0(VALU_DEP_1) | instskip(SKIP_1) | instid1(VALU_DEP_1)
	v_ashrrev_i32_e32 v4, 31, v3
	s_add_i32 s6, s6, 1
	v_lshlrev_b64 v[11:12], 1, v[3:4]
	v_add_nc_u32_e32 v3, 64, v3
	s_waitcnt lgkmcnt(0)
	s_delay_alu instid0(VALU_DEP_2) | instskip(NEXT) | instid1(VALU_DEP_1)
	v_add_co_u32 v11, s2, s12, v11
	v_add_co_ci_u32_e64 v12, s2, s13, v12, s2
	v_cmp_ge_i32_e64 s2, s6, v6
	global_load_b32 v4, v[11:12], off
	s_or_b32 s5, s2, s5
	s_waitcnt vmcnt(0)
	ds_store_b32 v10, v4
	v_add_nc_u32_e32 v10, 0x80, v10
	s_and_not1_b32 exec_lo, exec_lo, s5
	s_cbranch_execnz .LBB61_3
.LBB61_4:
	s_or_b32 exec_lo, exec_lo, s4
	s_load_b256 s[4:11], s[0:1], 0x18
	s_add_i32 s0, s20, 15
	v_mul_lo_u32 v4, v2, s3
	s_ashr_i32 s1, s0, 31
	s_mov_b32 s20, exec_lo
	s_lshr_b32 s1, s1, 28
	s_delay_alu instid0(SALU_CYCLE_1) | instskip(NEXT) | instid1(SALU_CYCLE_1)
	s_add_i32 s0, s0, s1
	s_ashr_i32 s2, s0, 4
	s_delay_alu instid0(SALU_CYCLE_1)
	v_cmpx_gt_i32_e64 s2, v0
	s_cbranch_execz .LBB61_7
; %bb.5:
	v_ashrrev_i32_e32 v2, 31, v1
	s_delay_alu instid0(VALU_DEP_1) | instskip(SKIP_1) | instid1(VALU_DEP_1)
	v_lshlrev_b64 v[2:3], 3, v[1:2]
	s_waitcnt lgkmcnt(0)
	v_add_co_u32 v2, s0, s10, v2
	s_delay_alu instid0(VALU_DEP_1)
	v_add_co_ci_u32_e64 v3, s0, s11, v3, s0
	s_ashr_i32 s0, s3, 31
	global_load_b64 v[2:3], v[2:3], off
	s_waitcnt vmcnt(0)
	v_mul_lo_u32 v3, v3, s3
	v_mul_lo_u32 v12, v2, s0
	v_mad_u64_u32 v[10:11], null, v2, s3, 0
	s_delay_alu instid0(VALU_DEP_1) | instskip(NEXT) | instid1(VALU_DEP_1)
	v_add3_u32 v11, v11, v12, v3
	v_lshlrev_b64 v[2:3], 1, v[10:11]
	v_lshlrev_b32_e32 v10, 4, v0
	v_lshlrev_b32_e32 v11, 1, v4
	s_delay_alu instid0(VALU_DEP_2) | instskip(NEXT) | instid1(VALU_DEP_1)
	v_add_co_u32 v2, s0, v2, v10
	v_add_co_ci_u32_e64 v3, s0, 0, v3, s0
	s_delay_alu instid0(VALU_DEP_3) | instskip(SKIP_1) | instid1(VALU_DEP_4)
	v_add3_u32 v10, v11, v10, 0
	v_mov_b32_e32 v11, v0
	v_add_co_u32 v2, s0, s8, v2
	s_delay_alu instid0(VALU_DEP_1)
	v_add_co_ci_u32_e64 v3, s0, s9, v3, s0
	s_mov_b32 s8, 0
	.p2align	6
.LBB61_6:                               ; =>This Inner Loop Header: Depth=1
	global_load_b128 v[12:15], v[2:3], off
	v_add_nc_u32_e32 v11, 32, v11
	v_add_co_u32 v2, s0, 0x200, v2
	s_delay_alu instid0(VALU_DEP_1) | instskip(NEXT) | instid1(VALU_DEP_3)
	v_add_co_ci_u32_e64 v3, s0, 0, v3, s0
	v_cmp_le_i32_e64 s1, s2, v11
	s_delay_alu instid0(VALU_DEP_1)
	s_or_b32 s8, s1, s8
	s_waitcnt vmcnt(0)
	ds_store_b128 v10, v[12:15]
	v_add_nc_u32_e32 v10, 0x200, v10
	s_and_not1_b32 exec_lo, exec_lo, s8
	s_cbranch_execnz .LBB61_6
.LBB61_7:
	s_or_b32 exec_lo, exec_lo, s20
	s_delay_alu instid0(SALU_CYCLE_1)
	s_and_b32 exec_lo, exec_lo, vcc_lo
	s_cbranch_execz .LBB61_12
; %bb.8:
	s_waitcnt lgkmcnt(0)
	s_clause 0x1
	global_load_b32 v2, v7, s[4:5]
	global_load_b32 v3, v7, s[6:7]
	s_abs_i32 s2, s3
	v_lshl_add_u32 v15, v4, 1, 0
	v_cvt_f32_u32_e32 v10, s2
	s_sub_i32 s0, 0, s2
	v_mbcnt_lo_u32_b32 v4, -1, 0
	v_or_b32_e32 v12, 2, v7
	s_add_i32 s1, s18, s17
	v_rcp_iflag_f32_e32 v10, v10
	s_lshl_b32 s4, s14, 2
	s_add_i32 s1, s1, s16
	v_xor_b32_e32 v13, 4, v4
	s_sub_i32 s1, s1, s4
	v_xor_b32_e32 v16, 2, v4
	v_mul_lo_u32 v1, s1, v1
	v_xor_b32_e32 v17, 1, v4
	s_mov_b32 s4, 0
	s_waitcnt_depctr 0xfff
	v_dual_mul_f32 v10, 0x4f7ffffe, v10 :: v_dual_add_nc_u32 v19, s15, v9
	v_lshl_add_u32 v1, v1, 6, v8
	s_delay_alu instid0(VALU_DEP_2) | instskip(NEXT) | instid1(VALU_DEP_1)
	v_cvt_u32_f32_e32 v10, v10
	v_mul_lo_u32 v11, s0, v10
	s_lshr_b32 s0, s3, 31
	s_delay_alu instid0(SALU_CYCLE_1) | instskip(NEXT) | instid1(SALU_CYCLE_1)
	s_add_i32 s0, s3, s0
	s_ashr_i32 s3, s0, 1
	s_and_b32 s0, s0, -2
	v_cmp_gt_i32_e32 vcc_lo, s3, v0
	s_delay_alu instid0(VALU_DEP_2)
	v_mul_hi_u32 v11, v10, v11
	v_add_nc_u32_e32 v18, s0, v15
	s_lshr_b32 s0, s3, 1
	s_mov_b32 s3, 0
	v_xor_b32_e32 v20, s0, v4
	v_cmp_gt_u32_e64 s0, s0, v0
	v_lshl_or_b32 v0, v0, 1, v1
	v_add_nc_u32_e32 v9, v10, v11
	v_xor_b32_e32 v10, 16, v4
	v_xor_b32_e32 v11, 8, v4
	s_delay_alu instid0(VALU_DEP_3) | instskip(SKIP_1) | instid1(VALU_DEP_4)
	v_mul_hi_u32 v14, v7, v9
	v_mul_hi_u32 v9, v12, v9
	v_cmp_gt_i32_e64 s1, 32, v10
	s_delay_alu instid0(VALU_DEP_1) | instskip(SKIP_1) | instid1(VALU_DEP_4)
	v_cndmask_b32_e64 v10, v4, v10, s1
	v_cmp_gt_i32_e64 s1, 32, v11
	v_mul_lo_u32 v9, v9, s2
	v_mul_lo_u32 v14, v14, s2
	s_delay_alu instid0(VALU_DEP_3) | instskip(SKIP_1) | instid1(VALU_DEP_4)
	v_cndmask_b32_e64 v11, v4, v11, s1
	v_cmp_gt_i32_e64 s1, 32, v13
	v_sub_nc_u32_e32 v9, v12, v9
	s_delay_alu instid0(VALU_DEP_4) | instskip(NEXT) | instid1(VALU_DEP_3)
	v_sub_nc_u32_e32 v14, v7, v14
	v_cndmask_b32_e64 v12, v4, v13, s1
	v_cmp_gt_i32_e64 s1, 32, v16
	v_lshlrev_b32_e32 v8, 2, v11
	v_subrev_nc_u32_e32 v21, s2, v9
	v_add3_u32 v7, v19, v7, 0
	s_delay_alu instid0(VALU_DEP_4) | instskip(SKIP_2) | instid1(VALU_DEP_2)
	v_cndmask_b32_e64 v13, v4, v16, s1
	v_cmp_gt_i32_e64 s1, 32, v17
	v_subrev_nc_u32_e32 v16, s2, v14
	v_cndmask_b32_e64 v17, v4, v17, s1
	v_cmp_le_u32_e64 s1, s2, v14
	s_delay_alu instid0(VALU_DEP_1) | instskip(SKIP_1) | instid1(VALU_DEP_1)
	v_cndmask_b32_e64 v14, v14, v16, s1
	v_cmp_le_u32_e64 s1, s2, v9
	v_cndmask_b32_e64 v9, v9, v21, s1
	v_cmp_gt_i32_e64 s1, 32, v20
	s_delay_alu instid0(VALU_DEP_1) | instskip(SKIP_4) | instid1(VALU_DEP_3)
	v_cndmask_b32_e64 v16, v4, v20, s1
	v_subrev_nc_u32_e32 v20, s2, v14
	v_cmp_le_u32_e64 s1, s2, v14
	v_lshlrev_b32_e32 v4, 2, v10
	v_subrev_nc_u32_e32 v10, s2, v9
	v_cndmask_b32_e64 v11, v14, v20, s1
	v_cmp_le_u32_e64 s1, s2, v9
	s_delay_alu instid0(VALU_DEP_2) | instskip(NEXT) | instid1(VALU_DEP_2)
	v_and_b32_e32 v20, -2, v11
	v_cndmask_b32_e64 v14, v9, v10, s1
	v_lshlrev_b32_e32 v11, 2, v17
	v_lshlrev_b32_e32 v9, 2, v12
	;; [unrolled: 1-line block ×4, first 2 shown]
	v_and_b32_e32 v17, -2, v14
	v_add_nc_u32_e32 v13, v15, v20
	v_add_nc_u32_e32 v14, v18, v20
	s_delay_alu instid0(VALU_DEP_3)
	v_add_nc_u32_e32 v15, v15, v17
	v_add_nc_u32_e32 v16, v18, v17
	s_waitcnt vmcnt(1)
	v_lshrrev_b32_e32 v17, 16, v2
	s_waitcnt vmcnt(0)
	v_lshrrev_b32_e32 v18, 16, v3
	s_branch .LBB61_10
.LBB61_9:                               ;   in Loop: Header=BB61_10 Depth=1
	s_or_b32 exec_lo, exec_lo, s1
	v_ashrrev_i32_e32 v1, 31, v0
	v_cvt_f16_f32_e32 v21, v20
	v_cvt_f16_f32_e32 v22, v19
	s_add_i32 s4, s4, 1
	v_add_nc_u32_e32 v7, 0x80, v7
	v_lshlrev_b64 v[19:20], 1, v[0:1]
	v_cmp_ge_i32_e64 s1, s4, v6
	v_pack_b32_f16 v1, v21, v22
	v_add_nc_u32_e32 v0, 64, v0
	s_delay_alu instid0(VALU_DEP_3) | instskip(NEXT) | instid1(VALU_DEP_4)
	s_or_b32 s3, s1, s3
	v_add_co_u32 v19, s2, s12, v19
	s_delay_alu instid0(VALU_DEP_1)
	v_add_co_ci_u32_e64 v20, s2, s13, v20, s2
	global_store_b32 v[19:20], v1, off
	s_and_not1_b32 exec_lo, exec_lo, s3
	s_cbranch_execz .LBB61_12
.LBB61_10:                              ; =>This Inner Loop Header: Depth=1
	ds_load_b32 v1, v7
	s_waitcnt lgkmcnt(0)
	v_cvt_f32_f16_e32 v19, v1
	s_delay_alu instid0(VALU_DEP_1) | instskip(NEXT) | instid1(VALU_DEP_1)
	v_mul_f32_e32 v20, v19, v19
	v_fma_mix_f32 v20, v1, v1, v20 op_sel:[1,1,0] op_sel_hi:[1,1,0]
	v_lshrrev_b32_e32 v1, 16, v1
	ds_bpermute_b32 v21, v4, v20
	v_cvt_f32_f16_e32 v1, v1
	s_waitcnt lgkmcnt(0)
	v_add_f32_e32 v20, v20, v21
	ds_bpermute_b32 v21, v8, v20
	s_waitcnt lgkmcnt(0)
	v_add_f32_e32 v20, v20, v21
	ds_bpermute_b32 v21, v9, v20
	;; [unrolled: 3-line block ×4, first 2 shown]
	s_waitcnt lgkmcnt(0)
	v_add_f32_e32 v20, v20, v21
	s_delay_alu instid0(VALU_DEP_1) | instskip(NEXT) | instid1(VALU_DEP_1)
	v_fma_f32 v20, 0x3c800000, v20, s19
	v_mul_f32_e32 v21, 0x4b800000, v20
	v_cmp_gt_f32_e64 s1, 0x800000, v20
	s_delay_alu instid0(VALU_DEP_1) | instskip(SKIP_1) | instid1(VALU_DEP_2)
	v_cndmask_b32_e64 v20, v20, v21, s1
	v_add_nc_u32_e32 v21, s4, v5
	v_rsq_f32_e32 v20, v20
	s_delay_alu instid0(VALU_DEP_1) | instskip(NEXT) | instid1(VALU_DEP_1)
	v_cmp_gt_i32_e64 s2, s16, v21
	v_cndmask_b32_e64 v21, v3, v2, s2
	v_cndmask_b32_e64 v23, v18, v17, s2
	s_delay_alu instid0(VALU_DEP_2) | instskip(SKIP_2) | instid1(VALU_DEP_1)
	v_cvt_f32_f16_e32 v21, v21
	s_waitcnt_depctr 0xfff
	v_mul_f32_e32 v22, 0x45800000, v20
	v_cndmask_b32_e64 v20, v20, v22, s1
	v_cvt_f32_f16_e32 v22, v23
	s_delay_alu instid0(VALU_DEP_2) | instskip(NEXT) | instid1(VALU_DEP_2)
	v_mul_f32_e32 v21, v20, v21
	v_mul_f32_e32 v22, v20, v22
	s_delay_alu instid0(VALU_DEP_1)
	v_dual_mul_f32 v20, v21, v19 :: v_dual_mul_f32 v19, v22, v1
	s_and_saveexec_b32 s1, vcc_lo
	s_cbranch_execz .LBB61_9
; %bb.11:                               ;   in Loop: Header=BB61_10 Depth=1
	; wave barrier
	ds_bpermute_b32 v1, v12, v20
	ds_load_u16 v21, v14
	ds_bpermute_b32 v22, v12, v19
	ds_load_u16 v23, v16
	ds_load_u16 v24, v13
	;; [unrolled: 1-line block ×3, first 2 shown]
	; wave barrier
	s_waitcnt lgkmcnt(5)
	v_cndmask_b32_e64 v1, v1, -v1, s0
	s_waitcnt lgkmcnt(4)
	v_lshlrev_b32_e32 v21, 16, v21
	s_waitcnt lgkmcnt(3)
	v_cndmask_b32_e64 v22, v22, -v22, s0
	s_waitcnt lgkmcnt(2)
	v_lshlrev_b32_e32 v23, 16, v23
	s_waitcnt lgkmcnt(1)
	v_lshlrev_b32_e32 v24, 16, v24
	;; [unrolled: 2-line block ×3, first 2 shown]
	v_mul_f32_e32 v1, v1, v21
	v_mul_f32_e32 v21, v22, v23
	s_delay_alu instid0(VALU_DEP_2) | instskip(NEXT) | instid1(VALU_DEP_1)
	v_fmac_f32_e32 v1, v20, v24
	v_dual_fmac_f32 v21, v19, v25 :: v_dual_mov_b32 v20, v1
	s_delay_alu instid0(VALU_DEP_1)
	v_mov_b32_e32 v19, v21
	s_branch .LBB61_9
.LBB61_12:
	s_nop 0
	s_sendmsg sendmsg(MSG_DEALLOC_VGPRS)
	s_endpgm
	.section	.rodata,"a",@progbits
	.p2align	6, 0x0
	.amdhsa_kernel _ZN12tensorrt_llm7kernels32fusedQKNormRopeKernelNTokenHeadsIN3c104HalfENS2_8BFloat16ELi64ELb0ELi4EEEvPviiifPKvS7_S7_PKlii
		.amdhsa_group_segment_fixed_size 0
		.amdhsa_private_segment_fixed_size 0
		.amdhsa_kernarg_size 320
		.amdhsa_user_sgpr_count 15
		.amdhsa_user_sgpr_dispatch_ptr 0
		.amdhsa_user_sgpr_queue_ptr 0
		.amdhsa_user_sgpr_kernarg_segment_ptr 1
		.amdhsa_user_sgpr_dispatch_id 0
		.amdhsa_user_sgpr_private_segment_size 0
		.amdhsa_wavefront_size32 1
		.amdhsa_uses_dynamic_stack 0
		.amdhsa_enable_private_segment 0
		.amdhsa_system_sgpr_workgroup_id_x 1
		.amdhsa_system_sgpr_workgroup_id_y 0
		.amdhsa_system_sgpr_workgroup_id_z 0
		.amdhsa_system_sgpr_workgroup_info 0
		.amdhsa_system_vgpr_workitem_id 0
		.amdhsa_next_free_vgpr 26
		.amdhsa_next_free_sgpr 21
		.amdhsa_reserve_vcc 1
		.amdhsa_float_round_mode_32 0
		.amdhsa_float_round_mode_16_64 0
		.amdhsa_float_denorm_mode_32 3
		.amdhsa_float_denorm_mode_16_64 3
		.amdhsa_dx10_clamp 1
		.amdhsa_ieee_mode 1
		.amdhsa_fp16_overflow 0
		.amdhsa_workgroup_processor_mode 1
		.amdhsa_memory_ordered 1
		.amdhsa_forward_progress 0
		.amdhsa_shared_vgpr_count 0
		.amdhsa_exception_fp_ieee_invalid_op 0
		.amdhsa_exception_fp_denorm_src 0
		.amdhsa_exception_fp_ieee_div_zero 0
		.amdhsa_exception_fp_ieee_overflow 0
		.amdhsa_exception_fp_ieee_underflow 0
		.amdhsa_exception_fp_ieee_inexact 0
		.amdhsa_exception_int_div_zero 0
	.end_amdhsa_kernel
	.section	.text._ZN12tensorrt_llm7kernels32fusedQKNormRopeKernelNTokenHeadsIN3c104HalfENS2_8BFloat16ELi64ELb0ELi4EEEvPviiifPKvS7_S7_PKlii,"axG",@progbits,_ZN12tensorrt_llm7kernels32fusedQKNormRopeKernelNTokenHeadsIN3c104HalfENS2_8BFloat16ELi64ELb0ELi4EEEvPviiifPKvS7_S7_PKlii,comdat
.Lfunc_end61:
	.size	_ZN12tensorrt_llm7kernels32fusedQKNormRopeKernelNTokenHeadsIN3c104HalfENS2_8BFloat16ELi64ELb0ELi4EEEvPviiifPKvS7_S7_PKlii, .Lfunc_end61-_ZN12tensorrt_llm7kernels32fusedQKNormRopeKernelNTokenHeadsIN3c104HalfENS2_8BFloat16ELi64ELb0ELi4EEEvPviiifPKvS7_S7_PKlii
                                        ; -- End function
	.section	.AMDGPU.csdata,"",@progbits
; Kernel info:
; codeLenInByte = 1920
; NumSgprs: 23
; NumVgprs: 26
; ScratchSize: 0
; MemoryBound: 0
; FloatMode: 240
; IeeeMode: 1
; LDSByteSize: 0 bytes/workgroup (compile time only)
; SGPRBlocks: 2
; VGPRBlocks: 3
; NumSGPRsForWavesPerEU: 23
; NumVGPRsForWavesPerEU: 26
; Occupancy: 16
; WaveLimiterHint : 0
; COMPUTE_PGM_RSRC2:SCRATCH_EN: 0
; COMPUTE_PGM_RSRC2:USER_SGPR: 15
; COMPUTE_PGM_RSRC2:TRAP_HANDLER: 0
; COMPUTE_PGM_RSRC2:TGID_X_EN: 1
; COMPUTE_PGM_RSRC2:TGID_Y_EN: 0
; COMPUTE_PGM_RSRC2:TGID_Z_EN: 0
; COMPUTE_PGM_RSRC2:TIDIG_COMP_CNT: 0
	.section	.text._ZN12tensorrt_llm7kernels32fusedQKNormRopeKernelNTokenHeadsIN3c104HalfENS2_8BFloat16ELi128ELb1ELi4EEEvPviiifPKvS7_S7_PKlii,"axG",@progbits,_ZN12tensorrt_llm7kernels32fusedQKNormRopeKernelNTokenHeadsIN3c104HalfENS2_8BFloat16ELi128ELb1ELi4EEEvPviiifPKvS7_S7_PKlii,comdat
	.protected	_ZN12tensorrt_llm7kernels32fusedQKNormRopeKernelNTokenHeadsIN3c104HalfENS2_8BFloat16ELi128ELb1ELi4EEEvPviiifPKvS7_S7_PKlii ; -- Begin function _ZN12tensorrt_llm7kernels32fusedQKNormRopeKernelNTokenHeadsIN3c104HalfENS2_8BFloat16ELi128ELb1ELi4EEEvPviiifPKvS7_S7_PKlii
	.globl	_ZN12tensorrt_llm7kernels32fusedQKNormRopeKernelNTokenHeadsIN3c104HalfENS2_8BFloat16ELi128ELb1ELi4EEEvPviiifPKvS7_S7_PKlii
	.p2align	8
	.type	_ZN12tensorrt_llm7kernels32fusedQKNormRopeKernelNTokenHeadsIN3c104HalfENS2_8BFloat16ELi128ELb1ELi4EEEvPviiifPKvS7_S7_PKlii,@function
_ZN12tensorrt_llm7kernels32fusedQKNormRopeKernelNTokenHeadsIN3c104HalfENS2_8BFloat16ELi128ELb1ELi4EEEvPviiifPKvS7_S7_PKlii: ; @_ZN12tensorrt_llm7kernels32fusedQKNormRopeKernelNTokenHeadsIN3c104HalfENS2_8BFloat16ELi128ELb1ELi4EEEvPviiifPKvS7_S7_PKlii
; %bb.0:
	s_clause 0x1
	s_load_b128 s[16:19], s[0:1], 0x8
	s_load_b64 s[2:3], s[0:1], 0x38
	s_waitcnt lgkmcnt(0)
	s_add_i32 s4, s17, s16
	s_delay_alu instid0(SALU_CYCLE_1) | instskip(NEXT) | instid1(SALU_CYCLE_1)
	s_add_i32 s5, s4, 3
	s_ashr_i32 s6, s5, 31
	s_delay_alu instid0(SALU_CYCLE_1) | instskip(NEXT) | instid1(SALU_CYCLE_1)
	s_lshr_b32 s6, s6, 30
	s_add_i32 s5, s5, s6
	s_delay_alu instid0(SALU_CYCLE_1) | instskip(SKIP_2) | instid1(SALU_CYCLE_1)
	s_ashr_i32 s14, s5, 2
	s_load_b32 s5, s[0:1], 0x4c
	s_abs_i32 s6, s14
	v_cvt_f32_u32_e32 v1, s6
	s_sub_i32 s7, 0, s6
	s_delay_alu instid0(VALU_DEP_1) | instskip(SKIP_4) | instid1(VALU_DEP_1)
	v_rcp_iflag_f32_e32 v1, v1
	s_waitcnt_depctr 0xfff
	v_mul_f32_e32 v1, 0x4f7ffffe, v1
	s_waitcnt lgkmcnt(0)
	s_bfe_u32 s5, s5, 0xb0005
	v_cvt_u32_f32_e32 v4, v1
	v_lshrrev_b32_e32 v1, 5, v0
	s_delay_alu instid0(VALU_DEP_2) | instskip(NEXT) | instid1(VALU_DEP_2)
	v_mul_lo_u32 v5, s7, v4
	v_mad_u64_u32 v[2:3], null, s15, s5, v[1:2]
	s_delay_alu instid0(VALU_DEP_2) | instskip(NEXT) | instid1(VALU_DEP_2)
	v_mul_hi_u32 v3, v4, v5
	v_sub_nc_u32_e32 v5, 0, v2
	s_delay_alu instid0(VALU_DEP_1) | instskip(NEXT) | instid1(VALU_DEP_3)
	v_max_i32_e32 v5, v2, v5
	v_add_nc_u32_e32 v3, v4, v3
	s_delay_alu instid0(VALU_DEP_1) | instskip(NEXT) | instid1(VALU_DEP_1)
	v_mul_hi_u32 v3, v5, v3
	v_mul_lo_u32 v4, v3, s6
	s_delay_alu instid0(VALU_DEP_1) | instskip(SKIP_1) | instid1(VALU_DEP_2)
	v_sub_nc_u32_e32 v4, v5, v4
	v_add_nc_u32_e32 v5, 1, v3
	v_subrev_nc_u32_e32 v6, s6, v4
	v_cmp_le_u32_e32 vcc_lo, s6, v4
	s_delay_alu instid0(VALU_DEP_2) | instskip(SKIP_1) | instid1(VALU_DEP_2)
	v_dual_cndmask_b32 v4, v4, v6 :: v_dual_cndmask_b32 v3, v3, v5
	v_xor_b32_e32 v5, s14, v2
	v_cmp_le_u32_e32 vcc_lo, s6, v4
	s_delay_alu instid0(VALU_DEP_3) | instskip(NEXT) | instid1(VALU_DEP_3)
	v_add_nc_u32_e32 v6, 1, v3
	v_ashrrev_i32_e32 v5, 31, v5
	s_delay_alu instid0(VALU_DEP_2) | instskip(NEXT) | instid1(VALU_DEP_1)
	v_cndmask_b32_e32 v3, v3, v6, vcc_lo
	v_xor_b32_e32 v3, v3, v5
	s_delay_alu instid0(VALU_DEP_1) | instskip(NEXT) | instid1(VALU_DEP_1)
	v_sub_nc_u32_e32 v4, v3, v5
	v_cmp_gt_i32_e32 vcc_lo, s2, v4
	s_and_saveexec_b32 s2, vcc_lo
	s_cbranch_execz .LBB62_12
; %bb.1:
	v_mul_lo_u32 v3, v4, s14
	s_load_b64 s[12:13], s[0:1], 0x0
	v_and_b32_e32 v9, 31, v0
	v_lshlrev_b32_e32 v11, 10, v1
	v_lshlrev_b32_e32 v8, 9, v2
	s_lshl_b32 s20, s3, 1
	s_delay_alu instid0(VALU_DEP_3) | instskip(SKIP_2) | instid1(VALU_DEP_1)
	v_lshlrev_b32_e32 v10, 3, v9
	v_sub_nc_u32_e32 v3, v2, v3
	s_mul_i32 s15, s20, s5
	v_lshlrev_b32_e32 v6, 2, v3
	s_delay_alu instid0(VALU_DEP_1) | instskip(SKIP_1) | instid1(VALU_DEP_2)
	v_add_nc_u32_e32 v3, 4, v6
	v_sub_nc_u32_e32 v5, s4, v6
	v_cmp_lt_i32_e32 vcc_lo, s4, v3
	s_delay_alu instid0(VALU_DEP_2) | instskip(NEXT) | instid1(VALU_DEP_1)
	v_cndmask_b32_e32 v7, 4, v5, vcc_lo
	v_cmp_lt_i32_e32 vcc_lo, 0, v7
	s_and_saveexec_b32 s4, vcc_lo
	s_cbranch_execz .LBB62_4
; %bb.2:
	s_add_i32 s2, s18, s17
	s_lshl_b32 s5, s14, 2
	s_add_i32 s2, s2, s16
	s_mov_b32 s6, 0
	s_sub_i32 s2, s2, s5
	s_mov_b32 s5, 0
	v_mul_lo_u32 v0, s2, v4
	s_add_i32 s2, s15, 0
	s_delay_alu instid0(VALU_DEP_1) | instskip(SKIP_1) | instid1(VALU_DEP_2)
	v_lshl_add_u32 v2, v0, 7, v8
	v_add3_u32 v0, s2, v11, v10
	v_lshl_or_b32 v2, v9, 2, v2
	.p2align	6
.LBB62_3:                               ; =>This Inner Loop Header: Depth=1
	s_delay_alu instid0(VALU_DEP_1) | instskip(SKIP_1) | instid1(VALU_DEP_1)
	v_ashrrev_i32_e32 v3, 31, v2
	s_add_i32 s6, s6, 1
	v_lshlrev_b64 v[12:13], 1, v[2:3]
	v_add_nc_u32_e32 v2, 0x80, v2
	s_waitcnt lgkmcnt(0)
	s_delay_alu instid0(VALU_DEP_2) | instskip(NEXT) | instid1(VALU_DEP_1)
	v_add_co_u32 v12, s2, s12, v12
	v_add_co_ci_u32_e64 v13, s2, s13, v13, s2
	v_cmp_ge_i32_e64 s2, s6, v7
	global_load_b64 v[12:13], v[12:13], off
	s_or_b32 s5, s2, s5
	s_waitcnt vmcnt(0)
	ds_store_b64 v0, v[12:13]
	v_add_nc_u32_e32 v0, 0x100, v0
	s_and_not1_b32 exec_lo, exec_lo, s5
	s_cbranch_execnz .LBB62_3
.LBB62_4:
	s_or_b32 exec_lo, exec_lo, s4
	s_load_b256 s[4:11], s[0:1], 0x18
	v_mul_lo_u32 v0, v1, s3
	s_add_i32 s0, s20, 15
	s_mov_b32 s20, exec_lo
	s_ashr_i32 s1, s0, 31
	s_delay_alu instid0(SALU_CYCLE_1) | instskip(NEXT) | instid1(SALU_CYCLE_1)
	s_lshr_b32 s1, s1, 28
	s_add_i32 s0, s0, s1
	s_delay_alu instid0(VALU_DEP_1) | instskip(SKIP_1) | instid1(SALU_CYCLE_1)
	v_lshlrev_b32_e32 v12, 1, v0
	s_ashr_i32 s2, s0, 4
	v_cmpx_gt_i32_e64 s2, v9
	s_cbranch_execz .LBB62_7
; %bb.5:
	v_ashrrev_i32_e32 v5, 31, v4
	s_delay_alu instid0(VALU_DEP_1) | instskip(SKIP_1) | instid1(VALU_DEP_1)
	v_lshlrev_b64 v[0:1], 3, v[4:5]
	s_waitcnt lgkmcnt(0)
	v_add_co_u32 v0, s0, s10, v0
	s_delay_alu instid0(VALU_DEP_1)
	v_add_co_ci_u32_e64 v1, s0, s11, v1, s0
	s_ashr_i32 s0, s3, 31
	global_load_b64 v[0:1], v[0:1], off
	s_waitcnt vmcnt(0)
	v_mul_lo_u32 v3, v1, s3
	v_mul_lo_u32 v5, v0, s0
	v_mad_u64_u32 v[1:2], null, v0, s3, 0
	s_delay_alu instid0(VALU_DEP_1) | instskip(SKIP_1) | instid1(VALU_DEP_2)
	v_add3_u32 v2, v2, v5, v3
	v_mov_b32_e32 v3, v9
	v_lshlrev_b64 v[0:1], 1, v[1:2]
	v_lshlrev_b32_e32 v2, 4, v9
	s_delay_alu instid0(VALU_DEP_1) | instskip(NEXT) | instid1(VALU_DEP_1)
	v_add_co_u32 v0, s0, v0, v2
	v_add_co_ci_u32_e64 v1, s0, 0, v1, s0
	v_add3_u32 v2, v12, v2, 0
	s_delay_alu instid0(VALU_DEP_3) | instskip(NEXT) | instid1(VALU_DEP_1)
	v_add_co_u32 v0, s0, s8, v0
	v_add_co_ci_u32_e64 v1, s0, s9, v1, s0
	s_mov_b32 s8, 0
	.p2align	6
.LBB62_6:                               ; =>This Inner Loop Header: Depth=1
	global_load_b128 v[13:16], v[0:1], off
	v_add_nc_u32_e32 v3, 32, v3
	v_add_co_u32 v0, s0, 0x200, v0
	s_delay_alu instid0(VALU_DEP_1) | instskip(NEXT) | instid1(VALU_DEP_3)
	v_add_co_ci_u32_e64 v1, s0, 0, v1, s0
	v_cmp_le_i32_e64 s1, s2, v3
	s_delay_alu instid0(VALU_DEP_1)
	s_or_b32 s8, s1, s8
	s_waitcnt vmcnt(0)
	ds_store_b128 v2, v[13:16]
	v_add_nc_u32_e32 v2, 0x200, v2
	s_and_not1_b32 exec_lo, exec_lo, s8
	s_cbranch_execnz .LBB62_6
.LBB62_7:
	s_or_b32 exec_lo, exec_lo, s20
	s_delay_alu instid0(SALU_CYCLE_1)
	s_and_b32 exec_lo, exec_lo, vcc_lo
	s_cbranch_execz .LBB62_12
; %bb.8:
	s_waitcnt lgkmcnt(0)
	s_clause 0x1
	global_load_b64 v[0:1], v10, s[4:5]
	global_load_b64 v[2:3], v10, s[6:7]
	v_mbcnt_lo_u32_b32 v13, -1, 0
	s_lshr_b32 s0, s3, 31
	s_ashr_i32 s1, s3, 31
	s_add_i32 s0, s3, s0
	s_lshr_b32 s1, s1, 30
	v_xor_b32_e32 v15, 16, v13
	s_and_b32 s5, s0, -2
	s_add_i32 s0, s3, s1
	v_lshlrev_b32_e32 v5, 2, v9
	s_ashr_i32 s0, s0, 2
	v_xor_b32_e32 v16, 8, v13
	v_cmp_gt_i32_e32 vcc_lo, s0, v9
	v_cmp_gt_i32_e64 s0, 32, v15
	v_add_nc_u32_e32 v14, s15, v11
	v_xor_b32_e32 v17, 4, v13
	v_add3_u32 v11, 0, v12, v5
	v_xor_b32_e32 v18, 2, v13
	v_cndmask_b32_e64 v12, v13, v15, s0
	v_cmp_gt_i32_e64 s0, 32, v16
	v_add3_u32 v10, v14, v10, 0
	s_add_i32 s2, s18, s17
	s_lshl_b32 s4, s14, 2
	s_add_i32 s2, s2, s16
	v_cndmask_b32_e64 v14, v13, v16, s0
	v_cmp_gt_i32_e64 s0, 32, v17
	s_sub_i32 s1, s2, s4
	v_xor_b32_e32 v19, 1, v13
	v_mul_lo_u32 v4, s1, v4
	v_add_nc_u32_e32 v9, s5, v11
	v_cndmask_b32_e64 v15, v13, v17, s0
	v_cmp_gt_i32_e64 s0, 32, v18
	s_mov_b32 s2, 0
	s_mov_b32 s3, 0
	s_delay_alu instid0(VALU_DEP_1)
	v_cndmask_b32_e64 v16, v13, v18, s0
	v_cmp_gt_i32_e64 s0, 32, v19
	v_lshl_add_u32 v4, v4, 7, v8
	v_lshlrev_b32_e32 v8, 2, v12
	v_lshlrev_b32_e32 v12, 2, v14
	;; [unrolled: 1-line block ×3, first 2 shown]
	v_cndmask_b32_e64 v17, v13, v19, s0
	v_lshlrev_b32_e32 v13, 2, v15
	v_or_b32_e32 v4, v4, v5
	s_delay_alu instid0(VALU_DEP_3)
	v_lshlrev_b32_e32 v15, 2, v17
	s_waitcnt vmcnt(1)
	v_lshrrev_b32_e32 v16, 16, v0
	s_waitcnt vmcnt(0)
	v_lshrrev_b32_e32 v17, 16, v2
	v_lshrrev_b32_e32 v18, 16, v1
	;; [unrolled: 1-line block ×3, first 2 shown]
	s_branch .LBB62_10
.LBB62_9:                               ;   in Loop: Header=BB62_10 Depth=1
	s_or_b32 exec_lo, exec_lo, s0
	v_ashrrev_i32_e32 v5, 31, v4
	s_delay_alu instid0(VALU_DEP_2)
	v_cvt_f16_f32_e32 v24, v23
	v_cvt_f16_f32_e32 v25, v22
	;; [unrolled: 1-line block ×3, first 2 shown]
	s_add_i32 s3, s3, 1
	v_lshlrev_b64 v[22:23], 1, v[4:5]
	v_cvt_f16_f32_e32 v5, v21
	v_pack_b32_f16 v21, v24, v25
	v_add_nc_u32_e32 v4, 0x80, v4
	v_add_nc_u32_e32 v10, 0x100, v10
	s_delay_alu instid0(VALU_DEP_4) | instskip(SKIP_1) | instid1(VALU_DEP_1)
	v_pack_b32_f16 v20, v5, v20
	v_add_co_u32 v22, s0, s12, v22
	v_add_co_ci_u32_e64 v23, s0, s13, v23, s0
	v_cmp_ge_i32_e64 s0, s3, v7
	global_store_b64 v[22:23], v[20:21], off
	s_or_b32 s2, s0, s2
	s_delay_alu instid0(SALU_CYCLE_1)
	s_and_not1_b32 exec_lo, exec_lo, s2
	s_cbranch_execz .LBB62_12
.LBB62_10:                              ; =>This Inner Loop Header: Depth=1
	ds_load_b64 v[20:21], v10
	s_waitcnt lgkmcnt(0)
	v_lshrrev_b32_e32 v5, 16, v20
	v_lshrrev_b32_e32 v28, 16, v21
	s_delay_alu instid0(VALU_DEP_2) | instskip(NEXT) | instid1(VALU_DEP_2)
	v_cvt_f32_f16_e32 v5, v5
	v_cvt_f32_f16_e32 v28, v28
	s_delay_alu instid0(VALU_DEP_2) | instskip(NEXT) | instid1(VALU_DEP_1)
	v_mul_f32_e32 v22, v5, v5
	v_fma_mix_f32 v22, v20, v20, v22 op_sel_hi:[1,1,0]
	s_delay_alu instid0(VALU_DEP_1) | instskip(NEXT) | instid1(VALU_DEP_1)
	v_fma_mix_f32 v22, v21, v21, v22 op_sel_hi:[1,1,0]
	v_fma_mix_f32 v22, v21, v21, v22 op_sel:[1,1,0] op_sel_hi:[1,1,0]
	ds_bpermute_b32 v23, v8, v22
	s_waitcnt lgkmcnt(0)
	v_add_f32_e32 v22, v22, v23
	ds_bpermute_b32 v23, v12, v22
	s_waitcnt lgkmcnt(0)
	v_add_f32_e32 v22, v22, v23
	;; [unrolled: 3-line block ×5, first 2 shown]
	s_delay_alu instid0(VALU_DEP_1) | instskip(NEXT) | instid1(VALU_DEP_1)
	v_fma_f32 v22, 0x3c000000, v22, s19
	v_mul_f32_e32 v23, 0x4b800000, v22
	v_cmp_gt_f32_e64 s0, 0x800000, v22
	s_delay_alu instid0(VALU_DEP_1) | instskip(SKIP_1) | instid1(VALU_DEP_2)
	v_cndmask_b32_e64 v22, v22, v23, s0
	v_add_nc_u32_e32 v23, s3, v6
	v_rsq_f32_e32 v22, v22
	s_delay_alu instid0(VALU_DEP_1) | instskip(NEXT) | instid1(VALU_DEP_1)
	v_cmp_gt_i32_e64 s1, s16, v23
	v_cndmask_b32_e64 v24, v2, v0, s1
	v_cndmask_b32_e64 v23, v17, v16, s1
	;; [unrolled: 1-line block ×4, first 2 shown]
	s_delay_alu instid0(VALU_DEP_4) | instskip(NEXT) | instid1(TRANS32_DEP_1)
	v_cvt_f32_f16_e32 v24, v24
	v_mul_f32_e32 v26, 0x45800000, v22
	v_cvt_f32_f16_e32 v23, v23
	v_cvt_f32_f16_e32 v25, v25
	s_delay_alu instid0(VALU_DEP_3) | instskip(SKIP_3) | instid1(VALU_DEP_4)
	v_cndmask_b32_e64 v22, v22, v26, s0
	v_cvt_f32_f16_e32 v26, v27
	v_cvt_f32_f16_e32 v27, v21
	;; [unrolled: 1-line block ×3, first 2 shown]
	v_mul_f32_e32 v20, v22, v23
	v_mul_f32_e32 v23, v22, v24
	;; [unrolled: 1-line block ×3, first 2 shown]
	s_delay_alu instid0(VALU_DEP_3) | instskip(NEXT) | instid1(VALU_DEP_2)
	v_dual_mul_f32 v25, v22, v26 :: v_dual_mul_f32 v20, v20, v5
	v_dual_mul_f32 v21, v23, v21 :: v_dual_mul_f32 v22, v24, v28
	s_delay_alu instid0(VALU_DEP_2)
	v_mul_f32_e32 v23, v25, v27
	s_and_saveexec_b32 s0, vcc_lo
	s_cbranch_execz .LBB62_9
; %bb.11:                               ;   in Loop: Header=BB62_10 Depth=1
	ds_load_u16 v5, v9
	ds_load_u16 v24, v9 offset:2
	ds_load_u16 v25, v11
	ds_load_u16 v26, v11 offset:2
	s_waitcnt lgkmcnt(2)
	v_lshlrev_b32_e32 v24, 16, v24
	v_lshlrev_b32_e32 v5, 16, v5
	s_waitcnt lgkmcnt(0)
	v_lshlrev_b32_e32 v26, 16, v26
	s_delay_alu instid0(VALU_DEP_3) | instskip(NEXT) | instid1(VALU_DEP_2)
	v_dual_mul_f32 v28, v22, v24 :: v_dual_lshlrev_b32 v25, 16, v25
	v_dual_mul_f32 v27, v20, v5 :: v_dual_mul_f32 v22, v22, v26
	s_delay_alu instid0(VALU_DEP_2) | instskip(NEXT) | instid1(VALU_DEP_2)
	v_mul_f32_e32 v20, v20, v25
	v_fma_f32 v25, v21, v25, -v27
	s_delay_alu instid0(VALU_DEP_3) | instskip(NEXT) | instid1(VALU_DEP_3)
	v_fmac_f32_e32 v22, v23, v24
	v_fmac_f32_e32 v20, v21, v5
	s_delay_alu instid0(VALU_DEP_3) | instskip(SKIP_1) | instid1(VALU_DEP_1)
	v_mov_b32_e32 v21, v25
	v_fma_f32 v26, v23, v26, -v28
	v_mov_b32_e32 v23, v26
	s_branch .LBB62_9
.LBB62_12:
	s_nop 0
	s_sendmsg sendmsg(MSG_DEALLOC_VGPRS)
	s_endpgm
	.section	.rodata,"a",@progbits
	.p2align	6, 0x0
	.amdhsa_kernel _ZN12tensorrt_llm7kernels32fusedQKNormRopeKernelNTokenHeadsIN3c104HalfENS2_8BFloat16ELi128ELb1ELi4EEEvPviiifPKvS7_S7_PKlii
		.amdhsa_group_segment_fixed_size 0
		.amdhsa_private_segment_fixed_size 0
		.amdhsa_kernarg_size 320
		.amdhsa_user_sgpr_count 15
		.amdhsa_user_sgpr_dispatch_ptr 0
		.amdhsa_user_sgpr_queue_ptr 0
		.amdhsa_user_sgpr_kernarg_segment_ptr 1
		.amdhsa_user_sgpr_dispatch_id 0
		.amdhsa_user_sgpr_private_segment_size 0
		.amdhsa_wavefront_size32 1
		.amdhsa_uses_dynamic_stack 0
		.amdhsa_enable_private_segment 0
		.amdhsa_system_sgpr_workgroup_id_x 1
		.amdhsa_system_sgpr_workgroup_id_y 0
		.amdhsa_system_sgpr_workgroup_id_z 0
		.amdhsa_system_sgpr_workgroup_info 0
		.amdhsa_system_vgpr_workitem_id 0
		.amdhsa_next_free_vgpr 29
		.amdhsa_next_free_sgpr 21
		.amdhsa_reserve_vcc 1
		.amdhsa_float_round_mode_32 0
		.amdhsa_float_round_mode_16_64 0
		.amdhsa_float_denorm_mode_32 3
		.amdhsa_float_denorm_mode_16_64 3
		.amdhsa_dx10_clamp 1
		.amdhsa_ieee_mode 1
		.amdhsa_fp16_overflow 0
		.amdhsa_workgroup_processor_mode 1
		.amdhsa_memory_ordered 1
		.amdhsa_forward_progress 0
		.amdhsa_shared_vgpr_count 0
		.amdhsa_exception_fp_ieee_invalid_op 0
		.amdhsa_exception_fp_denorm_src 0
		.amdhsa_exception_fp_ieee_div_zero 0
		.amdhsa_exception_fp_ieee_overflow 0
		.amdhsa_exception_fp_ieee_underflow 0
		.amdhsa_exception_fp_ieee_inexact 0
		.amdhsa_exception_int_div_zero 0
	.end_amdhsa_kernel
	.section	.text._ZN12tensorrt_llm7kernels32fusedQKNormRopeKernelNTokenHeadsIN3c104HalfENS2_8BFloat16ELi128ELb1ELi4EEEvPviiifPKvS7_S7_PKlii,"axG",@progbits,_ZN12tensorrt_llm7kernels32fusedQKNormRopeKernelNTokenHeadsIN3c104HalfENS2_8BFloat16ELi128ELb1ELi4EEEvPviiifPKvS7_S7_PKlii,comdat
.Lfunc_end62:
	.size	_ZN12tensorrt_llm7kernels32fusedQKNormRopeKernelNTokenHeadsIN3c104HalfENS2_8BFloat16ELi128ELb1ELi4EEEvPviiifPKvS7_S7_PKlii, .Lfunc_end62-_ZN12tensorrt_llm7kernels32fusedQKNormRopeKernelNTokenHeadsIN3c104HalfENS2_8BFloat16ELi128ELb1ELi4EEEvPviiifPKvS7_S7_PKlii
                                        ; -- End function
	.section	.AMDGPU.csdata,"",@progbits
; Kernel info:
; codeLenInByte = 1744
; NumSgprs: 23
; NumVgprs: 29
; ScratchSize: 0
; MemoryBound: 0
; FloatMode: 240
; IeeeMode: 1
; LDSByteSize: 0 bytes/workgroup (compile time only)
; SGPRBlocks: 2
; VGPRBlocks: 3
; NumSGPRsForWavesPerEU: 23
; NumVGPRsForWavesPerEU: 29
; Occupancy: 16
; WaveLimiterHint : 0
; COMPUTE_PGM_RSRC2:SCRATCH_EN: 0
; COMPUTE_PGM_RSRC2:USER_SGPR: 15
; COMPUTE_PGM_RSRC2:TRAP_HANDLER: 0
; COMPUTE_PGM_RSRC2:TGID_X_EN: 1
; COMPUTE_PGM_RSRC2:TGID_Y_EN: 0
; COMPUTE_PGM_RSRC2:TGID_Z_EN: 0
; COMPUTE_PGM_RSRC2:TIDIG_COMP_CNT: 0
	.section	.text._ZN12tensorrt_llm7kernels32fusedQKNormRopeKernelNTokenHeadsIN3c104HalfENS2_8BFloat16ELi128ELb0ELi4EEEvPviiifPKvS7_S7_PKlii,"axG",@progbits,_ZN12tensorrt_llm7kernels32fusedQKNormRopeKernelNTokenHeadsIN3c104HalfENS2_8BFloat16ELi128ELb0ELi4EEEvPviiifPKvS7_S7_PKlii,comdat
	.protected	_ZN12tensorrt_llm7kernels32fusedQKNormRopeKernelNTokenHeadsIN3c104HalfENS2_8BFloat16ELi128ELb0ELi4EEEvPviiifPKvS7_S7_PKlii ; -- Begin function _ZN12tensorrt_llm7kernels32fusedQKNormRopeKernelNTokenHeadsIN3c104HalfENS2_8BFloat16ELi128ELb0ELi4EEEvPviiifPKvS7_S7_PKlii
	.globl	_ZN12tensorrt_llm7kernels32fusedQKNormRopeKernelNTokenHeadsIN3c104HalfENS2_8BFloat16ELi128ELb0ELi4EEEvPviiifPKvS7_S7_PKlii
	.p2align	8
	.type	_ZN12tensorrt_llm7kernels32fusedQKNormRopeKernelNTokenHeadsIN3c104HalfENS2_8BFloat16ELi128ELb0ELi4EEEvPviiifPKvS7_S7_PKlii,@function
_ZN12tensorrt_llm7kernels32fusedQKNormRopeKernelNTokenHeadsIN3c104HalfENS2_8BFloat16ELi128ELb0ELi4EEEvPviiifPKvS7_S7_PKlii: ; @_ZN12tensorrt_llm7kernels32fusedQKNormRopeKernelNTokenHeadsIN3c104HalfENS2_8BFloat16ELi128ELb0ELi4EEEvPviiifPKvS7_S7_PKlii
; %bb.0:
	s_clause 0x1
	s_load_b128 s[16:19], s[0:1], 0x8
	s_load_b64 s[2:3], s[0:1], 0x38
	s_waitcnt lgkmcnt(0)
	s_add_i32 s4, s17, s16
	s_delay_alu instid0(SALU_CYCLE_1) | instskip(NEXT) | instid1(SALU_CYCLE_1)
	s_add_i32 s5, s4, 3
	s_ashr_i32 s6, s5, 31
	s_delay_alu instid0(SALU_CYCLE_1) | instskip(NEXT) | instid1(SALU_CYCLE_1)
	s_lshr_b32 s6, s6, 30
	s_add_i32 s5, s5, s6
	s_delay_alu instid0(SALU_CYCLE_1) | instskip(SKIP_2) | instid1(SALU_CYCLE_1)
	s_ashr_i32 s14, s5, 2
	s_load_b32 s5, s[0:1], 0x4c
	s_abs_i32 s6, s14
	v_cvt_f32_u32_e32 v1, s6
	s_sub_i32 s7, 0, s6
	s_delay_alu instid0(VALU_DEP_1) | instskip(SKIP_4) | instid1(VALU_DEP_1)
	v_rcp_iflag_f32_e32 v1, v1
	s_waitcnt_depctr 0xfff
	v_mul_f32_e32 v1, 0x4f7ffffe, v1
	s_waitcnt lgkmcnt(0)
	s_bfe_u32 s5, s5, 0xb0005
	v_cvt_u32_f32_e32 v4, v1
	v_lshrrev_b32_e32 v1, 5, v0
	s_delay_alu instid0(VALU_DEP_2) | instskip(NEXT) | instid1(VALU_DEP_2)
	v_mul_lo_u32 v5, s7, v4
	v_mad_u64_u32 v[2:3], null, s15, s5, v[1:2]
	s_delay_alu instid0(VALU_DEP_2) | instskip(NEXT) | instid1(VALU_DEP_2)
	v_mul_hi_u32 v3, v4, v5
	v_sub_nc_u32_e32 v5, 0, v2
	s_delay_alu instid0(VALU_DEP_1) | instskip(NEXT) | instid1(VALU_DEP_3)
	v_max_i32_e32 v5, v2, v5
	v_add_nc_u32_e32 v3, v4, v3
	s_delay_alu instid0(VALU_DEP_1) | instskip(NEXT) | instid1(VALU_DEP_1)
	v_mul_hi_u32 v3, v5, v3
	v_mul_lo_u32 v4, v3, s6
	s_delay_alu instid0(VALU_DEP_1) | instskip(SKIP_1) | instid1(VALU_DEP_2)
	v_sub_nc_u32_e32 v4, v5, v4
	v_add_nc_u32_e32 v5, 1, v3
	v_subrev_nc_u32_e32 v6, s6, v4
	v_cmp_le_u32_e32 vcc_lo, s6, v4
	s_delay_alu instid0(VALU_DEP_2) | instskip(SKIP_1) | instid1(VALU_DEP_2)
	v_dual_cndmask_b32 v4, v4, v6 :: v_dual_cndmask_b32 v3, v3, v5
	v_xor_b32_e32 v5, s14, v2
	v_cmp_le_u32_e32 vcc_lo, s6, v4
	s_delay_alu instid0(VALU_DEP_3) | instskip(NEXT) | instid1(VALU_DEP_3)
	v_add_nc_u32_e32 v6, 1, v3
	v_ashrrev_i32_e32 v5, 31, v5
	s_delay_alu instid0(VALU_DEP_2) | instskip(NEXT) | instid1(VALU_DEP_1)
	v_cndmask_b32_e32 v3, v3, v6, vcc_lo
	v_xor_b32_e32 v3, v3, v5
	s_delay_alu instid0(VALU_DEP_1) | instskip(NEXT) | instid1(VALU_DEP_1)
	v_sub_nc_u32_e32 v4, v3, v5
	v_cmp_gt_i32_e32 vcc_lo, s2, v4
	s_and_saveexec_b32 s2, vcc_lo
	s_cbranch_execz .LBB63_12
; %bb.1:
	v_mul_lo_u32 v3, v4, s14
	s_load_b64 s[12:13], s[0:1], 0x0
	v_and_b32_e32 v9, 31, v0
	v_lshlrev_b32_e32 v11, 10, v1
	v_lshlrev_b32_e32 v10, 9, v2
	s_lshl_b32 s20, s3, 1
	s_delay_alu instid0(VALU_DEP_3) | instskip(SKIP_2) | instid1(VALU_DEP_1)
	v_lshlrev_b32_e32 v8, 3, v9
	v_sub_nc_u32_e32 v3, v2, v3
	s_mul_i32 s15, s20, s5
	v_lshlrev_b32_e32 v6, 2, v3
	s_delay_alu instid0(VALU_DEP_1) | instskip(SKIP_1) | instid1(VALU_DEP_2)
	v_add_nc_u32_e32 v3, 4, v6
	v_sub_nc_u32_e32 v5, s4, v6
	v_cmp_lt_i32_e32 vcc_lo, s4, v3
	s_delay_alu instid0(VALU_DEP_2) | instskip(NEXT) | instid1(VALU_DEP_1)
	v_cndmask_b32_e32 v7, 4, v5, vcc_lo
	v_cmp_lt_i32_e32 vcc_lo, 0, v7
	s_and_saveexec_b32 s4, vcc_lo
	s_cbranch_execz .LBB63_4
; %bb.2:
	s_add_i32 s2, s18, s17
	s_lshl_b32 s5, s14, 2
	s_add_i32 s2, s2, s16
	s_mov_b32 s6, 0
	s_sub_i32 s2, s2, s5
	s_mov_b32 s5, 0
	v_mul_lo_u32 v0, s2, v4
	s_add_i32 s2, s15, 0
	s_delay_alu instid0(VALU_DEP_1) | instskip(SKIP_1) | instid1(VALU_DEP_2)
	v_lshl_add_u32 v2, v0, 7, v10
	v_add3_u32 v0, s2, v11, v8
	v_lshl_or_b32 v2, v9, 2, v2
	.p2align	6
.LBB63_3:                               ; =>This Inner Loop Header: Depth=1
	s_delay_alu instid0(VALU_DEP_1) | instskip(SKIP_1) | instid1(VALU_DEP_1)
	v_ashrrev_i32_e32 v3, 31, v2
	s_add_i32 s6, s6, 1
	v_lshlrev_b64 v[12:13], 1, v[2:3]
	v_add_nc_u32_e32 v2, 0x80, v2
	s_waitcnt lgkmcnt(0)
	s_delay_alu instid0(VALU_DEP_2) | instskip(NEXT) | instid1(VALU_DEP_1)
	v_add_co_u32 v12, s2, s12, v12
	v_add_co_ci_u32_e64 v13, s2, s13, v13, s2
	v_cmp_ge_i32_e64 s2, s6, v7
	global_load_b64 v[12:13], v[12:13], off
	s_or_b32 s5, s2, s5
	s_waitcnt vmcnt(0)
	ds_store_b64 v0, v[12:13]
	v_add_nc_u32_e32 v0, 0x100, v0
	s_and_not1_b32 exec_lo, exec_lo, s5
	s_cbranch_execnz .LBB63_3
.LBB63_4:
	s_or_b32 exec_lo, exec_lo, s4
	s_load_b256 s[4:11], s[0:1], 0x18
	s_add_i32 s0, s20, 15
	v_mul_lo_u32 v12, v1, s3
	s_ashr_i32 s1, s0, 31
	s_mov_b32 s20, exec_lo
	s_lshr_b32 s1, s1, 28
	s_delay_alu instid0(SALU_CYCLE_1) | instskip(NEXT) | instid1(SALU_CYCLE_1)
	s_add_i32 s0, s0, s1
	s_ashr_i32 s2, s0, 4
	s_delay_alu instid0(SALU_CYCLE_1)
	v_cmpx_gt_i32_e64 s2, v9
	s_cbranch_execz .LBB63_7
; %bb.5:
	v_ashrrev_i32_e32 v5, 31, v4
	s_delay_alu instid0(VALU_DEP_1) | instskip(SKIP_1) | instid1(VALU_DEP_1)
	v_lshlrev_b64 v[0:1], 3, v[4:5]
	s_waitcnt lgkmcnt(0)
	v_add_co_u32 v0, s0, s10, v0
	s_delay_alu instid0(VALU_DEP_1)
	v_add_co_ci_u32_e64 v1, s0, s11, v1, s0
	s_ashr_i32 s0, s3, 31
	global_load_b64 v[0:1], v[0:1], off
	s_waitcnt vmcnt(0)
	v_mul_lo_u32 v3, v1, s3
	v_mul_lo_u32 v5, v0, s0
	v_mad_u64_u32 v[1:2], null, v0, s3, 0
	s_delay_alu instid0(VALU_DEP_1) | instskip(SKIP_1) | instid1(VALU_DEP_2)
	v_add3_u32 v2, v2, v5, v3
	v_lshlrev_b32_e32 v3, 1, v12
	v_lshlrev_b64 v[0:1], 1, v[1:2]
	v_lshlrev_b32_e32 v2, 4, v9
	s_delay_alu instid0(VALU_DEP_1) | instskip(NEXT) | instid1(VALU_DEP_1)
	v_add_co_u32 v0, s0, v0, v2
	v_add_co_ci_u32_e64 v1, s0, 0, v1, s0
	v_add3_u32 v2, v3, v2, 0
	v_mov_b32_e32 v3, v9
	s_delay_alu instid0(VALU_DEP_4) | instskip(NEXT) | instid1(VALU_DEP_1)
	v_add_co_u32 v0, s0, s8, v0
	v_add_co_ci_u32_e64 v1, s0, s9, v1, s0
	s_mov_b32 s8, 0
	.p2align	6
.LBB63_6:                               ; =>This Inner Loop Header: Depth=1
	global_load_b128 v[13:16], v[0:1], off
	v_add_nc_u32_e32 v3, 32, v3
	v_add_co_u32 v0, s0, 0x200, v0
	s_delay_alu instid0(VALU_DEP_1) | instskip(NEXT) | instid1(VALU_DEP_3)
	v_add_co_ci_u32_e64 v1, s0, 0, v1, s0
	v_cmp_le_i32_e64 s1, s2, v3
	s_delay_alu instid0(VALU_DEP_1)
	s_or_b32 s8, s1, s8
	s_waitcnt vmcnt(0)
	ds_store_b128 v2, v[13:16]
	v_add_nc_u32_e32 v2, 0x200, v2
	s_and_not1_b32 exec_lo, exec_lo, s8
	s_cbranch_execnz .LBB63_6
.LBB63_7:
	s_or_b32 exec_lo, exec_lo, s20
	s_delay_alu instid0(SALU_CYCLE_1)
	s_and_b32 exec_lo, exec_lo, vcc_lo
	s_cbranch_execz .LBB63_12
; %bb.8:
	s_waitcnt lgkmcnt(0)
	s_clause 0x1
	global_load_b64 v[0:1], v8, s[4:5]
	global_load_b64 v[2:3], v8, s[6:7]
	s_abs_i32 s2, s3
	v_lshl_add_u32 v21, v12, 1, 0
	v_cvt_f32_u32_e32 v5, s2
	v_mbcnt_lo_u32_b32 v12, -1, 0
	s_lshr_b32 s0, s3, 31
	s_ashr_i32 s1, s3, 31
	s_add_i32 s0, s3, s0
	s_lshr_b32 s6, s1, 30
	s_lshr_b32 s1, s1, 29
	v_rcp_iflag_f32_e32 v5, v5
	v_add_nc_u32_e32 v27, s15, v11
	v_xor_b32_e32 v11, 16, v12
	s_add_i32 s4, s18, s17
	s_and_b32 s0, s0, -2
	s_add_i32 s6, s3, s6
	s_add_i32 s1, s3, s1
	s_lshl_b32 s5, s14, 2
	s_add_i32 s4, s4, s16
	v_add_nc_u32_e32 v22, s0, v21
	s_ashr_i32 s0, s6, 2
	s_ashr_i32 s1, s1, 3
	s_sub_i32 s3, s4, s5
	v_cmp_gt_i32_e32 vcc_lo, s0, v9
	v_xor_b32_e32 v23, s1, v12
	v_cmp_gt_i32_e64 s0, s1, v9
	v_cmp_gt_i32_e64 s1, 32, v11
	v_mul_lo_u32 v4, s3, v4
	s_sub_i32 s7, 0, s2
	v_xor_b32_e32 v13, 8, v12
	v_xor_b32_e32 v18, 4, v12
	v_cndmask_b32_e64 v11, v12, v11, s1
	v_mul_f32_e32 v5, 0x4f7ffffe, v5
	v_xor_b32_e32 v19, 2, v12
	v_cmp_gt_i32_e64 s1, 32, v13
	v_lshl_add_u32 v4, v4, 7, v10
	v_lshlrev_b32_e32 v10, 2, v11
	v_cvt_u32_f32_e32 v5, v5
	v_or_b32_e32 v14, 2, v8
	v_cndmask_b32_e64 v13, v12, v13, s1
	v_cmp_gt_i32_e64 s1, 32, v18
	v_or_b32_e32 v15, 4, v8
	v_mul_lo_u32 v17, s7, v5
	v_or_b32_e32 v16, 6, v8
	v_xor_b32_e32 v20, 1, v12
	v_lshlrev_b32_e32 v11, 2, v13
	v_lshl_or_b32 v4, v9, 2, v4
	s_mov_b32 s3, 0
	s_mov_b32 s4, 0
	v_mul_hi_u32 v17, v5, v17
	s_delay_alu instid0(VALU_DEP_1) | instskip(SKIP_2) | instid1(VALU_DEP_3)
	v_add_nc_u32_e32 v5, v5, v17
	v_cndmask_b32_e64 v17, v12, v18, s1
	v_cmp_gt_i32_e64 s1, 32, v19
	v_mul_hi_u32 v24, v14, v5
	v_mul_hi_u32 v25, v15, v5
	s_delay_alu instid0(VALU_DEP_3) | instskip(SKIP_3) | instid1(VALU_DEP_4)
	v_cndmask_b32_e64 v18, v12, v19, s1
	v_mul_hi_u32 v19, v8, v5
	v_mul_hi_u32 v5, v16, v5
	v_cmp_gt_i32_e64 s1, 32, v20
	v_lshlrev_b32_e32 v13, 2, v18
	v_mul_lo_u32 v24, v24, s2
	v_mul_lo_u32 v25, v25, s2
	s_delay_alu instid0(VALU_DEP_4) | instskip(SKIP_4) | instid1(VALU_DEP_3)
	v_cndmask_b32_e64 v20, v12, v20, s1
	v_mul_lo_u32 v19, v19, s2
	v_cmp_gt_i32_e64 s1, 32, v23
	v_mul_lo_u32 v5, v5, s2
	v_sub_nc_u32_e32 v18, v14, v24
	v_cndmask_b32_e64 v23, v12, v23, s1
	v_lshlrev_b32_e32 v12, 2, v17
	v_sub_nc_u32_e32 v17, v8, v19
	v_sub_nc_u32_e32 v15, v15, v25
	v_sub_nc_u32_e32 v5, v16, v5
	v_subrev_nc_u32_e32 v19, s2, v18
	v_lshlrev_b32_e32 v14, 2, v20
	v_subrev_nc_u32_e32 v16, s2, v17
	v_cmp_le_u32_e64 s1, s2, v17
	v_subrev_nc_u32_e32 v20, s2, v15
	v_subrev_nc_u32_e32 v24, s2, v5
	v_add3_u32 v8, v27, v8, 0
	s_delay_alu instid0(VALU_DEP_4) | instskip(SKIP_1) | instid1(VALU_DEP_1)
	v_cndmask_b32_e64 v16, v17, v16, s1
	v_cmp_le_u32_e64 s1, s2, v18
	v_cndmask_b32_e64 v17, v18, v19, s1
	v_cmp_le_u32_e64 s1, s2, v15
	s_delay_alu instid0(VALU_DEP_4) | instskip(NEXT) | instid1(VALU_DEP_2)
	v_subrev_nc_u32_e32 v19, s2, v16
	v_cndmask_b32_e64 v18, v15, v20, s1
	v_cmp_le_u32_e64 s1, s2, v5
	v_subrev_nc_u32_e32 v20, s2, v17
	v_lshlrev_b32_e32 v15, 2, v23
	s_delay_alu instid0(VALU_DEP_4) | instskip(NEXT) | instid1(VALU_DEP_4)
	v_subrev_nc_u32_e32 v23, s2, v18
	v_cndmask_b32_e64 v5, v5, v24, s1
	v_cmp_le_u32_e64 s1, s2, v16
	s_delay_alu instid0(VALU_DEP_2) | instskip(NEXT) | instid1(VALU_DEP_2)
	v_subrev_nc_u32_e32 v24, s2, v5
	v_cndmask_b32_e64 v16, v16, v19, s1
	v_cmp_le_u32_e64 s1, s2, v17
	s_delay_alu instid0(VALU_DEP_2) | instskip(NEXT) | instid1(VALU_DEP_2)
	v_and_b32_e32 v16, -2, v16
	v_cndmask_b32_e64 v17, v17, v20, s1
	v_cmp_le_u32_e64 s1, s2, v18
	s_delay_alu instid0(VALU_DEP_3) | instskip(NEXT) | instid1(VALU_DEP_3)
	v_add_nc_u32_e32 v9, v21, v16
	v_and_b32_e32 v19, -2, v17
	s_delay_alu instid0(VALU_DEP_3) | instskip(SKIP_2) | instid1(VALU_DEP_4)
	v_cndmask_b32_e64 v18, v18, v23, s1
	v_cmp_le_u32_e64 s1, s2, v5
	v_add_nc_u32_e32 v16, v22, v16
	v_add_nc_u32_e32 v17, v21, v19
	s_delay_alu instid0(VALU_DEP_4) | instskip(NEXT) | instid1(VALU_DEP_4)
	v_and_b32_e32 v20, -2, v18
	v_cndmask_b32_e64 v5, v5, v24, s1
	v_add_nc_u32_e32 v18, v22, v19
	s_delay_alu instid0(VALU_DEP_3) | instskip(NEXT) | instid1(VALU_DEP_3)
	v_add_nc_u32_e32 v19, v21, v20
	v_and_b32_e32 v5, -2, v5
	v_add_nc_u32_e32 v20, v22, v20
	s_delay_alu instid0(VALU_DEP_2)
	v_add_nc_u32_e32 v21, v21, v5
	v_add_nc_u32_e32 v22, v22, v5
	s_waitcnt vmcnt(1)
	v_lshrrev_b32_e32 v23, 16, v0
	v_lshrrev_b32_e32 v24, 16, v1
	s_waitcnt vmcnt(0)
	v_lshrrev_b32_e32 v25, 16, v2
	v_lshrrev_b32_e32 v26, 16, v3
	s_branch .LBB63_10
.LBB63_9:                               ;   in Loop: Header=BB63_10 Depth=1
	s_or_b32 exec_lo, exec_lo, s1
	v_ashrrev_i32_e32 v5, 31, v4
	v_cvt_f16_f32_e32 v31, v30
	v_cvt_f16_f32_e32 v32, v29
	s_add_i32 s4, s4, 1
	v_add_nc_u32_e32 v8, 0x100, v8
	v_lshlrev_b64 v[29:30], 1, v[4:5]
	v_cvt_f16_f32_e32 v5, v27
	v_cvt_f16_f32_e32 v27, v28
	v_pack_b32_f16 v28, v31, v32
	v_add_nc_u32_e32 v4, 0x80, v4
	v_add_co_u32 v29, s1, s12, v29
	s_delay_alu instid0(VALU_DEP_1) | instskip(SKIP_2) | instid1(VALU_DEP_2)
	v_add_co_ci_u32_e64 v30, s1, s13, v30, s1
	v_cmp_ge_i32_e64 s1, s4, v7
	v_pack_b32_f16 v27, v5, v27
	s_or_b32 s3, s1, s3
	global_store_b64 v[29:30], v[27:28], off
	s_and_not1_b32 exec_lo, exec_lo, s3
	s_cbranch_execz .LBB63_12
.LBB63_10:                              ; =>This Inner Loop Header: Depth=1
	ds_load_b64 v[27:28], v8
	s_waitcnt lgkmcnt(0)
	v_lshrrev_b32_e32 v5, 16, v27
	v_lshrrev_b32_e32 v35, 16, v28
	s_delay_alu instid0(VALU_DEP_2) | instskip(NEXT) | instid1(VALU_DEP_2)
	v_cvt_f32_f16_e32 v5, v5
	v_cvt_f32_f16_e32 v35, v35
	s_delay_alu instid0(VALU_DEP_2) | instskip(NEXT) | instid1(VALU_DEP_1)
	v_mul_f32_e32 v29, v5, v5
	v_fma_mix_f32 v29, v27, v27, v29 op_sel_hi:[1,1,0]
	v_cvt_f32_f16_e32 v27, v27
	s_delay_alu instid0(VALU_DEP_2) | instskip(NEXT) | instid1(VALU_DEP_1)
	v_fma_mix_f32 v29, v28, v28, v29 op_sel_hi:[1,1,0]
	v_fma_mix_f32 v29, v28, v28, v29 op_sel:[1,1,0] op_sel_hi:[1,1,0]
	ds_bpermute_b32 v30, v10, v29
	s_waitcnt lgkmcnt(0)
	v_add_f32_e32 v29, v29, v30
	ds_bpermute_b32 v30, v11, v29
	s_waitcnt lgkmcnt(0)
	v_add_f32_e32 v29, v29, v30
	ds_bpermute_b32 v30, v12, v29
	s_waitcnt lgkmcnt(0)
	v_add_f32_e32 v29, v29, v30
	ds_bpermute_b32 v30, v13, v29
	s_waitcnt lgkmcnt(0)
	v_add_f32_e32 v29, v29, v30
	ds_bpermute_b32 v30, v14, v29
	s_waitcnt lgkmcnt(0)
	v_add_f32_e32 v29, v29, v30
	s_delay_alu instid0(VALU_DEP_1) | instskip(NEXT) | instid1(VALU_DEP_1)
	v_fma_f32 v29, 0x3c000000, v29, s19
	v_mul_f32_e32 v30, 0x4b800000, v29
	v_cmp_gt_f32_e64 s1, 0x800000, v29
	s_delay_alu instid0(VALU_DEP_1) | instskip(SKIP_1) | instid1(VALU_DEP_2)
	v_cndmask_b32_e64 v29, v29, v30, s1
	v_add_nc_u32_e32 v30, s4, v6
	v_rsq_f32_e32 v29, v29
	s_delay_alu instid0(VALU_DEP_1) | instskip(NEXT) | instid1(VALU_DEP_1)
	v_cmp_gt_i32_e64 s2, s16, v30
	v_cndmask_b32_e64 v30, v2, v0, s2
	v_cndmask_b32_e64 v31, v25, v23, s2
	;; [unrolled: 1-line block ×4, first 2 shown]
	s_delay_alu instid0(VALU_DEP_4) | instskip(NEXT) | instid1(TRANS32_DEP_1)
	v_cvt_f32_f16_e32 v30, v30
	v_mul_f32_e32 v33, 0x45800000, v29
	v_cvt_f32_f16_e32 v31, v31
	v_cvt_f32_f16_e32 v32, v32
	s_delay_alu instid0(VALU_DEP_3) | instskip(SKIP_2) | instid1(VALU_DEP_3)
	v_cndmask_b32_e64 v29, v29, v33, s1
	v_cvt_f32_f16_e32 v33, v34
	v_cvt_f32_f16_e32 v34, v28
	v_mul_f32_e32 v28, v29, v30
	v_mul_f32_e32 v30, v29, v31
	;; [unrolled: 1-line block ×4, first 2 shown]
	s_delay_alu instid0(VALU_DEP_3) | instskip(NEXT) | instid1(VALU_DEP_2)
	v_dual_mul_f32 v27, v28, v27 :: v_dual_mul_f32 v28, v30, v5
	v_dual_mul_f32 v30, v31, v34 :: v_dual_mul_f32 v29, v29, v35
	s_and_saveexec_b32 s1, vcc_lo
	s_cbranch_execz .LBB63_9
; %bb.11:                               ;   in Loop: Header=BB63_10 Depth=1
	; wave barrier
	ds_bpermute_b32 v5, v15, v27
	ds_load_u16 v31, v9
	ds_load_u16 v32, v16
	ds_bpermute_b32 v33, v15, v28
	ds_load_u16 v34, v17
	ds_load_u16 v35, v18
	;; [unrolled: 3-line block ×3, first 2 shown]
	ds_load_u16 v40, v19
	ds_load_u16 v41, v21
	ds_bpermute_b32 v38, v15, v29
	; wave barrier
	s_waitcnt lgkmcnt(11)
	v_cndmask_b32_e64 v5, v5, -v5, s0
	s_waitcnt lgkmcnt(8)
	v_cndmask_b32_e64 v33, v33, -v33, s0
	s_waitcnt lgkmcnt(6)
	v_lshlrev_b32_e32 v35, 16, v35
	s_waitcnt lgkmcnt(5)
	v_cndmask_b32_e64 v36, v36, -v36, s0
	s_waitcnt lgkmcnt(4)
	v_lshlrev_b32_e32 v37, 16, v37
	v_lshlrev_b32_e32 v32, 16, v32
	v_lshlrev_b32_e32 v34, 16, v34
	s_waitcnt lgkmcnt(0)
	v_cndmask_b32_e64 v38, v38, -v38, s0
	s_delay_alu instid0(VALU_DEP_3) | instskip(SKIP_2) | instid1(VALU_DEP_2)
	v_mul_f32_e32 v5, v5, v32
	v_dual_mul_f32 v32, v33, v35 :: v_dual_lshlrev_b32 v33, 16, v40
	v_mul_f32_e32 v35, v36, v37
	v_dual_fmac_f32 v32, v28, v34 :: v_dual_lshlrev_b32 v31, 16, v31
	s_delay_alu instid0(VALU_DEP_2) | instskip(SKIP_1) | instid1(VALU_DEP_3)
	v_fmac_f32_e32 v35, v30, v33
	v_lshlrev_b32_e32 v39, 16, v39
	v_dual_fmac_f32 v5, v27, v31 :: v_dual_mov_b32 v28, v32
	s_delay_alu instid0(VALU_DEP_3) | instskip(NEXT) | instid1(VALU_DEP_3)
	v_mov_b32_e32 v30, v35
	v_dual_mul_f32 v37, v38, v39 :: v_dual_lshlrev_b32 v36, 16, v41
	s_delay_alu instid0(VALU_DEP_3) | instskip(NEXT) | instid1(VALU_DEP_2)
	v_mov_b32_e32 v27, v5
	v_fmac_f32_e32 v37, v29, v36
	s_delay_alu instid0(VALU_DEP_1)
	v_mov_b32_e32 v29, v37
	s_branch .LBB63_9
.LBB63_12:
	s_nop 0
	s_sendmsg sendmsg(MSG_DEALLOC_VGPRS)
	s_endpgm
	.section	.rodata,"a",@progbits
	.p2align	6, 0x0
	.amdhsa_kernel _ZN12tensorrt_llm7kernels32fusedQKNormRopeKernelNTokenHeadsIN3c104HalfENS2_8BFloat16ELi128ELb0ELi4EEEvPviiifPKvS7_S7_PKlii
		.amdhsa_group_segment_fixed_size 0
		.amdhsa_private_segment_fixed_size 0
		.amdhsa_kernarg_size 320
		.amdhsa_user_sgpr_count 15
		.amdhsa_user_sgpr_dispatch_ptr 0
		.amdhsa_user_sgpr_queue_ptr 0
		.amdhsa_user_sgpr_kernarg_segment_ptr 1
		.amdhsa_user_sgpr_dispatch_id 0
		.amdhsa_user_sgpr_private_segment_size 0
		.amdhsa_wavefront_size32 1
		.amdhsa_uses_dynamic_stack 0
		.amdhsa_enable_private_segment 0
		.amdhsa_system_sgpr_workgroup_id_x 1
		.amdhsa_system_sgpr_workgroup_id_y 0
		.amdhsa_system_sgpr_workgroup_id_z 0
		.amdhsa_system_sgpr_workgroup_info 0
		.amdhsa_system_vgpr_workitem_id 0
		.amdhsa_next_free_vgpr 42
		.amdhsa_next_free_sgpr 21
		.amdhsa_reserve_vcc 1
		.amdhsa_float_round_mode_32 0
		.amdhsa_float_round_mode_16_64 0
		.amdhsa_float_denorm_mode_32 3
		.amdhsa_float_denorm_mode_16_64 3
		.amdhsa_dx10_clamp 1
		.amdhsa_ieee_mode 1
		.amdhsa_fp16_overflow 0
		.amdhsa_workgroup_processor_mode 1
		.amdhsa_memory_ordered 1
		.amdhsa_forward_progress 0
		.amdhsa_shared_vgpr_count 0
		.amdhsa_exception_fp_ieee_invalid_op 0
		.amdhsa_exception_fp_denorm_src 0
		.amdhsa_exception_fp_ieee_div_zero 0
		.amdhsa_exception_fp_ieee_overflow 0
		.amdhsa_exception_fp_ieee_underflow 0
		.amdhsa_exception_fp_ieee_inexact 0
		.amdhsa_exception_int_div_zero 0
	.end_amdhsa_kernel
	.section	.text._ZN12tensorrt_llm7kernels32fusedQKNormRopeKernelNTokenHeadsIN3c104HalfENS2_8BFloat16ELi128ELb0ELi4EEEvPviiifPKvS7_S7_PKlii,"axG",@progbits,_ZN12tensorrt_llm7kernels32fusedQKNormRopeKernelNTokenHeadsIN3c104HalfENS2_8BFloat16ELi128ELb0ELi4EEEvPviiifPKvS7_S7_PKlii,comdat
.Lfunc_end63:
	.size	_ZN12tensorrt_llm7kernels32fusedQKNormRopeKernelNTokenHeadsIN3c104HalfENS2_8BFloat16ELi128ELb0ELi4EEEvPviiifPKvS7_S7_PKlii, .Lfunc_end63-_ZN12tensorrt_llm7kernels32fusedQKNormRopeKernelNTokenHeadsIN3c104HalfENS2_8BFloat16ELi128ELb0ELi4EEEvPviiifPKvS7_S7_PKlii
                                        ; -- End function
	.section	.AMDGPU.csdata,"",@progbits
; Kernel info:
; codeLenInByte = 2300
; NumSgprs: 23
; NumVgprs: 42
; ScratchSize: 0
; MemoryBound: 0
; FloatMode: 240
; IeeeMode: 1
; LDSByteSize: 0 bytes/workgroup (compile time only)
; SGPRBlocks: 2
; VGPRBlocks: 5
; NumSGPRsForWavesPerEU: 23
; NumVGPRsForWavesPerEU: 42
; Occupancy: 16
; WaveLimiterHint : 0
; COMPUTE_PGM_RSRC2:SCRATCH_EN: 0
; COMPUTE_PGM_RSRC2:USER_SGPR: 15
; COMPUTE_PGM_RSRC2:TRAP_HANDLER: 0
; COMPUTE_PGM_RSRC2:TGID_X_EN: 1
; COMPUTE_PGM_RSRC2:TGID_Y_EN: 0
; COMPUTE_PGM_RSRC2:TGID_Z_EN: 0
; COMPUTE_PGM_RSRC2:TIDIG_COMP_CNT: 0
	.section	.text._ZN12tensorrt_llm7kernels32fusedQKNormRopeKernelNTokenHeadsIN3c104HalfENS2_8BFloat16ELi256ELb1ELi4EEEvPviiifPKvS7_S7_PKlii,"axG",@progbits,_ZN12tensorrt_llm7kernels32fusedQKNormRopeKernelNTokenHeadsIN3c104HalfENS2_8BFloat16ELi256ELb1ELi4EEEvPviiifPKvS7_S7_PKlii,comdat
	.protected	_ZN12tensorrt_llm7kernels32fusedQKNormRopeKernelNTokenHeadsIN3c104HalfENS2_8BFloat16ELi256ELb1ELi4EEEvPviiifPKvS7_S7_PKlii ; -- Begin function _ZN12tensorrt_llm7kernels32fusedQKNormRopeKernelNTokenHeadsIN3c104HalfENS2_8BFloat16ELi256ELb1ELi4EEEvPviiifPKvS7_S7_PKlii
	.globl	_ZN12tensorrt_llm7kernels32fusedQKNormRopeKernelNTokenHeadsIN3c104HalfENS2_8BFloat16ELi256ELb1ELi4EEEvPviiifPKvS7_S7_PKlii
	.p2align	8
	.type	_ZN12tensorrt_llm7kernels32fusedQKNormRopeKernelNTokenHeadsIN3c104HalfENS2_8BFloat16ELi256ELb1ELi4EEEvPviiifPKvS7_S7_PKlii,@function
_ZN12tensorrt_llm7kernels32fusedQKNormRopeKernelNTokenHeadsIN3c104HalfENS2_8BFloat16ELi256ELb1ELi4EEEvPviiifPKvS7_S7_PKlii: ; @_ZN12tensorrt_llm7kernels32fusedQKNormRopeKernelNTokenHeadsIN3c104HalfENS2_8BFloat16ELi256ELb1ELi4EEEvPviiifPKvS7_S7_PKlii
; %bb.0:
	s_clause 0x1
	s_load_b128 s[16:19], s[0:1], 0x8
	s_load_b64 s[2:3], s[0:1], 0x38
	s_waitcnt lgkmcnt(0)
	s_add_i32 s4, s17, s16
	s_delay_alu instid0(SALU_CYCLE_1) | instskip(NEXT) | instid1(SALU_CYCLE_1)
	s_add_i32 s5, s4, 3
	s_ashr_i32 s6, s5, 31
	s_delay_alu instid0(SALU_CYCLE_1) | instskip(NEXT) | instid1(SALU_CYCLE_1)
	s_lshr_b32 s6, s6, 30
	s_add_i32 s5, s5, s6
	s_delay_alu instid0(SALU_CYCLE_1) | instskip(SKIP_2) | instid1(SALU_CYCLE_1)
	s_ashr_i32 s14, s5, 2
	s_load_b32 s5, s[0:1], 0x4c
	s_abs_i32 s6, s14
	v_cvt_f32_u32_e32 v1, s6
	s_sub_i32 s7, 0, s6
	s_delay_alu instid0(VALU_DEP_1) | instskip(SKIP_4) | instid1(VALU_DEP_1)
	v_rcp_iflag_f32_e32 v1, v1
	s_waitcnt_depctr 0xfff
	v_mul_f32_e32 v1, 0x4f7ffffe, v1
	s_waitcnt lgkmcnt(0)
	s_bfe_u32 s5, s5, 0xb0005
	v_cvt_u32_f32_e32 v4, v1
	v_lshrrev_b32_e32 v1, 5, v0
	s_delay_alu instid0(VALU_DEP_2) | instskip(NEXT) | instid1(VALU_DEP_2)
	v_mul_lo_u32 v5, s7, v4
	v_mad_u64_u32 v[2:3], null, s15, s5, v[1:2]
	s_delay_alu instid0(VALU_DEP_2) | instskip(NEXT) | instid1(VALU_DEP_2)
	v_mul_hi_u32 v3, v4, v5
	v_sub_nc_u32_e32 v5, 0, v2
	s_delay_alu instid0(VALU_DEP_1) | instskip(NEXT) | instid1(VALU_DEP_3)
	v_max_i32_e32 v5, v2, v5
	v_add_nc_u32_e32 v3, v4, v3
	s_delay_alu instid0(VALU_DEP_1) | instskip(NEXT) | instid1(VALU_DEP_1)
	v_mul_hi_u32 v3, v5, v3
	v_mul_lo_u32 v4, v3, s6
	s_delay_alu instid0(VALU_DEP_1) | instskip(SKIP_1) | instid1(VALU_DEP_2)
	v_sub_nc_u32_e32 v4, v5, v4
	v_add_nc_u32_e32 v5, 1, v3
	v_subrev_nc_u32_e32 v6, s6, v4
	v_cmp_le_u32_e32 vcc_lo, s6, v4
	s_delay_alu instid0(VALU_DEP_2) | instskip(SKIP_1) | instid1(VALU_DEP_2)
	v_dual_cndmask_b32 v4, v4, v6 :: v_dual_cndmask_b32 v3, v3, v5
	v_xor_b32_e32 v5, s14, v2
	v_cmp_le_u32_e32 vcc_lo, s6, v4
	s_delay_alu instid0(VALU_DEP_3) | instskip(NEXT) | instid1(VALU_DEP_3)
	v_add_nc_u32_e32 v6, 1, v3
	v_ashrrev_i32_e32 v5, 31, v5
	s_delay_alu instid0(VALU_DEP_2) | instskip(NEXT) | instid1(VALU_DEP_1)
	v_cndmask_b32_e32 v3, v3, v6, vcc_lo
	v_xor_b32_e32 v3, v3, v5
	s_delay_alu instid0(VALU_DEP_1) | instskip(NEXT) | instid1(VALU_DEP_1)
	v_sub_nc_u32_e32 v4, v3, v5
	v_cmp_gt_i32_e32 vcc_lo, s2, v4
	s_and_saveexec_b32 s2, vcc_lo
	s_cbranch_execz .LBB64_12
; %bb.1:
	v_mul_lo_u32 v3, v4, s14
	s_load_b64 s[12:13], s[0:1], 0x0
	v_and_b32_e32 v14, 31, v0
	v_lshlrev_b32_e32 v12, 11, v1
	v_lshlrev_b32_e32 v15, 10, v2
	s_lshl_b32 s20, s3, 1
	s_delay_alu instid0(VALU_DEP_3) | instskip(SKIP_2) | instid1(VALU_DEP_1)
	v_lshlrev_b32_e32 v13, 4, v14
	v_sub_nc_u32_e32 v3, v2, v3
	s_mul_i32 s15, s20, s5
	v_lshlrev_b32_e32 v6, 2, v3
	s_delay_alu instid0(VALU_DEP_1) | instskip(SKIP_1) | instid1(VALU_DEP_2)
	v_add_nc_u32_e32 v3, 4, v6
	v_sub_nc_u32_e32 v5, s4, v6
	v_cmp_lt_i32_e32 vcc_lo, s4, v3
	s_delay_alu instid0(VALU_DEP_2) | instskip(NEXT) | instid1(VALU_DEP_1)
	v_cndmask_b32_e32 v7, 4, v5, vcc_lo
	v_cmp_lt_i32_e32 vcc_lo, 0, v7
	s_and_saveexec_b32 s4, vcc_lo
	s_cbranch_execz .LBB64_4
; %bb.2:
	s_add_i32 s2, s18, s17
	s_lshl_b32 s5, s14, 2
	s_add_i32 s2, s2, s16
	s_mov_b32 s6, 0
	s_sub_i32 s2, s2, s5
	s_mov_b32 s5, 0
	v_mul_lo_u32 v2, s2, v4
	s_add_i32 s2, s15, 0
	s_delay_alu instid0(SALU_CYCLE_1) | instskip(NEXT) | instid1(VALU_DEP_2)
	v_add3_u32 v5, s2, v12, v13
	v_lshl_add_u32 v2, v2, 8, v15
	s_delay_alu instid0(VALU_DEP_1)
	v_lshl_or_b32 v2, v14, 3, v2
	.p2align	6
.LBB64_3:                               ; =>This Inner Loop Header: Depth=1
	s_delay_alu instid0(VALU_DEP_1) | instskip(SKIP_1) | instid1(VALU_DEP_1)
	v_ashrrev_i32_e32 v3, 31, v2
	s_add_i32 s6, s6, 1
	v_lshlrev_b64 v[8:9], 1, v[2:3]
	v_add_nc_u32_e32 v2, 0x100, v2
	s_waitcnt lgkmcnt(0)
	s_delay_alu instid0(VALU_DEP_2) | instskip(NEXT) | instid1(VALU_DEP_1)
	v_add_co_u32 v8, s2, s12, v8
	v_add_co_ci_u32_e64 v9, s2, s13, v9, s2
	v_cmp_ge_i32_e64 s2, s6, v7
	global_load_b128 v[8:11], v[8:9], off
	s_or_b32 s5, s2, s5
	s_waitcnt vmcnt(0)
	ds_store_b128 v5, v[8:11]
	v_add_nc_u32_e32 v5, 0x200, v5
	s_and_not1_b32 exec_lo, exec_lo, s5
	s_cbranch_execnz .LBB64_3
.LBB64_4:
	s_or_b32 exec_lo, exec_lo, s4
	s_load_b256 s[4:11], s[0:1], 0x18
	v_mul_lo_u32 v1, v1, s3
	s_add_i32 s0, s20, 15
	s_mov_b32 s20, exec_lo
	s_ashr_i32 s1, s0, 31
	s_delay_alu instid0(SALU_CYCLE_1) | instskip(NEXT) | instid1(SALU_CYCLE_1)
	s_lshr_b32 s1, s1, 28
	s_add_i32 s0, s0, s1
	s_delay_alu instid0(VALU_DEP_1) | instskip(SKIP_1) | instid1(SALU_CYCLE_1)
	v_lshlrev_b32_e32 v16, 1, v1
	s_ashr_i32 s2, s0, 4
	v_cmpx_gt_i32_e64 s2, v14
	s_cbranch_execz .LBB64_7
; %bb.5:
	v_ashrrev_i32_e32 v5, 31, v4
	s_delay_alu instid0(VALU_DEP_1) | instskip(SKIP_1) | instid1(VALU_DEP_1)
	v_lshlrev_b64 v[1:2], 3, v[4:5]
	s_waitcnt lgkmcnt(0)
	v_add_co_u32 v1, s0, s10, v1
	s_delay_alu instid0(VALU_DEP_1)
	v_add_co_ci_u32_e64 v2, s0, s11, v2, s0
	s_ashr_i32 s0, s3, 31
	global_load_b64 v[1:2], v[1:2], off
	s_waitcnt vmcnt(0)
	v_mul_lo_u32 v5, v2, s3
	v_mul_lo_u32 v8, v1, s0
	v_mad_u64_u32 v[2:3], null, v1, s3, 0
	s_delay_alu instid0(VALU_DEP_1) | instskip(SKIP_1) | instid1(VALU_DEP_2)
	v_add3_u32 v3, v3, v8, v5
	v_and_b32_e32 v5, 31, v0
	v_lshlrev_b64 v[0:1], 1, v[2:3]
	s_delay_alu instid0(VALU_DEP_2) | instskip(NEXT) | instid1(VALU_DEP_1)
	v_dual_mov_b32 v3, v14 :: v_dual_lshlrev_b32 v2, 4, v5
	v_add_co_u32 v0, s0, v0, v2
	s_delay_alu instid0(VALU_DEP_1) | instskip(SKIP_1) | instid1(VALU_DEP_3)
	v_add_co_ci_u32_e64 v1, s0, 0, v1, s0
	v_add3_u32 v2, v16, v13, 0
	v_add_co_u32 v0, s0, s8, v0
	s_delay_alu instid0(VALU_DEP_1)
	v_add_co_ci_u32_e64 v1, s0, s9, v1, s0
	s_mov_b32 s8, 0
	.p2align	6
.LBB64_6:                               ; =>This Inner Loop Header: Depth=1
	global_load_b128 v[8:11], v[0:1], off
	v_add_nc_u32_e32 v3, 32, v3
	v_add_co_u32 v0, s0, 0x200, v0
	s_delay_alu instid0(VALU_DEP_1) | instskip(NEXT) | instid1(VALU_DEP_3)
	v_add_co_ci_u32_e64 v1, s0, 0, v1, s0
	v_cmp_le_i32_e64 s1, s2, v3
	s_delay_alu instid0(VALU_DEP_1)
	s_or_b32 s8, s1, s8
	s_waitcnt vmcnt(0)
	ds_store_b128 v2, v[8:11]
	v_add_nc_u32_e32 v2, 0x200, v2
	s_and_not1_b32 exec_lo, exec_lo, s8
	s_cbranch_execnz .LBB64_6
.LBB64_7:
	s_or_b32 exec_lo, exec_lo, s20
	s_delay_alu instid0(SALU_CYCLE_1)
	s_and_b32 exec_lo, exec_lo, vcc_lo
	s_cbranch_execz .LBB64_12
; %bb.8:
	s_waitcnt lgkmcnt(0)
	s_clause 0x5
	global_load_b32 v8, v13, s[6:7] offset:2
	global_load_b64 v[0:1], v13, s[4:5] offset:8
	global_load_u16 v9, v13, s[4:5]
	global_load_u16 v10, v13, s[6:7]
	global_load_b32 v11, v13, s[4:5] offset:2
	global_load_b64 v[2:3], v13, s[6:7] offset:8
	v_mbcnt_lo_u32_b32 v17, -1, 0
	s_lshr_b32 s0, s3, 31
	s_ashr_i32 s1, s3, 31
	s_add_i32 s0, s3, s0
	s_lshr_b32 s1, s1, 29
	v_xor_b32_e32 v19, 16, v17
	v_lshlrev_b32_e32 v5, 3, v14
	v_xor_b32_e32 v20, 8, v17
	v_add_nc_u32_e32 v18, s15, v12
	v_xor_b32_e32 v21, 4, v17
	v_xor_b32_e32 v22, 2, v17
	v_add3_u32 v12, 0, v16, v5
	s_add_i32 s2, s18, s17
	v_xor_b32_e32 v23, 1, v17
	s_add_i32 s2, s2, s16
	s_clause 0x1
	global_load_d16_hi_b16 v9, v13, s[4:5] offset:6
	global_load_d16_hi_b16 v10, v13, s[6:7] offset:6
	s_and_b32 s5, s0, -2
	s_add_i32 s0, s3, s1
	v_add3_u32 v13, v18, v13, 0
	s_ashr_i32 s0, s0, 3
	s_lshl_b32 s4, s14, 2
	v_cmp_gt_i32_e32 vcc_lo, s0, v14
	v_cmp_gt_i32_e64 s0, 32, v19
	s_sub_i32 s1, s2, s4
	v_add_nc_u32_e32 v14, s5, v12
	v_mul_lo_u32 v4, s1, v4
	s_waitcnt vmcnt(6)
	v_lshrrev_b32_e32 v24, 16, v1
	v_cndmask_b32_e64 v16, v17, v19, s0
	v_cmp_gt_i32_e64 s0, 32, v20
	s_waitcnt vmcnt(2)
	v_lshrrev_b32_e32 v27, 16, v3
	s_mov_b32 s2, 0
	s_mov_b32 s3, 0
	v_cndmask_b32_e64 v18, v17, v20, s0
	v_cmp_gt_i32_e64 s0, 32, v21
	v_lshl_add_u32 v4, v4, 8, v15
	v_lshlrev_b32_e32 v15, 2, v16
	s_delay_alu instid0(VALU_DEP_4) | instskip(NEXT) | instid1(VALU_DEP_4)
	v_lshlrev_b32_e32 v16, 2, v18
	v_cndmask_b32_e64 v19, v17, v21, s0
	v_cmp_gt_i32_e64 s0, 32, v22
	v_or_b32_e32 v4, v4, v5
	s_delay_alu instid0(VALU_DEP_2) | instskip(SKIP_2) | instid1(VALU_DEP_3)
	v_cndmask_b32_e64 v20, v17, v22, s0
	v_cmp_gt_i32_e64 s0, 32, v23
	v_lshrrev_b32_e32 v22, 16, v0
	v_lshlrev_b32_e32 v18, 2, v20
	s_delay_alu instid0(VALU_DEP_3) | instskip(SKIP_3) | instid1(VALU_DEP_4)
	v_cndmask_b32_e64 v21, v17, v23, s0
	v_lshlrev_b32_e32 v17, 2, v19
	v_lshrrev_b32_e32 v20, 16, v11
	v_lshrrev_b32_e32 v23, 16, v2
	v_lshlrev_b32_e32 v19, 2, v21
	v_lshrrev_b32_e32 v21, 16, v8
	s_waitcnt vmcnt(1)
	v_lshrrev_b32_e32 v25, 16, v9
	s_waitcnt vmcnt(0)
	v_lshrrev_b32_e32 v26, 16, v10
	s_branch .LBB64_10
.LBB64_9:                               ;   in Loop: Header=BB64_10 Depth=1
	s_or_b32 exec_lo, exec_lo, s0
	v_ashrrev_i32_e32 v5, 31, v4
	v_cvt_f16_f32_e32 v36, v30
	v_cvt_f16_f32_e32 v37, v31
	;; [unrolled: 1-line block ×4, first 2 shown]
	v_lshlrev_b64 v[30:31], 1, v[4:5]
	v_cvt_f16_f32_e32 v5, v34
	v_cvt_f16_f32_e32 v28, v28
	;; [unrolled: 1-line block ×4, first 2 shown]
	s_add_i32 s3, s3, 1
	v_add_co_u32 v32, s0, s12, v30
	s_delay_alu instid0(VALU_DEP_1)
	v_add_co_ci_u32_e64 v33, s0, s13, v31, s0
	v_cmp_ge_i32_e64 s0, s3, v7
	v_pack_b32_f16 v31, v34, v29
	v_pack_b32_f16 v30, v5, v28
	;; [unrolled: 1-line block ×4, first 2 shown]
	v_add_nc_u32_e32 v4, 0x100, v4
	v_add_nc_u32_e32 v13, 0x200, v13
	s_or_b32 s2, s0, s2
	global_store_b128 v[32:33], v[28:31], off
	s_and_not1_b32 exec_lo, exec_lo, s2
	s_cbranch_execz .LBB64_12
.LBB64_10:                              ; =>This Inner Loop Header: Depth=1
	ds_load_b128 v[28:31], v13
	s_waitcnt lgkmcnt(0)
	v_lshrrev_b32_e32 v5, 16, v28
	v_lshrrev_b32_e32 v41, 16, v29
	;; [unrolled: 1-line block ×3, first 2 shown]
	v_cvt_f32_f16_e32 v44, v31
	s_delay_alu instid0(VALU_DEP_4) | instskip(NEXT) | instid1(VALU_DEP_3)
	v_cvt_f32_f16_e32 v5, v5
	v_cvt_f32_f16_e32 v42, v42
	s_delay_alu instid0(VALU_DEP_2) | instskip(NEXT) | instid1(VALU_DEP_1)
	v_mul_f32_e32 v32, v5, v5
	v_fma_mix_f32 v32, v28, v28, v32 op_sel_hi:[1,1,0]
	v_cvt_f32_f16_e32 v28, v28
	s_delay_alu instid0(VALU_DEP_2) | instskip(NEXT) | instid1(VALU_DEP_1)
	v_fma_mix_f32 v32, v29, v29, v32 op_sel_hi:[1,1,0]
	v_fma_mix_f32 v32, v29, v29, v32 op_sel:[1,1,0] op_sel_hi:[1,1,0]
	v_cvt_f32_f16_e32 v29, v29
	s_delay_alu instid0(VALU_DEP_2) | instskip(NEXT) | instid1(VALU_DEP_1)
	v_fma_mix_f32 v32, v30, v30, v32 op_sel_hi:[1,1,0]
	v_fma_mix_f32 v32, v30, v30, v32 op_sel:[1,1,0] op_sel_hi:[1,1,0]
	s_delay_alu instid0(VALU_DEP_1) | instskip(NEXT) | instid1(VALU_DEP_1)
	v_fma_mix_f32 v32, v31, v31, v32 op_sel_hi:[1,1,0]
	v_fma_mix_f32 v32, v31, v31, v32 op_sel:[1,1,0] op_sel_hi:[1,1,0]
	v_lshrrev_b32_e32 v31, 16, v30
	ds_bpermute_b32 v33, v15, v32
	s_waitcnt lgkmcnt(0)
	v_add_f32_e32 v32, v32, v33
	ds_bpermute_b32 v33, v16, v32
	s_waitcnt lgkmcnt(0)
	v_add_f32_e32 v32, v32, v33
	;; [unrolled: 3-line block ×5, first 2 shown]
	s_delay_alu instid0(VALU_DEP_1) | instskip(NEXT) | instid1(VALU_DEP_1)
	v_fma_f32 v32, 0x3b800000, v32, s19
	v_dual_mul_f32 v35, 0x4b800000, v32 :: v_dual_add_nc_u32 v34, s3, v6
	v_cmp_gt_f32_e64 s1, 0x800000, v32
	s_delay_alu instid0(VALU_DEP_2) | instskip(NEXT) | instid1(VALU_DEP_2)
	v_cmp_gt_i32_e64 s0, s16, v34
	v_cndmask_b32_e64 v32, v32, v35, s1
	s_delay_alu instid0(VALU_DEP_2)
	v_cndmask_b32_e64 v34, v8, v11, s0
	v_cndmask_b32_e64 v33, v21, v20, s0
	;; [unrolled: 1-line block ×4, first 2 shown]
	v_rsq_f32_e32 v32, v32
	v_cndmask_b32_e64 v35, v23, v22, s0
	v_cndmask_b32_e64 v38, v2, v0, s0
	;; [unrolled: 1-line block ×4, first 2 shown]
	v_cvt_f32_f16_e32 v34, v34
	v_cvt_f32_f16_e32 v33, v33
	;; [unrolled: 1-line block ×5, first 2 shown]
	v_mul_f32_e32 v43, 0x45800000, v32
	v_cvt_f32_f16_e32 v38, v38
	v_cvt_f32_f16_e32 v39, v39
	v_cvt_f32_f16_e32 v40, v40
	s_delay_alu instid0(VALU_DEP_4) | instskip(SKIP_3) | instid1(VALU_DEP_4)
	v_cndmask_b32_e64 v32, v32, v43, s1
	v_cvt_f32_f16_e32 v43, v30
	v_cvt_f32_f16_e32 v30, v41
	;; [unrolled: 1-line block ×3, first 2 shown]
	v_mul_f32_e32 v34, v32, v34
	v_mul_f32_e32 v38, v32, v38
	;; [unrolled: 1-line block ×7, first 2 shown]
	s_delay_alu instid0(VALU_DEP_4) | instskip(NEXT) | instid1(VALU_DEP_4)
	v_dual_mul_f32 v32, v32, v39 :: v_dual_mul_f32 v35, v37, v29
	v_dual_mul_f32 v33, v36, v30 :: v_dual_mul_f32 v30, v31, v28
	v_mul_f32_e32 v31, v34, v5
	s_delay_alu instid0(VALU_DEP_3)
	v_dual_mul_f32 v28, v45, v41 :: v_dual_mul_f32 v29, v32, v42
	v_mul_f32_e32 v34, v38, v43
	v_mul_f32_e32 v32, v40, v44
	s_and_saveexec_b32 s0, vcc_lo
	s_cbranch_execz .LBB64_9
; %bb.11:                               ;   in Loop: Header=BB64_10 Depth=1
	ds_load_b64 v[36:37], v12
	ds_load_b64 v[38:39], v14
	s_waitcnt lgkmcnt(0)
	v_and_b32_e32 v40, 0xffff0000, v38
	v_lshlrev_b32_e32 v41, 16, v37
	v_and_b32_e32 v5, 0xffff0000, v36
	v_and_b32_e32 v37, 0xffff0000, v37
	v_lshlrev_b32_e32 v38, 16, v38
	v_lshlrev_b32_e32 v42, 16, v39
	v_and_b32_e32 v39, 0xffff0000, v39
	s_delay_alu instid0(VALU_DEP_1) | instskip(SKIP_2) | instid1(VALU_DEP_2)
	v_mul_f32_e32 v46, v29, v39
	v_dual_mul_f32 v29, v29, v37 :: v_dual_lshlrev_b32 v36, 16, v36
	v_mul_f32_e32 v43, v31, v38
	v_mul_f32_e32 v31, v31, v36
	;; [unrolled: 1-line block ×4, first 2 shown]
	s_delay_alu instid0(VALU_DEP_4) | instskip(NEXT) | instid1(VALU_DEP_4)
	v_fma_f32 v36, v30, v36, -v43
	v_fmac_f32_e32 v31, v30, v38
	v_mul_f32_e32 v45, v28, v42
	v_mul_f32_e32 v28, v28, v41
	v_fmac_f32_e32 v40, v33, v5
	v_fma_f32 v35, v35, v5, -v44
	v_fmac_f32_e32 v29, v32, v39
	v_fma_f32 v5, v34, v41, -v45
	s_delay_alu instid0(VALU_DEP_4) | instskip(SKIP_2) | instid1(VALU_DEP_4)
	v_dual_fmac_f32 v28, v34, v42 :: v_dual_mov_b32 v33, v40
	v_fma_f32 v37, v32, v37, -v46
	v_mov_b32_e32 v30, v36
	v_mov_b32_e32 v34, v5
	s_delay_alu instid0(VALU_DEP_3)
	v_mov_b32_e32 v32, v37
	s_branch .LBB64_9
.LBB64_12:
	s_nop 0
	s_sendmsg sendmsg(MSG_DEALLOC_VGPRS)
	s_endpgm
	.section	.rodata,"a",@progbits
	.p2align	6, 0x0
	.amdhsa_kernel _ZN12tensorrt_llm7kernels32fusedQKNormRopeKernelNTokenHeadsIN3c104HalfENS2_8BFloat16ELi256ELb1ELi4EEEvPviiifPKvS7_S7_PKlii
		.amdhsa_group_segment_fixed_size 0
		.amdhsa_private_segment_fixed_size 0
		.amdhsa_kernarg_size 320
		.amdhsa_user_sgpr_count 15
		.amdhsa_user_sgpr_dispatch_ptr 0
		.amdhsa_user_sgpr_queue_ptr 0
		.amdhsa_user_sgpr_kernarg_segment_ptr 1
		.amdhsa_user_sgpr_dispatch_id 0
		.amdhsa_user_sgpr_private_segment_size 0
		.amdhsa_wavefront_size32 1
		.amdhsa_uses_dynamic_stack 0
		.amdhsa_enable_private_segment 0
		.amdhsa_system_sgpr_workgroup_id_x 1
		.amdhsa_system_sgpr_workgroup_id_y 0
		.amdhsa_system_sgpr_workgroup_id_z 0
		.amdhsa_system_sgpr_workgroup_info 0
		.amdhsa_system_vgpr_workitem_id 0
		.amdhsa_next_free_vgpr 47
		.amdhsa_next_free_sgpr 21
		.amdhsa_reserve_vcc 1
		.amdhsa_float_round_mode_32 0
		.amdhsa_float_round_mode_16_64 0
		.amdhsa_float_denorm_mode_32 3
		.amdhsa_float_denorm_mode_16_64 3
		.amdhsa_dx10_clamp 1
		.amdhsa_ieee_mode 1
		.amdhsa_fp16_overflow 0
		.amdhsa_workgroup_processor_mode 1
		.amdhsa_memory_ordered 1
		.amdhsa_forward_progress 0
		.amdhsa_shared_vgpr_count 0
		.amdhsa_exception_fp_ieee_invalid_op 0
		.amdhsa_exception_fp_denorm_src 0
		.amdhsa_exception_fp_ieee_div_zero 0
		.amdhsa_exception_fp_ieee_overflow 0
		.amdhsa_exception_fp_ieee_underflow 0
		.amdhsa_exception_fp_ieee_inexact 0
		.amdhsa_exception_int_div_zero 0
	.end_amdhsa_kernel
	.section	.text._ZN12tensorrt_llm7kernels32fusedQKNormRopeKernelNTokenHeadsIN3c104HalfENS2_8BFloat16ELi256ELb1ELi4EEEvPviiifPKvS7_S7_PKlii,"axG",@progbits,_ZN12tensorrt_llm7kernels32fusedQKNormRopeKernelNTokenHeadsIN3c104HalfENS2_8BFloat16ELi256ELb1ELi4EEEvPviiifPKvS7_S7_PKlii,comdat
.Lfunc_end64:
	.size	_ZN12tensorrt_llm7kernels32fusedQKNormRopeKernelNTokenHeadsIN3c104HalfENS2_8BFloat16ELi256ELb1ELi4EEEvPviiifPKvS7_S7_PKlii, .Lfunc_end64-_ZN12tensorrt_llm7kernels32fusedQKNormRopeKernelNTokenHeadsIN3c104HalfENS2_8BFloat16ELi256ELb1ELi4EEEvPviiifPKvS7_S7_PKlii
                                        ; -- End function
	.section	.AMDGPU.csdata,"",@progbits
; Kernel info:
; codeLenInByte = 2060
; NumSgprs: 23
; NumVgprs: 47
; ScratchSize: 0
; MemoryBound: 0
; FloatMode: 240
; IeeeMode: 1
; LDSByteSize: 0 bytes/workgroup (compile time only)
; SGPRBlocks: 2
; VGPRBlocks: 5
; NumSGPRsForWavesPerEU: 23
; NumVGPRsForWavesPerEU: 47
; Occupancy: 16
; WaveLimiterHint : 0
; COMPUTE_PGM_RSRC2:SCRATCH_EN: 0
; COMPUTE_PGM_RSRC2:USER_SGPR: 15
; COMPUTE_PGM_RSRC2:TRAP_HANDLER: 0
; COMPUTE_PGM_RSRC2:TGID_X_EN: 1
; COMPUTE_PGM_RSRC2:TGID_Y_EN: 0
; COMPUTE_PGM_RSRC2:TGID_Z_EN: 0
; COMPUTE_PGM_RSRC2:TIDIG_COMP_CNT: 0
	.section	.text._ZN12tensorrt_llm7kernels32fusedQKNormRopeKernelNTokenHeadsIN3c104HalfENS2_8BFloat16ELi256ELb0ELi4EEEvPviiifPKvS7_S7_PKlii,"axG",@progbits,_ZN12tensorrt_llm7kernels32fusedQKNormRopeKernelNTokenHeadsIN3c104HalfENS2_8BFloat16ELi256ELb0ELi4EEEvPviiifPKvS7_S7_PKlii,comdat
	.protected	_ZN12tensorrt_llm7kernels32fusedQKNormRopeKernelNTokenHeadsIN3c104HalfENS2_8BFloat16ELi256ELb0ELi4EEEvPviiifPKvS7_S7_PKlii ; -- Begin function _ZN12tensorrt_llm7kernels32fusedQKNormRopeKernelNTokenHeadsIN3c104HalfENS2_8BFloat16ELi256ELb0ELi4EEEvPviiifPKvS7_S7_PKlii
	.globl	_ZN12tensorrt_llm7kernels32fusedQKNormRopeKernelNTokenHeadsIN3c104HalfENS2_8BFloat16ELi256ELb0ELi4EEEvPviiifPKvS7_S7_PKlii
	.p2align	8
	.type	_ZN12tensorrt_llm7kernels32fusedQKNormRopeKernelNTokenHeadsIN3c104HalfENS2_8BFloat16ELi256ELb0ELi4EEEvPviiifPKvS7_S7_PKlii,@function
_ZN12tensorrt_llm7kernels32fusedQKNormRopeKernelNTokenHeadsIN3c104HalfENS2_8BFloat16ELi256ELb0ELi4EEEvPviiifPKvS7_S7_PKlii: ; @_ZN12tensorrt_llm7kernels32fusedQKNormRopeKernelNTokenHeadsIN3c104HalfENS2_8BFloat16ELi256ELb0ELi4EEEvPviiifPKvS7_S7_PKlii
; %bb.0:
	s_clause 0x1
	s_load_b128 s[16:19], s[0:1], 0x8
	s_load_b64 s[2:3], s[0:1], 0x38
	s_waitcnt lgkmcnt(0)
	s_add_i32 s4, s17, s16
	s_delay_alu instid0(SALU_CYCLE_1) | instskip(NEXT) | instid1(SALU_CYCLE_1)
	s_add_i32 s5, s4, 3
	s_ashr_i32 s6, s5, 31
	s_delay_alu instid0(SALU_CYCLE_1) | instskip(NEXT) | instid1(SALU_CYCLE_1)
	s_lshr_b32 s6, s6, 30
	s_add_i32 s5, s5, s6
	s_delay_alu instid0(SALU_CYCLE_1) | instskip(SKIP_2) | instid1(SALU_CYCLE_1)
	s_ashr_i32 s14, s5, 2
	s_load_b32 s5, s[0:1], 0x4c
	s_abs_i32 s6, s14
	v_cvt_f32_u32_e32 v1, s6
	s_sub_i32 s7, 0, s6
	s_delay_alu instid0(VALU_DEP_1) | instskip(SKIP_4) | instid1(VALU_DEP_1)
	v_rcp_iflag_f32_e32 v1, v1
	s_waitcnt_depctr 0xfff
	v_mul_f32_e32 v1, 0x4f7ffffe, v1
	s_waitcnt lgkmcnt(0)
	s_bfe_u32 s5, s5, 0xb0005
	v_cvt_u32_f32_e32 v4, v1
	v_lshrrev_b32_e32 v1, 5, v0
	s_delay_alu instid0(VALU_DEP_2) | instskip(NEXT) | instid1(VALU_DEP_2)
	v_mul_lo_u32 v5, s7, v4
	v_mad_u64_u32 v[2:3], null, s15, s5, v[1:2]
	s_delay_alu instid0(VALU_DEP_2) | instskip(NEXT) | instid1(VALU_DEP_2)
	v_mul_hi_u32 v3, v4, v5
	v_sub_nc_u32_e32 v5, 0, v2
	s_delay_alu instid0(VALU_DEP_1) | instskip(NEXT) | instid1(VALU_DEP_3)
	v_max_i32_e32 v5, v2, v5
	v_add_nc_u32_e32 v3, v4, v3
	s_delay_alu instid0(VALU_DEP_1) | instskip(NEXT) | instid1(VALU_DEP_1)
	v_mul_hi_u32 v3, v5, v3
	v_mul_lo_u32 v4, v3, s6
	s_delay_alu instid0(VALU_DEP_1) | instskip(SKIP_1) | instid1(VALU_DEP_2)
	v_sub_nc_u32_e32 v4, v5, v4
	v_add_nc_u32_e32 v5, 1, v3
	v_subrev_nc_u32_e32 v6, s6, v4
	v_cmp_le_u32_e32 vcc_lo, s6, v4
	s_delay_alu instid0(VALU_DEP_2) | instskip(SKIP_1) | instid1(VALU_DEP_2)
	v_dual_cndmask_b32 v4, v4, v6 :: v_dual_cndmask_b32 v3, v3, v5
	v_xor_b32_e32 v5, s14, v2
	v_cmp_le_u32_e32 vcc_lo, s6, v4
	s_delay_alu instid0(VALU_DEP_3) | instskip(NEXT) | instid1(VALU_DEP_3)
	v_add_nc_u32_e32 v6, 1, v3
	v_ashrrev_i32_e32 v5, 31, v5
	s_delay_alu instid0(VALU_DEP_2) | instskip(NEXT) | instid1(VALU_DEP_1)
	v_cndmask_b32_e32 v3, v3, v6, vcc_lo
	v_xor_b32_e32 v3, v3, v5
	s_delay_alu instid0(VALU_DEP_1) | instskip(NEXT) | instid1(VALU_DEP_1)
	v_sub_nc_u32_e32 v8, v3, v5
	v_cmp_gt_i32_e32 vcc_lo, s2, v8
	s_and_saveexec_b32 s2, vcc_lo
	s_cbranch_execz .LBB65_12
; %bb.1:
	v_mul_lo_u32 v3, v8, s14
	s_load_b64 s[12:13], s[0:1], 0x0
	v_and_b32_e32 v19, 31, v0
	v_lshlrev_b32_e32 v14, 11, v1
	v_lshlrev_b32_e32 v13, 10, v2
	s_lshl_b32 s20, s3, 1
	s_delay_alu instid0(VALU_DEP_3) | instskip(SKIP_2) | instid1(VALU_DEP_1)
	v_lshlrev_b32_e32 v12, 4, v19
	v_sub_nc_u32_e32 v3, v2, v3
	s_mul_i32 s15, s20, s5
	v_lshlrev_b32_e32 v10, 2, v3
	s_delay_alu instid0(VALU_DEP_1) | instskip(SKIP_1) | instid1(VALU_DEP_2)
	v_add_nc_u32_e32 v3, 4, v10
	v_sub_nc_u32_e32 v4, s4, v10
	v_cmp_lt_i32_e32 vcc_lo, s4, v3
	s_delay_alu instid0(VALU_DEP_2) | instskip(NEXT) | instid1(VALU_DEP_1)
	v_cndmask_b32_e32 v11, 4, v4, vcc_lo
	v_cmp_lt_i32_e32 vcc_lo, 0, v11
	s_and_saveexec_b32 s4, vcc_lo
	s_cbranch_execz .LBB65_4
; %bb.2:
	s_add_i32 s2, s18, s17
	s_lshl_b32 s5, s14, 2
	s_add_i32 s2, s2, s16
	s_mov_b32 s6, 0
	s_sub_i32 s2, s2, s5
	s_mov_b32 s5, 0
	v_mul_lo_u32 v2, s2, v8
	s_add_i32 s2, s15, 0
	s_delay_alu instid0(SALU_CYCLE_1) | instskip(NEXT) | instid1(VALU_DEP_2)
	v_add3_u32 v4, s2, v14, v12
	v_lshl_add_u32 v2, v2, 8, v13
	s_delay_alu instid0(VALU_DEP_1)
	v_lshl_or_b32 v2, v19, 3, v2
	.p2align	6
.LBB65_3:                               ; =>This Inner Loop Header: Depth=1
	s_delay_alu instid0(VALU_DEP_1) | instskip(SKIP_1) | instid1(VALU_DEP_1)
	v_ashrrev_i32_e32 v3, 31, v2
	s_add_i32 s6, s6, 1
	v_lshlrev_b64 v[5:6], 1, v[2:3]
	v_add_nc_u32_e32 v2, 0x100, v2
	s_waitcnt lgkmcnt(0)
	s_delay_alu instid0(VALU_DEP_2) | instskip(NEXT) | instid1(VALU_DEP_1)
	v_add_co_u32 v5, s2, s12, v5
	v_add_co_ci_u32_e64 v6, s2, s13, v6, s2
	v_cmp_ge_i32_e64 s2, s6, v11
	global_load_b128 v[15:18], v[5:6], off
	s_or_b32 s5, s2, s5
	s_waitcnt vmcnt(0)
	ds_store_b128 v4, v[15:18]
	v_add_nc_u32_e32 v4, 0x200, v4
	s_and_not1_b32 exec_lo, exec_lo, s5
	s_cbranch_execnz .LBB65_3
.LBB65_4:
	s_or_b32 exec_lo, exec_lo, s4
	s_load_b256 s[4:11], s[0:1], 0x18
	s_add_i32 s0, s20, 15
	v_mul_lo_u32 v15, v1, s3
	s_ashr_i32 s1, s0, 31
	s_mov_b32 s20, exec_lo
	s_lshr_b32 s1, s1, 28
	s_delay_alu instid0(SALU_CYCLE_1) | instskip(NEXT) | instid1(SALU_CYCLE_1)
	s_add_i32 s0, s0, s1
	s_ashr_i32 s2, s0, 4
	s_delay_alu instid0(SALU_CYCLE_1)
	v_cmpx_gt_i32_e64 s2, v19
	s_cbranch_execz .LBB65_7
; %bb.5:
	v_ashrrev_i32_e32 v9, 31, v8
	s_delay_alu instid0(VALU_DEP_1) | instskip(SKIP_1) | instid1(VALU_DEP_1)
	v_lshlrev_b64 v[1:2], 3, v[8:9]
	s_waitcnt lgkmcnt(0)
	v_add_co_u32 v1, s0, s10, v1
	s_delay_alu instid0(VALU_DEP_1)
	v_add_co_ci_u32_e64 v2, s0, s11, v2, s0
	s_ashr_i32 s0, s3, 31
	global_load_b64 v[1:2], v[1:2], off
	s_waitcnt vmcnt(0)
	v_mul_lo_u32 v4, v2, s3
	v_mul_lo_u32 v5, v1, s0
	v_mad_u64_u32 v[2:3], null, v1, s3, 0
	s_delay_alu instid0(VALU_DEP_1) | instskip(SKIP_1) | instid1(VALU_DEP_2)
	v_add3_u32 v3, v3, v5, v4
	v_and_b32_e32 v4, 31, v0
	v_lshlrev_b64 v[0:1], 1, v[2:3]
	s_delay_alu instid0(VALU_DEP_2) | instskip(SKIP_1) | instid1(VALU_DEP_2)
	v_lshlrev_b32_e32 v2, 4, v4
	v_lshlrev_b32_e32 v3, 1, v15
	v_add_co_u32 v0, s0, v0, v2
	s_delay_alu instid0(VALU_DEP_1) | instskip(NEXT) | instid1(VALU_DEP_3)
	v_add_co_ci_u32_e64 v1, s0, 0, v1, s0
	v_add3_u32 v2, v3, v12, 0
	v_mov_b32_e32 v3, v19
	s_delay_alu instid0(VALU_DEP_4) | instskip(NEXT) | instid1(VALU_DEP_1)
	v_add_co_u32 v0, s0, s8, v0
	v_add_co_ci_u32_e64 v1, s0, s9, v1, s0
	s_mov_b32 s8, 0
	.p2align	6
.LBB65_6:                               ; =>This Inner Loop Header: Depth=1
	global_load_b128 v[4:7], v[0:1], off
	v_add_nc_u32_e32 v3, 32, v3
	v_add_co_u32 v0, s0, 0x200, v0
	s_delay_alu instid0(VALU_DEP_1) | instskip(NEXT) | instid1(VALU_DEP_3)
	v_add_co_ci_u32_e64 v1, s0, 0, v1, s0
	v_cmp_le_i32_e64 s1, s2, v3
	s_delay_alu instid0(VALU_DEP_1)
	s_or_b32 s8, s1, s8
	s_waitcnt vmcnt(0)
	ds_store_b128 v2, v[4:7]
	v_add_nc_u32_e32 v2, 0x200, v2
	s_and_not1_b32 exec_lo, exec_lo, s8
	s_cbranch_execnz .LBB65_6
.LBB65_7:
	s_or_b32 exec_lo, exec_lo, s20
	s_delay_alu instid0(SALU_CYCLE_1)
	s_and_b32 exec_lo, exec_lo, vcc_lo
	s_cbranch_execz .LBB65_12
; %bb.8:
	s_waitcnt lgkmcnt(0)
	s_clause 0x1
	global_load_b128 v[0:3], v12, s[4:5]
	global_load_b128 v[4:7], v12, s[6:7]
	s_abs_i32 s2, s3
	v_add_nc_u32_e32 v43, s15, v14
	v_cvt_f32_u32_e32 v14, s2
	v_lshl_add_u32 v9, v15, 1, 0
	v_mbcnt_lo_u32_b32 v15, -1, 0
	s_lshr_b32 s0, s3, 31
	s_ashr_i32 s1, s3, 31
	v_rcp_iflag_f32_e32 v14, v14
	s_add_i32 s0, s3, s0
	s_lshr_b32 s6, s1, 29
	s_lshr_b32 s1, s1, 28
	v_xor_b32_e32 v16, 16, v15
	s_and_b32 s0, s0, -2
	s_add_i32 s6, s3, s6
	s_add_i32 s1, s3, s1
	s_sub_i32 s7, 0, s2
	v_add_nc_u32_e32 v34, s0, v9
	s_waitcnt_depctr 0xfff
	v_mul_f32_e32 v14, 0x4f7ffffe, v14
	s_ashr_i32 s0, s6, 3
	s_ashr_i32 s1, s1, 4
	v_xor_b32_e32 v17, 8, v15
	v_cmp_gt_i32_e32 vcc_lo, s0, v19
	v_cvt_u32_f32_e32 v29, v14
	v_xor_b32_e32 v14, s1, v15
	v_cmp_gt_i32_e64 s0, s1, v19
	v_cmp_gt_i32_e64 s1, 32, v16
	s_add_i32 s4, s18, s17
	v_mul_lo_u32 v30, s7, v29
	s_lshl_b32 s5, s14, 2
	s_add_i32 s4, s4, s16
	v_xor_b32_e32 v18, 4, v15
	s_sub_i32 s3, s4, s5
	v_cndmask_b32_e64 v16, v15, v16, s1
	v_cmp_gt_i32_e64 s1, 32, v17
	v_mul_lo_u32 v8, s3, v8
	v_mul_hi_u32 v30, v29, v30
	v_xor_b32_e32 v27, 2, v15
	v_xor_b32_e32 v28, 1, v15
	v_cndmask_b32_e64 v17, v15, v17, s1
	v_cmp_gt_i32_e64 s1, 32, v18
	v_or_b32_e32 v20, 2, v12
	v_or_b32_e32 v21, 4, v12
	v_lshl_add_u32 v8, v8, 8, v13
	v_lshlrev_b32_e32 v13, 2, v16
	v_cndmask_b32_e64 v18, v15, v18, s1
	v_cmp_gt_i32_e64 s1, 32, v27
	v_add_nc_u32_e32 v29, v29, v30
	v_lshl_or_b32 v8, v19, 3, v8
	v_or_b32_e32 v22, 6, v12
	v_or_b32_e32 v23, 8, v12
	v_cndmask_b32_e64 v27, v15, v27, s1
	v_cmp_gt_i32_e64 s1, 32, v28
	v_mul_hi_u32 v19, v12, v29
	v_or_b32_e32 v24, 10, v12
	v_or_b32_e32 v25, 12, v12
	v_lshlrev_b32_e32 v16, 2, v27
	v_cndmask_b32_e64 v28, v15, v28, s1
	v_cmp_gt_i32_e64 s1, 32, v14
	v_mul_hi_u32 v27, v20, v29
	v_or_b32_e32 v26, 14, v12
	v_mul_lo_u32 v19, v19, s2
	v_mul_hi_u32 v30, v22, v29
	v_cndmask_b32_e64 v31, v15, v14, s1
	v_lshlrev_b32_e32 v14, 2, v17
	v_lshlrev_b32_e32 v17, 2, v28
	v_mul_hi_u32 v28, v21, v29
	v_mul_lo_u32 v27, v27, s2
	v_lshlrev_b32_e32 v15, 2, v18
	v_lshlrev_b32_e32 v18, 2, v31
	v_mul_hi_u32 v31, v23, v29
	v_mul_hi_u32 v32, v24, v29
	;; [unrolled: 1-line block ×4, first 2 shown]
	v_sub_nc_u32_e32 v19, v12, v19
	v_mul_lo_u32 v28, v28, s2
	v_sub_nc_u32_e32 v20, v20, v27
	v_mul_lo_u32 v30, v30, s2
	v_mul_lo_u32 v31, v31, s2
	v_subrev_nc_u32_e32 v27, s2, v19
	v_cmp_le_u32_e64 s1, s2, v19
	v_mul_lo_u32 v29, v29, s2
	v_mul_lo_u32 v32, v32, s2
	v_sub_nc_u32_e32 v21, v21, v28
	v_subrev_nc_u32_e32 v28, s2, v20
	v_cndmask_b32_e64 v19, v19, v27, s1
	v_cmp_le_u32_e64 s1, s2, v20
	v_sub_nc_u32_e32 v22, v22, v30
	v_sub_nc_u32_e32 v23, v23, v31
	;; [unrolled: 1-line block ×3, first 2 shown]
	v_subrev_nc_u32_e32 v29, s2, v21
	v_cndmask_b32_e64 v20, v20, v28, s1
	v_cmp_le_u32_e64 s1, s2, v21
	v_subrev_nc_u32_e32 v30, s2, v22
	v_mul_lo_u32 v33, v33, s2
	v_sub_nc_u32_e32 v24, v24, v32
	v_subrev_nc_u32_e32 v31, s2, v23
	v_cndmask_b32_e64 v21, v21, v29, s1
	v_cmp_le_u32_e64 s1, s2, v22
	v_subrev_nc_u32_e32 v35, s2, v26
	v_subrev_nc_u32_e32 v32, s2, v24
	;; [unrolled: 1-line block ×3, first 2 shown]
	v_sub_nc_u32_e32 v25, v25, v33
	v_cndmask_b32_e64 v22, v22, v30, s1
	v_cmp_le_u32_e64 s1, s2, v23
	v_subrev_nc_u32_e32 v28, s2, v20
	v_subrev_nc_u32_e32 v29, s2, v21
	;; [unrolled: 1-line block ×4, first 2 shown]
	v_cndmask_b32_e64 v23, v23, v31, s1
	v_cmp_le_u32_e64 s1, s2, v24
	v_add3_u32 v12, v43, v12, 0
	s_mov_b32 s3, 0
	s_mov_b32 s4, 0
	v_subrev_nc_u32_e32 v31, s2, v23
	v_cndmask_b32_e64 v24, v24, v32, s1
	v_cmp_le_u32_e64 s1, s2, v25
	s_delay_alu instid0(VALU_DEP_2) | instskip(NEXT) | instid1(VALU_DEP_2)
	v_subrev_nc_u32_e32 v32, s2, v24
	v_cndmask_b32_e64 v25, v25, v33, s1
	v_cmp_le_u32_e64 s1, s2, v26
	s_delay_alu instid0(VALU_DEP_2) | instskip(NEXT) | instid1(VALU_DEP_2)
	;; [unrolled: 4-line block ×4, first 2 shown]
	v_and_b32_e32 v27, -2, v19
	v_cndmask_b32_e64 v20, v20, v28, s1
	v_cmp_le_u32_e64 s1, s2, v21
	s_delay_alu instid0(VALU_DEP_3) | instskip(NEXT) | instid1(VALU_DEP_3)
	v_add_nc_u32_e32 v19, v9, v27
	v_and_b32_e32 v28, -2, v20
	s_delay_alu instid0(VALU_DEP_3) | instskip(SKIP_2) | instid1(VALU_DEP_3)
	v_cndmask_b32_e64 v21, v21, v29, s1
	v_cmp_le_u32_e64 s1, s2, v22
	v_add_nc_u32_e32 v20, v34, v27
	v_and_b32_e32 v29, -2, v21
	s_delay_alu instid0(VALU_DEP_3) | instskip(SKIP_2) | instid1(VALU_DEP_3)
	v_cndmask_b32_e64 v22, v22, v30, s1
	v_cmp_le_u32_e64 s1, s2, v23
	;; [unrolled: 5-line block ×3, first 2 shown]
	v_add_nc_u32_e32 v22, v34, v28
	v_and_b32_e32 v31, -2, v23
	s_delay_alu instid0(VALU_DEP_3) | instskip(SKIP_2) | instid1(VALU_DEP_4)
	v_cndmask_b32_e64 v24, v24, v32, s1
	v_cmp_le_u32_e64 s1, s2, v25
	v_add_nc_u32_e32 v23, v9, v29
	v_add_nc_u32_e32 v27, v9, v31
	s_delay_alu instid0(VALU_DEP_4) | instskip(NEXT) | instid1(VALU_DEP_4)
	v_and_b32_e32 v32, -2, v24
	v_cndmask_b32_e64 v25, v25, v33, s1
	v_cmp_le_u32_e64 s1, s2, v26
	v_add_nc_u32_e32 v24, v34, v29
	v_add_nc_u32_e32 v28, v34, v31
	v_add_nc_u32_e32 v29, v9, v32
	v_and_b32_e32 v33, -2, v25
	v_cndmask_b32_e64 v26, v26, v35, s1
	v_add_nc_u32_e32 v25, v9, v30
	s_delay_alu instid0(VALU_DEP_3) | instskip(NEXT) | instid1(VALU_DEP_3)
	v_add_nc_u32_e32 v31, v9, v33
	v_and_b32_e32 v35, -2, v26
	v_add_nc_u32_e32 v26, v34, v30
	v_add_nc_u32_e32 v30, v34, v32
	;; [unrolled: 1-line block ×3, first 2 shown]
	s_delay_alu instid0(VALU_DEP_4)
	v_add_nc_u32_e32 v33, v9, v35
	v_add_nc_u32_e32 v34, v34, v35
	s_waitcnt vmcnt(1)
	v_lshrrev_b32_e32 v35, 16, v0
	v_lshrrev_b32_e32 v36, 16, v1
	;; [unrolled: 1-line block ×4, first 2 shown]
	s_waitcnt vmcnt(0)
	v_lshrrev_b32_e32 v39, 16, v4
	v_lshrrev_b32_e32 v40, 16, v5
	v_lshrrev_b32_e32 v41, 16, v6
	v_lshrrev_b32_e32 v42, 16, v7
	s_branch .LBB65_10
.LBB65_9:                               ;   in Loop: Header=BB65_10 Depth=1
	s_or_b32 exec_lo, exec_lo, s1
	v_ashrrev_i32_e32 v9, 31, v8
	v_cvt_f16_f32_e32 v51, v48
	v_cvt_f16_f32_e32 v52, v47
	;; [unrolled: 1-line block ×4, first 2 shown]
	v_lshlrev_b64 v[47:48], 1, v[8:9]
	v_cvt_f16_f32_e32 v9, v44
	v_cvt_f16_f32_e32 v44, v45
	v_cvt_f16_f32_e32 v45, v46
	v_cvt_f16_f32_e32 v43, v43
	s_add_i32 s4, s4, 1
	v_add_co_u32 v47, s1, s12, v47
	s_delay_alu instid0(VALU_DEP_1)
	v_add_co_ci_u32_e64 v48, s1, s13, v48, s1
	v_cmp_ge_i32_e64 s1, s4, v11
	v_pack_b32_f16 v46, v45, v43
	v_pack_b32_f16 v45, v9, v44
	;; [unrolled: 1-line block ×4, first 2 shown]
	v_add_nc_u32_e32 v8, 0x100, v8
	v_add_nc_u32_e32 v12, 0x200, v12
	s_or_b32 s3, s1, s3
	global_store_b128 v[47:48], v[43:46], off
	s_and_not1_b32 exec_lo, exec_lo, s3
	s_cbranch_execz .LBB65_12
.LBB65_10:                              ; =>This Inner Loop Header: Depth=1
	ds_load_b128 v[43:46], v12
	v_add_nc_u32_e32 v49, s4, v10
	s_delay_alu instid0(VALU_DEP_1) | instskip(NEXT) | instid1(VALU_DEP_1)
	v_cmp_gt_i32_e64 s1, s16, v49
	v_cndmask_b32_e64 v50, v39, v35, s1
	v_cndmask_b32_e64 v52, v40, v36, s1
	;; [unrolled: 1-line block ×5, first 2 shown]
	v_cvt_f32_f16_e32 v50, v50
	v_cndmask_b32_e64 v55, v42, v38, s1
	v_cvt_f32_f16_e32 v52, v52
	v_cvt_f32_f16_e32 v51, v51
	s_waitcnt lgkmcnt(0)
	v_lshrrev_b32_e32 v9, 16, v43
	v_cvt_f32_f16_e32 v56, v44
	v_lshrrev_b32_e32 v59, 16, v46
	v_cvt_f32_f16_e32 v53, v53
	v_cvt_f32_f16_e32 v54, v54
	;; [unrolled: 1-line block ×5, first 2 shown]
	s_delay_alu instid0(VALU_DEP_3) | instskip(NEXT) | instid1(VALU_DEP_1)
	v_mul_f32_e32 v47, v9, v9
	v_fma_mix_f32 v47, v43, v43, v47 op_sel_hi:[1,1,0]
	v_cvt_f32_f16_e32 v43, v43
	s_delay_alu instid0(VALU_DEP_2) | instskip(NEXT) | instid1(VALU_DEP_1)
	v_fma_mix_f32 v47, v44, v44, v47 op_sel_hi:[1,1,0]
	v_fma_mix_f32 v47, v44, v44, v47 op_sel:[1,1,0] op_sel_hi:[1,1,0]
	v_lshrrev_b32_e32 v44, 16, v44
	s_delay_alu instid0(VALU_DEP_2) | instskip(NEXT) | instid1(VALU_DEP_2)
	v_fma_mix_f32 v47, v45, v45, v47 op_sel_hi:[1,1,0]
	v_cvt_f32_f16_e32 v44, v44
	s_delay_alu instid0(VALU_DEP_2) | instskip(SKIP_1) | instid1(VALU_DEP_2)
	v_fma_mix_f32 v47, v45, v45, v47 op_sel:[1,1,0] op_sel_hi:[1,1,0]
	v_lshrrev_b32_e32 v45, 16, v45
	v_fma_mix_f32 v47, v46, v46, v47 op_sel_hi:[1,1,0]
	s_delay_alu instid0(VALU_DEP_2) | instskip(NEXT) | instid1(VALU_DEP_2)
	v_cvt_f32_f16_e32 v45, v45
	v_fma_mix_f32 v47, v46, v46, v47 op_sel:[1,1,0] op_sel_hi:[1,1,0]
	v_cvt_f32_f16_e32 v46, v46
	ds_bpermute_b32 v48, v13, v47
	s_waitcnt lgkmcnt(0)
	v_add_f32_e32 v47, v47, v48
	ds_bpermute_b32 v48, v14, v47
	s_waitcnt lgkmcnt(0)
	v_add_f32_e32 v47, v47, v48
	;; [unrolled: 3-line block ×5, first 2 shown]
	v_cndmask_b32_e64 v48, v4, v0, s1
	s_delay_alu instid0(VALU_DEP_2) | instskip(NEXT) | instid1(VALU_DEP_2)
	v_fma_f32 v47, 0x3b800000, v47, s19
	v_cvt_f32_f16_e32 v48, v48
	s_delay_alu instid0(VALU_DEP_2) | instskip(SKIP_1) | instid1(VALU_DEP_1)
	v_mul_f32_e32 v49, 0x4b800000, v47
	v_cmp_gt_f32_e64 s2, 0x800000, v47
	v_cndmask_b32_e64 v47, v47, v49, s2
	v_cndmask_b32_e64 v49, v6, v2, s1
	s_delay_alu instid0(VALU_DEP_2) | instskip(NEXT) | instid1(VALU_DEP_1)
	v_rsq_f32_e32 v47, v47
	v_cvt_f32_f16_e32 v49, v49
	s_waitcnt_depctr 0xfff
	v_mul_f32_e32 v57, 0x45800000, v47
	s_delay_alu instid0(VALU_DEP_1) | instskip(SKIP_1) | instid1(VALU_DEP_2)
	v_cndmask_b32_e64 v47, v47, v57, s2
	v_cvt_f32_f16_e32 v57, v59
	v_mul_f32_e32 v52, v47, v52
	v_mul_f32_e32 v48, v47, v48
	;; [unrolled: 1-line block ×6, first 2 shown]
	v_dual_mul_f32 v54, v47, v54 :: v_dual_mul_f32 v49, v48, v43
	v_dual_mul_f32 v55, v47, v55 :: v_dual_mul_f32 v50, v50, v9
	v_mul_f32_e32 v48, v51, v56
	v_dual_mul_f32 v47, v52, v44 :: v_dual_mul_f32 v44, v59, v58
	s_delay_alu instid0(VALU_DEP_4) | instskip(NEXT) | instid1(VALU_DEP_4)
	v_dual_mul_f32 v45, v53, v45 :: v_dual_mul_f32 v46, v54, v46
	v_mul_f32_e32 v43, v55, v57
	s_and_saveexec_b32 s1, vcc_lo
	s_cbranch_execz .LBB65_9
; %bb.11:                               ;   in Loop: Header=BB65_10 Depth=1
	; wave barrier
	ds_bpermute_b32 v9, v18, v49
	ds_load_u16 v51, v19
	ds_load_u16 v52, v20
	ds_bpermute_b32 v53, v18, v50
	ds_load_u16 v54, v21
	ds_load_u16 v55, v22
	;; [unrolled: 1-line block ×4, first 2 shown]
	ds_bpermute_b32 v56, v18, v48
	ds_bpermute_b32 v59, v18, v47
	ds_load_u16 v60, v25
	ds_load_u16 v61, v26
	ds_bpermute_b32 v62, v18, v44
	ds_load_u16 v63, v27
	ds_load_u16 v64, v28
	;; [unrolled: 1-line block ×8, first 2 shown]
	ds_bpermute_b32 v65, v18, v43
	; wave barrier
	s_waitcnt lgkmcnt(21)
	v_cndmask_b32_e64 v9, v9, -v9, s0
	s_waitcnt lgkmcnt(19)
	v_lshlrev_b32_e32 v52, 16, v52
	s_waitcnt lgkmcnt(18)
	v_cndmask_b32_e64 v53, v53, -v53, s0
	s_waitcnt lgkmcnt(16)
	v_lshlrev_b32_e32 v55, 16, v55
	v_lshlrev_b32_e32 v54, 16, v54
	s_waitcnt lgkmcnt(13)
	v_cndmask_b32_e64 v56, v56, -v56, s0
	v_mul_f32_e32 v9, v9, v52
	v_dual_mul_f32 v52, v53, v55 :: v_dual_lshlrev_b32 v53, 16, v57
	ds_bpermute_b32 v55, v18, v45
	ds_bpermute_b32 v57, v18, v46
	v_dual_fmac_f32 v52, v50, v54 :: v_dual_lshlrev_b32 v51, 16, v51
	s_waitcnt lgkmcnt(14)
	v_cndmask_b32_e64 v50, v59, -v59, s0
	s_waitcnt lgkmcnt(11)
	v_cndmask_b32_e64 v54, v62, -v62, s0
	;; [unrolled: 2-line block ×3, first 2 shown]
	v_fmac_f32_e32 v9, v49, v51
	v_dual_mul_f32 v51, v56, v53 :: v_dual_lshlrev_b32 v56, 16, v64
	s_delay_alu instid0(VALU_DEP_1) | instskip(NEXT) | instid1(VALU_DEP_1)
	v_dual_mul_f32 v54, v54, v56 :: v_dual_lshlrev_b32 v53, 16, v61
	v_dual_mul_f32 v53, v50, v53 :: v_dual_lshlrev_b32 v56, 16, v67
	s_waitcnt lgkmcnt(1)
	v_cndmask_b32_e64 v50, v55, -v55, s0
	v_lshlrev_b32_e32 v49, 16, v58
	s_waitcnt lgkmcnt(0)
	v_cndmask_b32_e64 v57, v57, -v57, s0
	s_delay_alu instid0(VALU_DEP_2) | instskip(SKIP_4) | instid1(VALU_DEP_4)
	v_dual_mul_f32 v56, v50, v56 :: v_dual_fmac_f32 v51, v48, v49
	v_lshlrev_b32_e32 v48, 16, v60
	v_lshlrev_b32_e32 v60, 16, v71
	;; [unrolled: 1-line block ×4, first 2 shown]
	v_fmac_f32_e32 v53, v47, v48
	s_delay_alu instid0(VALU_DEP_4) | instskip(NEXT) | instid1(VALU_DEP_4)
	v_mul_f32_e32 v59, v59, v60
	v_mul_f32_e32 v57, v57, v58
	v_lshlrev_b32_e32 v58, 16, v70
	v_lshlrev_b32_e32 v50, 16, v68
	v_dual_mov_b32 v48, v51 :: v_dual_mov_b32 v47, v53
	s_delay_alu instid0(VALU_DEP_3) | instskip(NEXT) | instid1(VALU_DEP_3)
	v_fmac_f32_e32 v59, v43, v58
	v_dual_fmac_f32 v57, v46, v50 :: v_dual_mov_b32 v50, v52
	v_dual_fmac_f32 v54, v44, v49 :: v_dual_lshlrev_b32 v55, 16, v66
	v_mov_b32_e32 v49, v9
	s_delay_alu instid0(VALU_DEP_3) | instskip(NEXT) | instid1(VALU_DEP_3)
	v_dual_mov_b32 v46, v57 :: v_dual_mov_b32 v43, v59
	v_fmac_f32_e32 v56, v45, v55
	s_delay_alu instid0(VALU_DEP_1)
	v_dual_mov_b32 v44, v54 :: v_dual_mov_b32 v45, v56
	s_branch .LBB65_9
.LBB65_12:
	s_nop 0
	s_sendmsg sendmsg(MSG_DEALLOC_VGPRS)
	s_endpgm
	.section	.rodata,"a",@progbits
	.p2align	6, 0x0
	.amdhsa_kernel _ZN12tensorrt_llm7kernels32fusedQKNormRopeKernelNTokenHeadsIN3c104HalfENS2_8BFloat16ELi256ELb0ELi4EEEvPviiifPKvS7_S7_PKlii
		.amdhsa_group_segment_fixed_size 0
		.amdhsa_private_segment_fixed_size 0
		.amdhsa_kernarg_size 320
		.amdhsa_user_sgpr_count 15
		.amdhsa_user_sgpr_dispatch_ptr 0
		.amdhsa_user_sgpr_queue_ptr 0
		.amdhsa_user_sgpr_kernarg_segment_ptr 1
		.amdhsa_user_sgpr_dispatch_id 0
		.amdhsa_user_sgpr_private_segment_size 0
		.amdhsa_wavefront_size32 1
		.amdhsa_uses_dynamic_stack 0
		.amdhsa_enable_private_segment 0
		.amdhsa_system_sgpr_workgroup_id_x 1
		.amdhsa_system_sgpr_workgroup_id_y 0
		.amdhsa_system_sgpr_workgroup_id_z 0
		.amdhsa_system_sgpr_workgroup_info 0
		.amdhsa_system_vgpr_workitem_id 0
		.amdhsa_next_free_vgpr 72
		.amdhsa_next_free_sgpr 21
		.amdhsa_reserve_vcc 1
		.amdhsa_float_round_mode_32 0
		.amdhsa_float_round_mode_16_64 0
		.amdhsa_float_denorm_mode_32 3
		.amdhsa_float_denorm_mode_16_64 3
		.amdhsa_dx10_clamp 1
		.amdhsa_ieee_mode 1
		.amdhsa_fp16_overflow 0
		.amdhsa_workgroup_processor_mode 1
		.amdhsa_memory_ordered 1
		.amdhsa_forward_progress 0
		.amdhsa_shared_vgpr_count 0
		.amdhsa_exception_fp_ieee_invalid_op 0
		.amdhsa_exception_fp_denorm_src 0
		.amdhsa_exception_fp_ieee_div_zero 0
		.amdhsa_exception_fp_ieee_overflow 0
		.amdhsa_exception_fp_ieee_underflow 0
		.amdhsa_exception_fp_ieee_inexact 0
		.amdhsa_exception_int_div_zero 0
	.end_amdhsa_kernel
	.section	.text._ZN12tensorrt_llm7kernels32fusedQKNormRopeKernelNTokenHeadsIN3c104HalfENS2_8BFloat16ELi256ELb0ELi4EEEvPviiifPKvS7_S7_PKlii,"axG",@progbits,_ZN12tensorrt_llm7kernels32fusedQKNormRopeKernelNTokenHeadsIN3c104HalfENS2_8BFloat16ELi256ELb0ELi4EEEvPviiifPKvS7_S7_PKlii,comdat
.Lfunc_end65:
	.size	_ZN12tensorrt_llm7kernels32fusedQKNormRopeKernelNTokenHeadsIN3c104HalfENS2_8BFloat16ELi256ELb0ELi4EEEvPviiifPKvS7_S7_PKlii, .Lfunc_end65-_ZN12tensorrt_llm7kernels32fusedQKNormRopeKernelNTokenHeadsIN3c104HalfENS2_8BFloat16ELi256ELb0ELi4EEEvPviiifPKvS7_S7_PKlii
                                        ; -- End function
	.section	.AMDGPU.csdata,"",@progbits
; Kernel info:
; codeLenInByte = 3040
; NumSgprs: 23
; NumVgprs: 72
; ScratchSize: 0
; MemoryBound: 0
; FloatMode: 240
; IeeeMode: 1
; LDSByteSize: 0 bytes/workgroup (compile time only)
; SGPRBlocks: 2
; VGPRBlocks: 8
; NumSGPRsForWavesPerEU: 23
; NumVGPRsForWavesPerEU: 72
; Occupancy: 16
; WaveLimiterHint : 0
; COMPUTE_PGM_RSRC2:SCRATCH_EN: 0
; COMPUTE_PGM_RSRC2:USER_SGPR: 15
; COMPUTE_PGM_RSRC2:TRAP_HANDLER: 0
; COMPUTE_PGM_RSRC2:TGID_X_EN: 1
; COMPUTE_PGM_RSRC2:TGID_Y_EN: 0
; COMPUTE_PGM_RSRC2:TGID_Z_EN: 0
; COMPUTE_PGM_RSRC2:TIDIG_COMP_CNT: 0
	.section	.text._ZN12tensorrt_llm7kernels32fusedQKNormRopeKernelNTokenHeadsIN3c104HalfENS2_8BFloat16ELi64ELb1ELi8EEEvPviiifPKvS7_S7_PKlii,"axG",@progbits,_ZN12tensorrt_llm7kernels32fusedQKNormRopeKernelNTokenHeadsIN3c104HalfENS2_8BFloat16ELi64ELb1ELi8EEEvPviiifPKvS7_S7_PKlii,comdat
	.protected	_ZN12tensorrt_llm7kernels32fusedQKNormRopeKernelNTokenHeadsIN3c104HalfENS2_8BFloat16ELi64ELb1ELi8EEEvPviiifPKvS7_S7_PKlii ; -- Begin function _ZN12tensorrt_llm7kernels32fusedQKNormRopeKernelNTokenHeadsIN3c104HalfENS2_8BFloat16ELi64ELb1ELi8EEEvPviiifPKvS7_S7_PKlii
	.globl	_ZN12tensorrt_llm7kernels32fusedQKNormRopeKernelNTokenHeadsIN3c104HalfENS2_8BFloat16ELi64ELb1ELi8EEEvPviiifPKvS7_S7_PKlii
	.p2align	8
	.type	_ZN12tensorrt_llm7kernels32fusedQKNormRopeKernelNTokenHeadsIN3c104HalfENS2_8BFloat16ELi64ELb1ELi8EEEvPviiifPKvS7_S7_PKlii,@function
_ZN12tensorrt_llm7kernels32fusedQKNormRopeKernelNTokenHeadsIN3c104HalfENS2_8BFloat16ELi64ELb1ELi8EEEvPviiifPKvS7_S7_PKlii: ; @_ZN12tensorrt_llm7kernels32fusedQKNormRopeKernelNTokenHeadsIN3c104HalfENS2_8BFloat16ELi64ELb1ELi8EEEvPviiifPKvS7_S7_PKlii
; %bb.0:
	s_clause 0x1
	s_load_b128 s[16:19], s[0:1], 0x8
	s_load_b64 s[2:3], s[0:1], 0x38
	v_lshrrev_b32_e32 v2, 5, v0
	s_waitcnt lgkmcnt(0)
	s_add_i32 s4, s17, s16
	s_delay_alu instid0(SALU_CYCLE_1) | instskip(NEXT) | instid1(SALU_CYCLE_1)
	s_add_i32 s5, s4, 7
	s_ashr_i32 s6, s5, 31
	s_delay_alu instid0(SALU_CYCLE_1) | instskip(NEXT) | instid1(SALU_CYCLE_1)
	s_lshr_b32 s6, s6, 29
	s_add_i32 s5, s5, s6
	s_delay_alu instid0(SALU_CYCLE_1) | instskip(SKIP_2) | instid1(SALU_CYCLE_1)
	s_ashr_i32 s14, s5, 3
	s_load_b32 s5, s[0:1], 0x4c
	s_abs_i32 s6, s14
	v_cvt_f32_u32_e32 v1, s6
	s_sub_i32 s7, 0, s6
	s_delay_alu instid0(VALU_DEP_1) | instskip(SKIP_4) | instid1(SALU_CYCLE_1)
	v_rcp_iflag_f32_e32 v1, v1
	s_waitcnt_depctr 0xfff
	v_mul_f32_e32 v1, 0x4f7ffffe, v1
	s_waitcnt lgkmcnt(0)
	s_bfe_u32 s5, s5, 0xb0005
	v_mad_u64_u32 v[3:4], null, s15, s5, v[2:3]
	s_delay_alu instid0(VALU_DEP_2) | instskip(NEXT) | instid1(VALU_DEP_1)
	v_cvt_u32_f32_e32 v1, v1
	v_mul_lo_u32 v5, s7, v1
	s_delay_alu instid0(VALU_DEP_1) | instskip(NEXT) | instid1(VALU_DEP_4)
	v_mul_hi_u32 v4, v1, v5
	v_sub_nc_u32_e32 v5, 0, v3
	s_delay_alu instid0(VALU_DEP_1) | instskip(NEXT) | instid1(VALU_DEP_3)
	v_max_i32_e32 v5, v3, v5
	v_add_nc_u32_e32 v1, v1, v4
	s_delay_alu instid0(VALU_DEP_1) | instskip(NEXT) | instid1(VALU_DEP_1)
	v_mul_hi_u32 v1, v5, v1
	v_mul_lo_u32 v4, v1, s6
	s_delay_alu instid0(VALU_DEP_1) | instskip(SKIP_1) | instid1(VALU_DEP_2)
	v_sub_nc_u32_e32 v4, v5, v4
	v_add_nc_u32_e32 v5, 1, v1
	v_subrev_nc_u32_e32 v6, s6, v4
	v_cmp_le_u32_e32 vcc_lo, s6, v4
	s_delay_alu instid0(VALU_DEP_2) | instskip(SKIP_1) | instid1(VALU_DEP_2)
	v_dual_cndmask_b32 v4, v4, v6 :: v_dual_cndmask_b32 v1, v1, v5
	v_xor_b32_e32 v5, s14, v3
	v_cmp_le_u32_e32 vcc_lo, s6, v4
	s_delay_alu instid0(VALU_DEP_3) | instskip(NEXT) | instid1(VALU_DEP_3)
	v_add_nc_u32_e32 v6, 1, v1
	v_ashrrev_i32_e32 v5, 31, v5
	s_delay_alu instid0(VALU_DEP_2) | instskip(NEXT) | instid1(VALU_DEP_1)
	v_cndmask_b32_e32 v1, v1, v6, vcc_lo
	v_xor_b32_e32 v1, v1, v5
	s_delay_alu instid0(VALU_DEP_1) | instskip(NEXT) | instid1(VALU_DEP_1)
	v_sub_nc_u32_e32 v1, v1, v5
	v_cmp_gt_i32_e32 vcc_lo, s2, v1
	s_and_saveexec_b32 s2, vcc_lo
	s_cbranch_execz .LBB66_12
; %bb.1:
	v_mul_lo_u32 v4, v1, s14
	s_load_b64 s[12:13], s[0:1], 0x0
	v_and_b32_e32 v7, 31, v0
	v_lshlrev_b32_e32 v9, 10, v2
	v_lshlrev_b32_e32 v0, 9, v3
	s_lshl_b32 s20, s3, 1
	s_delay_alu instid0(VALU_DEP_3) | instskip(SKIP_2) | instid1(VALU_DEP_1)
	v_lshlrev_b32_e32 v8, 2, v7
	v_sub_nc_u32_e32 v4, v3, v4
	s_mul_i32 s15, s20, s5
	v_lshlrev_b32_e32 v5, 3, v4
	s_delay_alu instid0(VALU_DEP_1) | instskip(SKIP_1) | instid1(VALU_DEP_2)
	v_add_nc_u32_e32 v4, 8, v5
	v_sub_nc_u32_e32 v6, s4, v5
	v_cmp_lt_i32_e32 vcc_lo, s4, v4
	s_delay_alu instid0(VALU_DEP_2) | instskip(NEXT) | instid1(VALU_DEP_1)
	v_cndmask_b32_e32 v6, 8, v6, vcc_lo
	v_cmp_lt_i32_e32 vcc_lo, 0, v6
	s_and_saveexec_b32 s4, vcc_lo
	s_cbranch_execz .LBB66_4
; %bb.2:
	s_add_i32 s2, s18, s17
	s_lshl_b32 s5, s14, 3
	s_add_i32 s2, s2, s16
	s_mov_b32 s6, 0
	s_sub_i32 s2, s2, s5
	s_mov_b32 s5, 0
	v_mul_lo_u32 v3, s2, v1
	s_add_i32 s2, s15, 0
	s_delay_alu instid0(SALU_CYCLE_1) | instskip(NEXT) | instid1(VALU_DEP_2)
	v_add3_u32 v10, s2, v9, v8
	v_lshl_add_u32 v3, v3, 6, v0
	s_delay_alu instid0(VALU_DEP_1)
	v_lshl_or_b32 v3, v7, 1, v3
	.p2align	6
.LBB66_3:                               ; =>This Inner Loop Header: Depth=1
	s_delay_alu instid0(VALU_DEP_1) | instskip(SKIP_1) | instid1(VALU_DEP_1)
	v_ashrrev_i32_e32 v4, 31, v3
	s_add_i32 s6, s6, 1
	v_lshlrev_b64 v[11:12], 1, v[3:4]
	v_add_nc_u32_e32 v3, 64, v3
	s_waitcnt lgkmcnt(0)
	s_delay_alu instid0(VALU_DEP_2) | instskip(NEXT) | instid1(VALU_DEP_1)
	v_add_co_u32 v11, s2, s12, v11
	v_add_co_ci_u32_e64 v12, s2, s13, v12, s2
	v_cmp_ge_i32_e64 s2, s6, v6
	global_load_b32 v4, v[11:12], off
	s_or_b32 s5, s2, s5
	s_waitcnt vmcnt(0)
	ds_store_b32 v10, v4
	v_add_nc_u32_e32 v10, 0x80, v10
	s_and_not1_b32 exec_lo, exec_lo, s5
	s_cbranch_execnz .LBB66_3
.LBB66_4:
	s_or_b32 exec_lo, exec_lo, s4
	s_load_b256 s[4:11], s[0:1], 0x18
	v_mul_lo_u32 v2, v2, s3
	s_add_i32 s0, s20, 15
	s_mov_b32 s20, exec_lo
	s_ashr_i32 s1, s0, 31
	s_delay_alu instid0(SALU_CYCLE_1) | instskip(NEXT) | instid1(SALU_CYCLE_1)
	s_lshr_b32 s1, s1, 28
	s_add_i32 s0, s0, s1
	s_delay_alu instid0(VALU_DEP_1) | instskip(SKIP_1) | instid1(SALU_CYCLE_1)
	v_lshlrev_b32_e32 v4, 1, v2
	s_ashr_i32 s2, s0, 4
	v_cmpx_gt_i32_e64 s2, v7
	s_cbranch_execz .LBB66_7
; %bb.5:
	v_ashrrev_i32_e32 v2, 31, v1
	s_delay_alu instid0(VALU_DEP_1) | instskip(SKIP_1) | instid1(VALU_DEP_1)
	v_lshlrev_b64 v[2:3], 3, v[1:2]
	s_waitcnt lgkmcnt(0)
	v_add_co_u32 v2, s0, s10, v2
	s_delay_alu instid0(VALU_DEP_1)
	v_add_co_ci_u32_e64 v3, s0, s11, v3, s0
	s_ashr_i32 s0, s3, 31
	global_load_b64 v[2:3], v[2:3], off
	s_waitcnt vmcnt(0)
	v_mul_lo_u32 v3, v3, s3
	v_mul_lo_u32 v12, v2, s0
	v_mad_u64_u32 v[10:11], null, v2, s3, 0
	s_delay_alu instid0(VALU_DEP_1) | instskip(NEXT) | instid1(VALU_DEP_1)
	v_add3_u32 v11, v11, v12, v3
	v_lshlrev_b64 v[2:3], 1, v[10:11]
	v_dual_mov_b32 v11, v7 :: v_dual_lshlrev_b32 v10, 4, v7
	s_delay_alu instid0(VALU_DEP_1) | instskip(NEXT) | instid1(VALU_DEP_1)
	v_add_co_u32 v2, s0, v2, v10
	v_add_co_ci_u32_e64 v3, s0, 0, v3, s0
	v_add3_u32 v10, v4, v10, 0
	s_delay_alu instid0(VALU_DEP_3) | instskip(NEXT) | instid1(VALU_DEP_1)
	v_add_co_u32 v2, s0, s8, v2
	v_add_co_ci_u32_e64 v3, s0, s9, v3, s0
	s_mov_b32 s8, 0
	.p2align	6
.LBB66_6:                               ; =>This Inner Loop Header: Depth=1
	global_load_b128 v[12:15], v[2:3], off
	v_add_nc_u32_e32 v11, 32, v11
	v_add_co_u32 v2, s0, 0x200, v2
	s_delay_alu instid0(VALU_DEP_1) | instskip(NEXT) | instid1(VALU_DEP_3)
	v_add_co_ci_u32_e64 v3, s0, 0, v3, s0
	v_cmp_le_i32_e64 s1, s2, v11
	s_delay_alu instid0(VALU_DEP_1)
	s_or_b32 s8, s1, s8
	s_waitcnt vmcnt(0)
	ds_store_b128 v10, v[12:15]
	v_add_nc_u32_e32 v10, 0x200, v10
	s_and_not1_b32 exec_lo, exec_lo, s8
	s_cbranch_execnz .LBB66_6
.LBB66_7:
	s_or_b32 exec_lo, exec_lo, s20
	s_delay_alu instid0(SALU_CYCLE_1)
	s_and_b32 exec_lo, exec_lo, vcc_lo
	s_cbranch_execz .LBB66_12
; %bb.8:
	s_waitcnt lgkmcnt(0)
	s_clause 0x1
	global_load_b32 v2, v8, s[4:5]
	global_load_b32 v3, v8, s[6:7]
	v_mbcnt_lo_u32_b32 v10, -1, 0
	s_lshr_b32 s0, s3, 31
	s_add_i32 s1, s18, s17
	s_lshl_b32 s2, s14, 3
	s_add_i32 s0, s3, s0
	v_xor_b32_e32 v11, 16, v10
	s_add_i32 s1, s1, s16
	s_ashr_i32 s3, s0, 1
	s_and_b32 s4, s0, -2
	s_sub_i32 s0, s1, s2
	v_add_nc_u32_e32 v9, s15, v9
	v_xor_b32_e32 v12, 8, v10
	v_mul_lo_u32 v1, s0, v1
	v_cmp_gt_i32_e64 s0, 32, v11
	v_xor_b32_e32 v13, 4, v10
	v_add3_u32 v8, v9, v8, 0
	v_xor_b32_e32 v15, 2, v10
	v_xor_b32_e32 v16, 1, v10
	v_cndmask_b32_e64 v9, v10, v11, s0
	v_cmp_gt_i32_e64 s0, 32, v12
	v_lshlrev_b32_e32 v14, 1, v7
	v_lshl_add_u32 v0, v1, 6, v0
	v_cmp_gt_i32_e32 vcc_lo, s3, v7
	v_lshlrev_b32_e32 v9, 2, v9
	v_cndmask_b32_e64 v11, v10, v12, s0
	v_cmp_gt_i32_e64 s0, 32, v13
	v_add3_u32 v4, 0, v4, v14
	v_or_b32_e32 v0, v0, v14
	s_mov_b32 s2, 0
	s_mov_b32 s3, 0
	v_cndmask_b32_e64 v12, v10, v13, s0
	v_cmp_gt_i32_e64 s0, 32, v15
	v_add_nc_u32_e32 v7, s4, v4
	s_delay_alu instid0(VALU_DEP_2) | instskip(SKIP_1) | instid1(VALU_DEP_1)
	v_cndmask_b32_e64 v13, v10, v15, s0
	v_cmp_gt_i32_e64 s0, 32, v16
	v_cndmask_b32_e64 v15, v10, v16, s0
	v_lshlrev_b32_e32 v10, 2, v11
	v_lshlrev_b32_e32 v11, 2, v12
	;; [unrolled: 1-line block ×3, first 2 shown]
	s_delay_alu instid0(VALU_DEP_4)
	v_lshlrev_b32_e32 v13, 2, v15
	s_waitcnt vmcnt(1)
	v_lshrrev_b32_e32 v14, 16, v2
	s_waitcnt vmcnt(0)
	v_lshrrev_b32_e32 v15, 16, v3
	s_branch .LBB66_10
.LBB66_9:                               ;   in Loop: Header=BB66_10 Depth=1
	s_or_b32 exec_lo, exec_lo, s0
	v_ashrrev_i32_e32 v1, 31, v0
	s_delay_alu instid0(VALU_DEP_2)
	v_cvt_f16_f32_e32 v18, v17
	v_cvt_f16_f32_e32 v19, v16
	s_add_i32 s3, s3, 1
	v_add_nc_u32_e32 v8, 0x80, v8
	v_lshlrev_b64 v[16:17], 1, v[0:1]
	v_cmp_ge_i32_e64 s0, s3, v6
	v_pack_b32_f16 v1, v18, v19
	v_add_nc_u32_e32 v0, 64, v0
	s_delay_alu instid0(VALU_DEP_3) | instskip(NEXT) | instid1(VALU_DEP_4)
	s_or_b32 s2, s0, s2
	v_add_co_u32 v16, s1, s12, v16
	s_delay_alu instid0(VALU_DEP_1)
	v_add_co_ci_u32_e64 v17, s1, s13, v17, s1
	global_store_b32 v[16:17], v1, off
	s_and_not1_b32 exec_lo, exec_lo, s2
	s_cbranch_execz .LBB66_12
.LBB66_10:                              ; =>This Inner Loop Header: Depth=1
	ds_load_b32 v1, v8
	s_waitcnt lgkmcnt(0)
	v_cvt_f32_f16_e32 v17, v1
	s_delay_alu instid0(VALU_DEP_1) | instskip(NEXT) | instid1(VALU_DEP_1)
	v_mul_f32_e32 v16, v17, v17
	v_fma_mix_f32 v16, v1, v1, v16 op_sel:[1,1,0] op_sel_hi:[1,1,0]
	v_lshrrev_b32_e32 v1, 16, v1
	ds_bpermute_b32 v18, v9, v16
	v_cvt_f32_f16_e32 v1, v1
	s_waitcnt lgkmcnt(0)
	v_add_f32_e32 v16, v16, v18
	ds_bpermute_b32 v18, v10, v16
	s_waitcnt lgkmcnt(0)
	v_add_f32_e32 v16, v16, v18
	ds_bpermute_b32 v18, v11, v16
	;; [unrolled: 3-line block ×4, first 2 shown]
	s_waitcnt lgkmcnt(0)
	v_add_f32_e32 v16, v16, v18
	s_delay_alu instid0(VALU_DEP_1) | instskip(NEXT) | instid1(VALU_DEP_1)
	v_fma_f32 v16, 0x3c800000, v16, s19
	v_mul_f32_e32 v18, 0x4b800000, v16
	v_cmp_gt_f32_e64 s0, 0x800000, v16
	s_delay_alu instid0(VALU_DEP_1) | instskip(NEXT) | instid1(VALU_DEP_1)
	v_cndmask_b32_e64 v16, v16, v18, s0
	v_rsq_f32_e32 v16, v16
	s_waitcnt_depctr 0xfff
	v_dual_mul_f32 v19, 0x45800000, v16 :: v_dual_add_nc_u32 v18, s3, v5
	s_delay_alu instid0(VALU_DEP_1) | instskip(NEXT) | instid1(VALU_DEP_2)
	v_cmp_gt_i32_e64 s1, s16, v18
	v_cndmask_b32_e64 v16, v16, v19, s0
	s_delay_alu instid0(VALU_DEP_2) | instskip(SKIP_1) | instid1(VALU_DEP_2)
	v_cndmask_b32_e64 v18, v15, v14, s1
	v_cndmask_b32_e64 v20, v3, v2, s1
	v_cvt_f32_f16_e32 v18, v18
	s_delay_alu instid0(VALU_DEP_2) | instskip(NEXT) | instid1(VALU_DEP_2)
	v_cvt_f32_f16_e32 v19, v20
	v_mul_f32_e32 v18, v16, v18
	s_delay_alu instid0(VALU_DEP_1) | instskip(NEXT) | instid1(VALU_DEP_1)
	v_dual_mul_f32 v19, v16, v19 :: v_dual_mul_f32 v16, v18, v1
	v_mul_f32_e32 v17, v19, v17
	s_and_saveexec_b32 s0, vcc_lo
	s_cbranch_execz .LBB66_9
; %bb.11:                               ;   in Loop: Header=BB66_10 Depth=1
	ds_load_u16 v1, v7
	ds_load_u16 v18, v4
	s_waitcnt lgkmcnt(0)
	v_lshlrev_b32_e32 v18, 16, v18
	v_lshlrev_b32_e32 v1, 16, v1
	s_delay_alu instid0(VALU_DEP_1) | instskip(NEXT) | instid1(VALU_DEP_3)
	v_mul_f32_e32 v19, v16, v1
	v_mul_f32_e32 v16, v16, v18
	s_delay_alu instid0(VALU_DEP_2) | instskip(NEXT) | instid1(VALU_DEP_1)
	v_fma_f32 v18, v17, v18, -v19
	v_dual_fmac_f32 v16, v17, v1 :: v_dual_mov_b32 v17, v18
	s_branch .LBB66_9
.LBB66_12:
	s_nop 0
	s_sendmsg sendmsg(MSG_DEALLOC_VGPRS)
	s_endpgm
	.section	.rodata,"a",@progbits
	.p2align	6, 0x0
	.amdhsa_kernel _ZN12tensorrt_llm7kernels32fusedQKNormRopeKernelNTokenHeadsIN3c104HalfENS2_8BFloat16ELi64ELb1ELi8EEEvPviiifPKvS7_S7_PKlii
		.amdhsa_group_segment_fixed_size 0
		.amdhsa_private_segment_fixed_size 0
		.amdhsa_kernarg_size 320
		.amdhsa_user_sgpr_count 15
		.amdhsa_user_sgpr_dispatch_ptr 0
		.amdhsa_user_sgpr_queue_ptr 0
		.amdhsa_user_sgpr_kernarg_segment_ptr 1
		.amdhsa_user_sgpr_dispatch_id 0
		.amdhsa_user_sgpr_private_segment_size 0
		.amdhsa_wavefront_size32 1
		.amdhsa_uses_dynamic_stack 0
		.amdhsa_enable_private_segment 0
		.amdhsa_system_sgpr_workgroup_id_x 1
		.amdhsa_system_sgpr_workgroup_id_y 0
		.amdhsa_system_sgpr_workgroup_id_z 0
		.amdhsa_system_sgpr_workgroup_info 0
		.amdhsa_system_vgpr_workitem_id 0
		.amdhsa_next_free_vgpr 21
		.amdhsa_next_free_sgpr 21
		.amdhsa_reserve_vcc 1
		.amdhsa_float_round_mode_32 0
		.amdhsa_float_round_mode_16_64 0
		.amdhsa_float_denorm_mode_32 3
		.amdhsa_float_denorm_mode_16_64 3
		.amdhsa_dx10_clamp 1
		.amdhsa_ieee_mode 1
		.amdhsa_fp16_overflow 0
		.amdhsa_workgroup_processor_mode 1
		.amdhsa_memory_ordered 1
		.amdhsa_forward_progress 0
		.amdhsa_shared_vgpr_count 0
		.amdhsa_exception_fp_ieee_invalid_op 0
		.amdhsa_exception_fp_denorm_src 0
		.amdhsa_exception_fp_ieee_div_zero 0
		.amdhsa_exception_fp_ieee_overflow 0
		.amdhsa_exception_fp_ieee_underflow 0
		.amdhsa_exception_fp_ieee_inexact 0
		.amdhsa_exception_int_div_zero 0
	.end_amdhsa_kernel
	.section	.text._ZN12tensorrt_llm7kernels32fusedQKNormRopeKernelNTokenHeadsIN3c104HalfENS2_8BFloat16ELi64ELb1ELi8EEEvPviiifPKvS7_S7_PKlii,"axG",@progbits,_ZN12tensorrt_llm7kernels32fusedQKNormRopeKernelNTokenHeadsIN3c104HalfENS2_8BFloat16ELi64ELb1ELi8EEEvPviiifPKvS7_S7_PKlii,comdat
.Lfunc_end66:
	.size	_ZN12tensorrt_llm7kernels32fusedQKNormRopeKernelNTokenHeadsIN3c104HalfENS2_8BFloat16ELi64ELb1ELi8EEEvPviiifPKvS7_S7_PKlii, .Lfunc_end66-_ZN12tensorrt_llm7kernels32fusedQKNormRopeKernelNTokenHeadsIN3c104HalfENS2_8BFloat16ELi64ELb1ELi8EEEvPviiifPKvS7_S7_PKlii
                                        ; -- End function
	.section	.AMDGPU.csdata,"",@progbits
; Kernel info:
; codeLenInByte = 1568
; NumSgprs: 23
; NumVgprs: 21
; ScratchSize: 0
; MemoryBound: 0
; FloatMode: 240
; IeeeMode: 1
; LDSByteSize: 0 bytes/workgroup (compile time only)
; SGPRBlocks: 2
; VGPRBlocks: 2
; NumSGPRsForWavesPerEU: 23
; NumVGPRsForWavesPerEU: 21
; Occupancy: 16
; WaveLimiterHint : 0
; COMPUTE_PGM_RSRC2:SCRATCH_EN: 0
; COMPUTE_PGM_RSRC2:USER_SGPR: 15
; COMPUTE_PGM_RSRC2:TRAP_HANDLER: 0
; COMPUTE_PGM_RSRC2:TGID_X_EN: 1
; COMPUTE_PGM_RSRC2:TGID_Y_EN: 0
; COMPUTE_PGM_RSRC2:TGID_Z_EN: 0
; COMPUTE_PGM_RSRC2:TIDIG_COMP_CNT: 0
	.section	.text._ZN12tensorrt_llm7kernels32fusedQKNormRopeKernelNTokenHeadsIN3c104HalfENS2_8BFloat16ELi64ELb0ELi8EEEvPviiifPKvS7_S7_PKlii,"axG",@progbits,_ZN12tensorrt_llm7kernels32fusedQKNormRopeKernelNTokenHeadsIN3c104HalfENS2_8BFloat16ELi64ELb0ELi8EEEvPviiifPKvS7_S7_PKlii,comdat
	.protected	_ZN12tensorrt_llm7kernels32fusedQKNormRopeKernelNTokenHeadsIN3c104HalfENS2_8BFloat16ELi64ELb0ELi8EEEvPviiifPKvS7_S7_PKlii ; -- Begin function _ZN12tensorrt_llm7kernels32fusedQKNormRopeKernelNTokenHeadsIN3c104HalfENS2_8BFloat16ELi64ELb0ELi8EEEvPviiifPKvS7_S7_PKlii
	.globl	_ZN12tensorrt_llm7kernels32fusedQKNormRopeKernelNTokenHeadsIN3c104HalfENS2_8BFloat16ELi64ELb0ELi8EEEvPviiifPKvS7_S7_PKlii
	.p2align	8
	.type	_ZN12tensorrt_llm7kernels32fusedQKNormRopeKernelNTokenHeadsIN3c104HalfENS2_8BFloat16ELi64ELb0ELi8EEEvPviiifPKvS7_S7_PKlii,@function
_ZN12tensorrt_llm7kernels32fusedQKNormRopeKernelNTokenHeadsIN3c104HalfENS2_8BFloat16ELi64ELb0ELi8EEEvPviiifPKvS7_S7_PKlii: ; @_ZN12tensorrt_llm7kernels32fusedQKNormRopeKernelNTokenHeadsIN3c104HalfENS2_8BFloat16ELi64ELb0ELi8EEEvPviiifPKvS7_S7_PKlii
; %bb.0:
	s_clause 0x1
	s_load_b128 s[16:19], s[0:1], 0x8
	s_load_b64 s[2:3], s[0:1], 0x38
	v_lshrrev_b32_e32 v2, 5, v0
	s_waitcnt lgkmcnt(0)
	s_add_i32 s4, s17, s16
	s_delay_alu instid0(SALU_CYCLE_1) | instskip(NEXT) | instid1(SALU_CYCLE_1)
	s_add_i32 s5, s4, 7
	s_ashr_i32 s6, s5, 31
	s_delay_alu instid0(SALU_CYCLE_1) | instskip(NEXT) | instid1(SALU_CYCLE_1)
	s_lshr_b32 s6, s6, 29
	s_add_i32 s5, s5, s6
	s_delay_alu instid0(SALU_CYCLE_1) | instskip(SKIP_2) | instid1(SALU_CYCLE_1)
	s_ashr_i32 s14, s5, 3
	s_load_b32 s5, s[0:1], 0x4c
	s_abs_i32 s6, s14
	v_cvt_f32_u32_e32 v1, s6
	s_sub_i32 s7, 0, s6
	s_delay_alu instid0(VALU_DEP_1) | instskip(SKIP_4) | instid1(SALU_CYCLE_1)
	v_rcp_iflag_f32_e32 v1, v1
	s_waitcnt_depctr 0xfff
	v_mul_f32_e32 v1, 0x4f7ffffe, v1
	s_waitcnt lgkmcnt(0)
	s_bfe_u32 s5, s5, 0xb0005
	v_mad_u64_u32 v[3:4], null, s15, s5, v[2:3]
	s_delay_alu instid0(VALU_DEP_2) | instskip(NEXT) | instid1(VALU_DEP_1)
	v_cvt_u32_f32_e32 v1, v1
	v_mul_lo_u32 v5, s7, v1
	s_delay_alu instid0(VALU_DEP_1) | instskip(NEXT) | instid1(VALU_DEP_4)
	v_mul_hi_u32 v4, v1, v5
	v_sub_nc_u32_e32 v5, 0, v3
	s_delay_alu instid0(VALU_DEP_1) | instskip(NEXT) | instid1(VALU_DEP_3)
	v_max_i32_e32 v5, v3, v5
	v_add_nc_u32_e32 v1, v1, v4
	s_delay_alu instid0(VALU_DEP_1) | instskip(NEXT) | instid1(VALU_DEP_1)
	v_mul_hi_u32 v1, v5, v1
	v_mul_lo_u32 v4, v1, s6
	s_delay_alu instid0(VALU_DEP_1) | instskip(SKIP_1) | instid1(VALU_DEP_2)
	v_sub_nc_u32_e32 v4, v5, v4
	v_add_nc_u32_e32 v5, 1, v1
	v_subrev_nc_u32_e32 v6, s6, v4
	v_cmp_le_u32_e32 vcc_lo, s6, v4
	s_delay_alu instid0(VALU_DEP_2) | instskip(SKIP_1) | instid1(VALU_DEP_2)
	v_dual_cndmask_b32 v4, v4, v6 :: v_dual_cndmask_b32 v1, v1, v5
	v_xor_b32_e32 v5, s14, v3
	v_cmp_le_u32_e32 vcc_lo, s6, v4
	s_delay_alu instid0(VALU_DEP_3) | instskip(NEXT) | instid1(VALU_DEP_3)
	v_add_nc_u32_e32 v6, 1, v1
	v_ashrrev_i32_e32 v5, 31, v5
	s_delay_alu instid0(VALU_DEP_2) | instskip(NEXT) | instid1(VALU_DEP_1)
	v_cndmask_b32_e32 v1, v1, v6, vcc_lo
	v_xor_b32_e32 v1, v1, v5
	s_delay_alu instid0(VALU_DEP_1) | instskip(NEXT) | instid1(VALU_DEP_1)
	v_sub_nc_u32_e32 v1, v1, v5
	v_cmp_gt_i32_e32 vcc_lo, s2, v1
	s_and_saveexec_b32 s2, vcc_lo
	s_cbranch_execz .LBB67_12
; %bb.1:
	v_mul_lo_u32 v4, v1, s14
	s_load_b64 s[12:13], s[0:1], 0x0
	v_and_b32_e32 v0, 31, v0
	v_lshlrev_b32_e32 v9, 10, v2
	v_lshlrev_b32_e32 v8, 9, v3
	s_lshl_b32 s20, s3, 1
	s_delay_alu instid0(VALU_DEP_3) | instskip(SKIP_2) | instid1(VALU_DEP_1)
	v_lshlrev_b32_e32 v7, 2, v0
	v_sub_nc_u32_e32 v4, v3, v4
	s_mul_i32 s15, s20, s5
	v_lshlrev_b32_e32 v5, 3, v4
	s_delay_alu instid0(VALU_DEP_1) | instskip(SKIP_1) | instid1(VALU_DEP_2)
	v_add_nc_u32_e32 v4, 8, v5
	v_sub_nc_u32_e32 v6, s4, v5
	v_cmp_lt_i32_e32 vcc_lo, s4, v4
	s_delay_alu instid0(VALU_DEP_2) | instskip(NEXT) | instid1(VALU_DEP_1)
	v_cndmask_b32_e32 v6, 8, v6, vcc_lo
	v_cmp_lt_i32_e32 vcc_lo, 0, v6
	s_and_saveexec_b32 s4, vcc_lo
	s_cbranch_execz .LBB67_4
; %bb.2:
	s_add_i32 s2, s18, s17
	s_lshl_b32 s5, s14, 3
	s_add_i32 s2, s2, s16
	s_mov_b32 s6, 0
	s_sub_i32 s2, s2, s5
	s_mov_b32 s5, 0
	v_mul_lo_u32 v3, s2, v1
	s_add_i32 s2, s15, 0
	s_delay_alu instid0(SALU_CYCLE_1) | instskip(NEXT) | instid1(VALU_DEP_2)
	v_add3_u32 v10, s2, v9, v7
	v_lshl_add_u32 v3, v3, 6, v8
	s_delay_alu instid0(VALU_DEP_1)
	v_lshl_or_b32 v3, v0, 1, v3
	.p2align	6
.LBB67_3:                               ; =>This Inner Loop Header: Depth=1
	s_delay_alu instid0(VALU_DEP_1) | instskip(SKIP_1) | instid1(VALU_DEP_1)
	v_ashrrev_i32_e32 v4, 31, v3
	s_add_i32 s6, s6, 1
	v_lshlrev_b64 v[11:12], 1, v[3:4]
	v_add_nc_u32_e32 v3, 64, v3
	s_waitcnt lgkmcnt(0)
	s_delay_alu instid0(VALU_DEP_2) | instskip(NEXT) | instid1(VALU_DEP_1)
	v_add_co_u32 v11, s2, s12, v11
	v_add_co_ci_u32_e64 v12, s2, s13, v12, s2
	v_cmp_ge_i32_e64 s2, s6, v6
	global_load_b32 v4, v[11:12], off
	s_or_b32 s5, s2, s5
	s_waitcnt vmcnt(0)
	ds_store_b32 v10, v4
	v_add_nc_u32_e32 v10, 0x80, v10
	s_and_not1_b32 exec_lo, exec_lo, s5
	s_cbranch_execnz .LBB67_3
.LBB67_4:
	s_or_b32 exec_lo, exec_lo, s4
	s_load_b256 s[4:11], s[0:1], 0x18
	s_add_i32 s0, s20, 15
	v_mul_lo_u32 v4, v2, s3
	s_ashr_i32 s1, s0, 31
	s_mov_b32 s20, exec_lo
	s_lshr_b32 s1, s1, 28
	s_delay_alu instid0(SALU_CYCLE_1) | instskip(NEXT) | instid1(SALU_CYCLE_1)
	s_add_i32 s0, s0, s1
	s_ashr_i32 s2, s0, 4
	s_delay_alu instid0(SALU_CYCLE_1)
	v_cmpx_gt_i32_e64 s2, v0
	s_cbranch_execz .LBB67_7
; %bb.5:
	v_ashrrev_i32_e32 v2, 31, v1
	s_delay_alu instid0(VALU_DEP_1) | instskip(SKIP_1) | instid1(VALU_DEP_1)
	v_lshlrev_b64 v[2:3], 3, v[1:2]
	s_waitcnt lgkmcnt(0)
	v_add_co_u32 v2, s0, s10, v2
	s_delay_alu instid0(VALU_DEP_1)
	v_add_co_ci_u32_e64 v3, s0, s11, v3, s0
	s_ashr_i32 s0, s3, 31
	global_load_b64 v[2:3], v[2:3], off
	s_waitcnt vmcnt(0)
	v_mul_lo_u32 v3, v3, s3
	v_mul_lo_u32 v12, v2, s0
	v_mad_u64_u32 v[10:11], null, v2, s3, 0
	s_delay_alu instid0(VALU_DEP_1) | instskip(NEXT) | instid1(VALU_DEP_1)
	v_add3_u32 v11, v11, v12, v3
	v_lshlrev_b64 v[2:3], 1, v[10:11]
	v_lshlrev_b32_e32 v10, 4, v0
	v_lshlrev_b32_e32 v11, 1, v4
	s_delay_alu instid0(VALU_DEP_2) | instskip(NEXT) | instid1(VALU_DEP_1)
	v_add_co_u32 v2, s0, v2, v10
	v_add_co_ci_u32_e64 v3, s0, 0, v3, s0
	s_delay_alu instid0(VALU_DEP_3) | instskip(SKIP_1) | instid1(VALU_DEP_4)
	v_add3_u32 v10, v11, v10, 0
	v_mov_b32_e32 v11, v0
	v_add_co_u32 v2, s0, s8, v2
	s_delay_alu instid0(VALU_DEP_1)
	v_add_co_ci_u32_e64 v3, s0, s9, v3, s0
	s_mov_b32 s8, 0
	.p2align	6
.LBB67_6:                               ; =>This Inner Loop Header: Depth=1
	global_load_b128 v[12:15], v[2:3], off
	v_add_nc_u32_e32 v11, 32, v11
	v_add_co_u32 v2, s0, 0x200, v2
	s_delay_alu instid0(VALU_DEP_1) | instskip(NEXT) | instid1(VALU_DEP_3)
	v_add_co_ci_u32_e64 v3, s0, 0, v3, s0
	v_cmp_le_i32_e64 s1, s2, v11
	s_delay_alu instid0(VALU_DEP_1)
	s_or_b32 s8, s1, s8
	s_waitcnt vmcnt(0)
	ds_store_b128 v10, v[12:15]
	v_add_nc_u32_e32 v10, 0x200, v10
	s_and_not1_b32 exec_lo, exec_lo, s8
	s_cbranch_execnz .LBB67_6
.LBB67_7:
	s_or_b32 exec_lo, exec_lo, s20
	s_delay_alu instid0(SALU_CYCLE_1)
	s_and_b32 exec_lo, exec_lo, vcc_lo
	s_cbranch_execz .LBB67_12
; %bb.8:
	s_waitcnt lgkmcnt(0)
	s_clause 0x1
	global_load_b32 v2, v7, s[4:5]
	global_load_b32 v3, v7, s[6:7]
	s_abs_i32 s2, s3
	v_lshl_add_u32 v15, v4, 1, 0
	v_cvt_f32_u32_e32 v10, s2
	s_sub_i32 s0, 0, s2
	v_mbcnt_lo_u32_b32 v4, -1, 0
	v_or_b32_e32 v12, 2, v7
	s_add_i32 s1, s18, s17
	v_rcp_iflag_f32_e32 v10, v10
	s_lshl_b32 s4, s14, 3
	s_add_i32 s1, s1, s16
	v_xor_b32_e32 v13, 4, v4
	s_sub_i32 s1, s1, s4
	v_xor_b32_e32 v16, 2, v4
	v_mul_lo_u32 v1, s1, v1
	v_xor_b32_e32 v17, 1, v4
	s_mov_b32 s4, 0
	s_waitcnt_depctr 0xfff
	v_dual_mul_f32 v10, 0x4f7ffffe, v10 :: v_dual_add_nc_u32 v19, s15, v9
	v_lshl_add_u32 v1, v1, 6, v8
	s_delay_alu instid0(VALU_DEP_2) | instskip(NEXT) | instid1(VALU_DEP_1)
	v_cvt_u32_f32_e32 v10, v10
	v_mul_lo_u32 v11, s0, v10
	s_lshr_b32 s0, s3, 31
	s_delay_alu instid0(SALU_CYCLE_1) | instskip(NEXT) | instid1(SALU_CYCLE_1)
	s_add_i32 s0, s3, s0
	s_ashr_i32 s3, s0, 1
	s_and_b32 s0, s0, -2
	v_cmp_gt_i32_e32 vcc_lo, s3, v0
	s_delay_alu instid0(VALU_DEP_2)
	v_mul_hi_u32 v11, v10, v11
	v_add_nc_u32_e32 v18, s0, v15
	s_lshr_b32 s0, s3, 1
	s_mov_b32 s3, 0
	v_xor_b32_e32 v20, s0, v4
	v_cmp_gt_u32_e64 s0, s0, v0
	v_lshl_or_b32 v0, v0, 1, v1
	v_add_nc_u32_e32 v9, v10, v11
	v_xor_b32_e32 v10, 16, v4
	v_xor_b32_e32 v11, 8, v4
	s_delay_alu instid0(VALU_DEP_3) | instskip(SKIP_1) | instid1(VALU_DEP_4)
	v_mul_hi_u32 v14, v7, v9
	v_mul_hi_u32 v9, v12, v9
	v_cmp_gt_i32_e64 s1, 32, v10
	s_delay_alu instid0(VALU_DEP_1) | instskip(SKIP_1) | instid1(VALU_DEP_4)
	v_cndmask_b32_e64 v10, v4, v10, s1
	v_cmp_gt_i32_e64 s1, 32, v11
	v_mul_lo_u32 v9, v9, s2
	v_mul_lo_u32 v14, v14, s2
	s_delay_alu instid0(VALU_DEP_3) | instskip(SKIP_1) | instid1(VALU_DEP_4)
	v_cndmask_b32_e64 v11, v4, v11, s1
	v_cmp_gt_i32_e64 s1, 32, v13
	v_sub_nc_u32_e32 v9, v12, v9
	s_delay_alu instid0(VALU_DEP_4) | instskip(NEXT) | instid1(VALU_DEP_3)
	v_sub_nc_u32_e32 v14, v7, v14
	v_cndmask_b32_e64 v12, v4, v13, s1
	v_cmp_gt_i32_e64 s1, 32, v16
	v_lshlrev_b32_e32 v8, 2, v11
	v_subrev_nc_u32_e32 v21, s2, v9
	v_add3_u32 v7, v19, v7, 0
	s_delay_alu instid0(VALU_DEP_4) | instskip(SKIP_2) | instid1(VALU_DEP_2)
	v_cndmask_b32_e64 v13, v4, v16, s1
	v_cmp_gt_i32_e64 s1, 32, v17
	v_subrev_nc_u32_e32 v16, s2, v14
	v_cndmask_b32_e64 v17, v4, v17, s1
	v_cmp_le_u32_e64 s1, s2, v14
	s_delay_alu instid0(VALU_DEP_1) | instskip(SKIP_1) | instid1(VALU_DEP_1)
	v_cndmask_b32_e64 v14, v14, v16, s1
	v_cmp_le_u32_e64 s1, s2, v9
	v_cndmask_b32_e64 v9, v9, v21, s1
	v_cmp_gt_i32_e64 s1, 32, v20
	s_delay_alu instid0(VALU_DEP_1) | instskip(SKIP_4) | instid1(VALU_DEP_3)
	v_cndmask_b32_e64 v16, v4, v20, s1
	v_subrev_nc_u32_e32 v20, s2, v14
	v_cmp_le_u32_e64 s1, s2, v14
	v_lshlrev_b32_e32 v4, 2, v10
	v_subrev_nc_u32_e32 v10, s2, v9
	v_cndmask_b32_e64 v11, v14, v20, s1
	v_cmp_le_u32_e64 s1, s2, v9
	s_delay_alu instid0(VALU_DEP_2) | instskip(NEXT) | instid1(VALU_DEP_2)
	v_and_b32_e32 v20, -2, v11
	v_cndmask_b32_e64 v14, v9, v10, s1
	v_lshlrev_b32_e32 v11, 2, v17
	v_lshlrev_b32_e32 v9, 2, v12
	;; [unrolled: 1-line block ×4, first 2 shown]
	v_and_b32_e32 v17, -2, v14
	v_add_nc_u32_e32 v13, v15, v20
	v_add_nc_u32_e32 v14, v18, v20
	s_delay_alu instid0(VALU_DEP_3)
	v_add_nc_u32_e32 v15, v15, v17
	v_add_nc_u32_e32 v16, v18, v17
	s_waitcnt vmcnt(1)
	v_lshrrev_b32_e32 v17, 16, v2
	s_waitcnt vmcnt(0)
	v_lshrrev_b32_e32 v18, 16, v3
	s_branch .LBB67_10
.LBB67_9:                               ;   in Loop: Header=BB67_10 Depth=1
	s_or_b32 exec_lo, exec_lo, s1
	v_ashrrev_i32_e32 v1, 31, v0
	v_cvt_f16_f32_e32 v21, v20
	v_cvt_f16_f32_e32 v22, v19
	s_add_i32 s4, s4, 1
	v_add_nc_u32_e32 v7, 0x80, v7
	v_lshlrev_b64 v[19:20], 1, v[0:1]
	v_cmp_ge_i32_e64 s1, s4, v6
	v_pack_b32_f16 v1, v21, v22
	v_add_nc_u32_e32 v0, 64, v0
	s_delay_alu instid0(VALU_DEP_3) | instskip(NEXT) | instid1(VALU_DEP_4)
	s_or_b32 s3, s1, s3
	v_add_co_u32 v19, s2, s12, v19
	s_delay_alu instid0(VALU_DEP_1)
	v_add_co_ci_u32_e64 v20, s2, s13, v20, s2
	global_store_b32 v[19:20], v1, off
	s_and_not1_b32 exec_lo, exec_lo, s3
	s_cbranch_execz .LBB67_12
.LBB67_10:                              ; =>This Inner Loop Header: Depth=1
	ds_load_b32 v1, v7
	s_waitcnt lgkmcnt(0)
	v_cvt_f32_f16_e32 v19, v1
	s_delay_alu instid0(VALU_DEP_1) | instskip(NEXT) | instid1(VALU_DEP_1)
	v_mul_f32_e32 v20, v19, v19
	v_fma_mix_f32 v20, v1, v1, v20 op_sel:[1,1,0] op_sel_hi:[1,1,0]
	v_lshrrev_b32_e32 v1, 16, v1
	ds_bpermute_b32 v21, v4, v20
	v_cvt_f32_f16_e32 v1, v1
	s_waitcnt lgkmcnt(0)
	v_add_f32_e32 v20, v20, v21
	ds_bpermute_b32 v21, v8, v20
	s_waitcnt lgkmcnt(0)
	v_add_f32_e32 v20, v20, v21
	ds_bpermute_b32 v21, v9, v20
	;; [unrolled: 3-line block ×4, first 2 shown]
	s_waitcnt lgkmcnt(0)
	v_add_f32_e32 v20, v20, v21
	s_delay_alu instid0(VALU_DEP_1) | instskip(NEXT) | instid1(VALU_DEP_1)
	v_fma_f32 v20, 0x3c800000, v20, s19
	v_mul_f32_e32 v21, 0x4b800000, v20
	v_cmp_gt_f32_e64 s1, 0x800000, v20
	s_delay_alu instid0(VALU_DEP_1) | instskip(SKIP_1) | instid1(VALU_DEP_2)
	v_cndmask_b32_e64 v20, v20, v21, s1
	v_add_nc_u32_e32 v21, s4, v5
	v_rsq_f32_e32 v20, v20
	s_delay_alu instid0(VALU_DEP_1) | instskip(NEXT) | instid1(VALU_DEP_1)
	v_cmp_gt_i32_e64 s2, s16, v21
	v_cndmask_b32_e64 v21, v3, v2, s2
	v_cndmask_b32_e64 v23, v18, v17, s2
	s_delay_alu instid0(VALU_DEP_2) | instskip(SKIP_2) | instid1(VALU_DEP_1)
	v_cvt_f32_f16_e32 v21, v21
	s_waitcnt_depctr 0xfff
	v_mul_f32_e32 v22, 0x45800000, v20
	v_cndmask_b32_e64 v20, v20, v22, s1
	v_cvt_f32_f16_e32 v22, v23
	s_delay_alu instid0(VALU_DEP_2) | instskip(NEXT) | instid1(VALU_DEP_2)
	v_mul_f32_e32 v21, v20, v21
	v_mul_f32_e32 v22, v20, v22
	s_delay_alu instid0(VALU_DEP_1)
	v_dual_mul_f32 v20, v21, v19 :: v_dual_mul_f32 v19, v22, v1
	s_and_saveexec_b32 s1, vcc_lo
	s_cbranch_execz .LBB67_9
; %bb.11:                               ;   in Loop: Header=BB67_10 Depth=1
	; wave barrier
	ds_bpermute_b32 v1, v12, v20
	ds_load_u16 v21, v14
	ds_bpermute_b32 v22, v12, v19
	ds_load_u16 v23, v16
	ds_load_u16 v24, v13
	;; [unrolled: 1-line block ×3, first 2 shown]
	; wave barrier
	s_waitcnt lgkmcnt(5)
	v_cndmask_b32_e64 v1, v1, -v1, s0
	s_waitcnt lgkmcnt(4)
	v_lshlrev_b32_e32 v21, 16, v21
	s_waitcnt lgkmcnt(3)
	v_cndmask_b32_e64 v22, v22, -v22, s0
	s_waitcnt lgkmcnt(2)
	v_lshlrev_b32_e32 v23, 16, v23
	s_waitcnt lgkmcnt(1)
	v_lshlrev_b32_e32 v24, 16, v24
	;; [unrolled: 2-line block ×3, first 2 shown]
	v_mul_f32_e32 v1, v1, v21
	v_mul_f32_e32 v21, v22, v23
	s_delay_alu instid0(VALU_DEP_2) | instskip(NEXT) | instid1(VALU_DEP_1)
	v_fmac_f32_e32 v1, v20, v24
	v_dual_fmac_f32 v21, v19, v25 :: v_dual_mov_b32 v20, v1
	s_delay_alu instid0(VALU_DEP_1)
	v_mov_b32_e32 v19, v21
	s_branch .LBB67_9
.LBB67_12:
	s_nop 0
	s_sendmsg sendmsg(MSG_DEALLOC_VGPRS)
	s_endpgm
	.section	.rodata,"a",@progbits
	.p2align	6, 0x0
	.amdhsa_kernel _ZN12tensorrt_llm7kernels32fusedQKNormRopeKernelNTokenHeadsIN3c104HalfENS2_8BFloat16ELi64ELb0ELi8EEEvPviiifPKvS7_S7_PKlii
		.amdhsa_group_segment_fixed_size 0
		.amdhsa_private_segment_fixed_size 0
		.amdhsa_kernarg_size 320
		.amdhsa_user_sgpr_count 15
		.amdhsa_user_sgpr_dispatch_ptr 0
		.amdhsa_user_sgpr_queue_ptr 0
		.amdhsa_user_sgpr_kernarg_segment_ptr 1
		.amdhsa_user_sgpr_dispatch_id 0
		.amdhsa_user_sgpr_private_segment_size 0
		.amdhsa_wavefront_size32 1
		.amdhsa_uses_dynamic_stack 0
		.amdhsa_enable_private_segment 0
		.amdhsa_system_sgpr_workgroup_id_x 1
		.amdhsa_system_sgpr_workgroup_id_y 0
		.amdhsa_system_sgpr_workgroup_id_z 0
		.amdhsa_system_sgpr_workgroup_info 0
		.amdhsa_system_vgpr_workitem_id 0
		.amdhsa_next_free_vgpr 26
		.amdhsa_next_free_sgpr 21
		.amdhsa_reserve_vcc 1
		.amdhsa_float_round_mode_32 0
		.amdhsa_float_round_mode_16_64 0
		.amdhsa_float_denorm_mode_32 3
		.amdhsa_float_denorm_mode_16_64 3
		.amdhsa_dx10_clamp 1
		.amdhsa_ieee_mode 1
		.amdhsa_fp16_overflow 0
		.amdhsa_workgroup_processor_mode 1
		.amdhsa_memory_ordered 1
		.amdhsa_forward_progress 0
		.amdhsa_shared_vgpr_count 0
		.amdhsa_exception_fp_ieee_invalid_op 0
		.amdhsa_exception_fp_denorm_src 0
		.amdhsa_exception_fp_ieee_div_zero 0
		.amdhsa_exception_fp_ieee_overflow 0
		.amdhsa_exception_fp_ieee_underflow 0
		.amdhsa_exception_fp_ieee_inexact 0
		.amdhsa_exception_int_div_zero 0
	.end_amdhsa_kernel
	.section	.text._ZN12tensorrt_llm7kernels32fusedQKNormRopeKernelNTokenHeadsIN3c104HalfENS2_8BFloat16ELi64ELb0ELi8EEEvPviiifPKvS7_S7_PKlii,"axG",@progbits,_ZN12tensorrt_llm7kernels32fusedQKNormRopeKernelNTokenHeadsIN3c104HalfENS2_8BFloat16ELi64ELb0ELi8EEEvPviiifPKvS7_S7_PKlii,comdat
.Lfunc_end67:
	.size	_ZN12tensorrt_llm7kernels32fusedQKNormRopeKernelNTokenHeadsIN3c104HalfENS2_8BFloat16ELi64ELb0ELi8EEEvPviiifPKvS7_S7_PKlii, .Lfunc_end67-_ZN12tensorrt_llm7kernels32fusedQKNormRopeKernelNTokenHeadsIN3c104HalfENS2_8BFloat16ELi64ELb0ELi8EEEvPviiifPKvS7_S7_PKlii
                                        ; -- End function
	.section	.AMDGPU.csdata,"",@progbits
; Kernel info:
; codeLenInByte = 1920
; NumSgprs: 23
; NumVgprs: 26
; ScratchSize: 0
; MemoryBound: 0
; FloatMode: 240
; IeeeMode: 1
; LDSByteSize: 0 bytes/workgroup (compile time only)
; SGPRBlocks: 2
; VGPRBlocks: 3
; NumSGPRsForWavesPerEU: 23
; NumVGPRsForWavesPerEU: 26
; Occupancy: 16
; WaveLimiterHint : 0
; COMPUTE_PGM_RSRC2:SCRATCH_EN: 0
; COMPUTE_PGM_RSRC2:USER_SGPR: 15
; COMPUTE_PGM_RSRC2:TRAP_HANDLER: 0
; COMPUTE_PGM_RSRC2:TGID_X_EN: 1
; COMPUTE_PGM_RSRC2:TGID_Y_EN: 0
; COMPUTE_PGM_RSRC2:TGID_Z_EN: 0
; COMPUTE_PGM_RSRC2:TIDIG_COMP_CNT: 0
	.section	.text._ZN12tensorrt_llm7kernels32fusedQKNormRopeKernelNTokenHeadsIN3c104HalfENS2_8BFloat16ELi128ELb1ELi8EEEvPviiifPKvS7_S7_PKlii,"axG",@progbits,_ZN12tensorrt_llm7kernels32fusedQKNormRopeKernelNTokenHeadsIN3c104HalfENS2_8BFloat16ELi128ELb1ELi8EEEvPviiifPKvS7_S7_PKlii,comdat
	.protected	_ZN12tensorrt_llm7kernels32fusedQKNormRopeKernelNTokenHeadsIN3c104HalfENS2_8BFloat16ELi128ELb1ELi8EEEvPviiifPKvS7_S7_PKlii ; -- Begin function _ZN12tensorrt_llm7kernels32fusedQKNormRopeKernelNTokenHeadsIN3c104HalfENS2_8BFloat16ELi128ELb1ELi8EEEvPviiifPKvS7_S7_PKlii
	.globl	_ZN12tensorrt_llm7kernels32fusedQKNormRopeKernelNTokenHeadsIN3c104HalfENS2_8BFloat16ELi128ELb1ELi8EEEvPviiifPKvS7_S7_PKlii
	.p2align	8
	.type	_ZN12tensorrt_llm7kernels32fusedQKNormRopeKernelNTokenHeadsIN3c104HalfENS2_8BFloat16ELi128ELb1ELi8EEEvPviiifPKvS7_S7_PKlii,@function
_ZN12tensorrt_llm7kernels32fusedQKNormRopeKernelNTokenHeadsIN3c104HalfENS2_8BFloat16ELi128ELb1ELi8EEEvPviiifPKvS7_S7_PKlii: ; @_ZN12tensorrt_llm7kernels32fusedQKNormRopeKernelNTokenHeadsIN3c104HalfENS2_8BFloat16ELi128ELb1ELi8EEEvPviiifPKvS7_S7_PKlii
; %bb.0:
	s_clause 0x1
	s_load_b128 s[16:19], s[0:1], 0x8
	s_load_b64 s[2:3], s[0:1], 0x38
	s_waitcnt lgkmcnt(0)
	s_add_i32 s4, s17, s16
	s_delay_alu instid0(SALU_CYCLE_1) | instskip(NEXT) | instid1(SALU_CYCLE_1)
	s_add_i32 s5, s4, 7
	s_ashr_i32 s6, s5, 31
	s_delay_alu instid0(SALU_CYCLE_1) | instskip(NEXT) | instid1(SALU_CYCLE_1)
	s_lshr_b32 s6, s6, 29
	s_add_i32 s5, s5, s6
	s_delay_alu instid0(SALU_CYCLE_1) | instskip(SKIP_2) | instid1(SALU_CYCLE_1)
	s_ashr_i32 s14, s5, 3
	s_load_b32 s5, s[0:1], 0x4c
	s_abs_i32 s6, s14
	v_cvt_f32_u32_e32 v1, s6
	s_sub_i32 s7, 0, s6
	s_delay_alu instid0(VALU_DEP_1) | instskip(SKIP_4) | instid1(VALU_DEP_1)
	v_rcp_iflag_f32_e32 v1, v1
	s_waitcnt_depctr 0xfff
	v_mul_f32_e32 v1, 0x4f7ffffe, v1
	s_waitcnt lgkmcnt(0)
	s_bfe_u32 s5, s5, 0xb0005
	v_cvt_u32_f32_e32 v4, v1
	v_lshrrev_b32_e32 v1, 5, v0
	s_delay_alu instid0(VALU_DEP_2) | instskip(NEXT) | instid1(VALU_DEP_2)
	v_mul_lo_u32 v5, s7, v4
	v_mad_u64_u32 v[2:3], null, s15, s5, v[1:2]
	s_delay_alu instid0(VALU_DEP_2) | instskip(NEXT) | instid1(VALU_DEP_2)
	v_mul_hi_u32 v3, v4, v5
	v_sub_nc_u32_e32 v5, 0, v2
	s_delay_alu instid0(VALU_DEP_1) | instskip(NEXT) | instid1(VALU_DEP_3)
	v_max_i32_e32 v5, v2, v5
	v_add_nc_u32_e32 v3, v4, v3
	s_delay_alu instid0(VALU_DEP_1) | instskip(NEXT) | instid1(VALU_DEP_1)
	v_mul_hi_u32 v3, v5, v3
	v_mul_lo_u32 v4, v3, s6
	s_delay_alu instid0(VALU_DEP_1) | instskip(SKIP_1) | instid1(VALU_DEP_2)
	v_sub_nc_u32_e32 v4, v5, v4
	v_add_nc_u32_e32 v5, 1, v3
	v_subrev_nc_u32_e32 v6, s6, v4
	v_cmp_le_u32_e32 vcc_lo, s6, v4
	s_delay_alu instid0(VALU_DEP_2) | instskip(SKIP_1) | instid1(VALU_DEP_2)
	v_dual_cndmask_b32 v4, v4, v6 :: v_dual_cndmask_b32 v3, v3, v5
	v_xor_b32_e32 v5, s14, v2
	v_cmp_le_u32_e32 vcc_lo, s6, v4
	s_delay_alu instid0(VALU_DEP_3) | instskip(NEXT) | instid1(VALU_DEP_3)
	v_add_nc_u32_e32 v6, 1, v3
	v_ashrrev_i32_e32 v5, 31, v5
	s_delay_alu instid0(VALU_DEP_2) | instskip(NEXT) | instid1(VALU_DEP_1)
	v_cndmask_b32_e32 v3, v3, v6, vcc_lo
	v_xor_b32_e32 v3, v3, v5
	s_delay_alu instid0(VALU_DEP_1) | instskip(NEXT) | instid1(VALU_DEP_1)
	v_sub_nc_u32_e32 v4, v3, v5
	v_cmp_gt_i32_e32 vcc_lo, s2, v4
	s_and_saveexec_b32 s2, vcc_lo
	s_cbranch_execz .LBB68_12
; %bb.1:
	v_mul_lo_u32 v3, v4, s14
	s_load_b64 s[12:13], s[0:1], 0x0
	v_and_b32_e32 v9, 31, v0
	v_lshlrev_b32_e32 v11, 11, v1
	v_lshlrev_b32_e32 v8, 10, v2
	s_lshl_b32 s20, s3, 1
	s_delay_alu instid0(VALU_DEP_3) | instskip(SKIP_2) | instid1(VALU_DEP_1)
	v_lshlrev_b32_e32 v10, 3, v9
	v_sub_nc_u32_e32 v3, v2, v3
	s_mul_i32 s15, s20, s5
	v_lshlrev_b32_e32 v6, 3, v3
	s_delay_alu instid0(VALU_DEP_1) | instskip(SKIP_1) | instid1(VALU_DEP_2)
	v_add_nc_u32_e32 v3, 8, v6
	v_sub_nc_u32_e32 v5, s4, v6
	v_cmp_lt_i32_e32 vcc_lo, s4, v3
	s_delay_alu instid0(VALU_DEP_2) | instskip(NEXT) | instid1(VALU_DEP_1)
	v_cndmask_b32_e32 v7, 8, v5, vcc_lo
	v_cmp_lt_i32_e32 vcc_lo, 0, v7
	s_and_saveexec_b32 s4, vcc_lo
	s_cbranch_execz .LBB68_4
; %bb.2:
	s_add_i32 s2, s18, s17
	s_lshl_b32 s5, s14, 3
	s_add_i32 s2, s2, s16
	s_mov_b32 s6, 0
	s_sub_i32 s2, s2, s5
	s_mov_b32 s5, 0
	v_mul_lo_u32 v0, s2, v4
	s_add_i32 s2, s15, 0
	s_delay_alu instid0(VALU_DEP_1) | instskip(SKIP_1) | instid1(VALU_DEP_2)
	v_lshl_add_u32 v2, v0, 7, v8
	v_add3_u32 v0, s2, v11, v10
	v_lshl_or_b32 v2, v9, 2, v2
	.p2align	6
.LBB68_3:                               ; =>This Inner Loop Header: Depth=1
	s_delay_alu instid0(VALU_DEP_1) | instskip(SKIP_1) | instid1(VALU_DEP_1)
	v_ashrrev_i32_e32 v3, 31, v2
	s_add_i32 s6, s6, 1
	v_lshlrev_b64 v[12:13], 1, v[2:3]
	v_add_nc_u32_e32 v2, 0x80, v2
	s_waitcnt lgkmcnt(0)
	s_delay_alu instid0(VALU_DEP_2) | instskip(NEXT) | instid1(VALU_DEP_1)
	v_add_co_u32 v12, s2, s12, v12
	v_add_co_ci_u32_e64 v13, s2, s13, v13, s2
	v_cmp_ge_i32_e64 s2, s6, v7
	global_load_b64 v[12:13], v[12:13], off
	s_or_b32 s5, s2, s5
	s_waitcnt vmcnt(0)
	ds_store_b64 v0, v[12:13]
	v_add_nc_u32_e32 v0, 0x100, v0
	s_and_not1_b32 exec_lo, exec_lo, s5
	s_cbranch_execnz .LBB68_3
.LBB68_4:
	s_or_b32 exec_lo, exec_lo, s4
	s_load_b256 s[4:11], s[0:1], 0x18
	v_mul_lo_u32 v0, v1, s3
	s_add_i32 s0, s20, 15
	s_mov_b32 s20, exec_lo
	s_ashr_i32 s1, s0, 31
	s_delay_alu instid0(SALU_CYCLE_1) | instskip(NEXT) | instid1(SALU_CYCLE_1)
	s_lshr_b32 s1, s1, 28
	s_add_i32 s0, s0, s1
	s_delay_alu instid0(VALU_DEP_1) | instskip(SKIP_1) | instid1(SALU_CYCLE_1)
	v_lshlrev_b32_e32 v12, 1, v0
	s_ashr_i32 s2, s0, 4
	v_cmpx_gt_i32_e64 s2, v9
	s_cbranch_execz .LBB68_7
; %bb.5:
	v_ashrrev_i32_e32 v5, 31, v4
	s_delay_alu instid0(VALU_DEP_1) | instskip(SKIP_1) | instid1(VALU_DEP_1)
	v_lshlrev_b64 v[0:1], 3, v[4:5]
	s_waitcnt lgkmcnt(0)
	v_add_co_u32 v0, s0, s10, v0
	s_delay_alu instid0(VALU_DEP_1)
	v_add_co_ci_u32_e64 v1, s0, s11, v1, s0
	s_ashr_i32 s0, s3, 31
	global_load_b64 v[0:1], v[0:1], off
	s_waitcnt vmcnt(0)
	v_mul_lo_u32 v3, v1, s3
	v_mul_lo_u32 v5, v0, s0
	v_mad_u64_u32 v[1:2], null, v0, s3, 0
	s_delay_alu instid0(VALU_DEP_1) | instskip(SKIP_1) | instid1(VALU_DEP_2)
	v_add3_u32 v2, v2, v5, v3
	v_mov_b32_e32 v3, v9
	v_lshlrev_b64 v[0:1], 1, v[1:2]
	v_lshlrev_b32_e32 v2, 4, v9
	s_delay_alu instid0(VALU_DEP_1) | instskip(NEXT) | instid1(VALU_DEP_1)
	v_add_co_u32 v0, s0, v0, v2
	v_add_co_ci_u32_e64 v1, s0, 0, v1, s0
	v_add3_u32 v2, v12, v2, 0
	s_delay_alu instid0(VALU_DEP_3) | instskip(NEXT) | instid1(VALU_DEP_1)
	v_add_co_u32 v0, s0, s8, v0
	v_add_co_ci_u32_e64 v1, s0, s9, v1, s0
	s_mov_b32 s8, 0
	.p2align	6
.LBB68_6:                               ; =>This Inner Loop Header: Depth=1
	global_load_b128 v[13:16], v[0:1], off
	v_add_nc_u32_e32 v3, 32, v3
	v_add_co_u32 v0, s0, 0x200, v0
	s_delay_alu instid0(VALU_DEP_1) | instskip(NEXT) | instid1(VALU_DEP_3)
	v_add_co_ci_u32_e64 v1, s0, 0, v1, s0
	v_cmp_le_i32_e64 s1, s2, v3
	s_delay_alu instid0(VALU_DEP_1)
	s_or_b32 s8, s1, s8
	s_waitcnt vmcnt(0)
	ds_store_b128 v2, v[13:16]
	v_add_nc_u32_e32 v2, 0x200, v2
	s_and_not1_b32 exec_lo, exec_lo, s8
	s_cbranch_execnz .LBB68_6
.LBB68_7:
	s_or_b32 exec_lo, exec_lo, s20
	s_delay_alu instid0(SALU_CYCLE_1)
	s_and_b32 exec_lo, exec_lo, vcc_lo
	s_cbranch_execz .LBB68_12
; %bb.8:
	s_waitcnt lgkmcnt(0)
	s_clause 0x1
	global_load_b64 v[0:1], v10, s[4:5]
	global_load_b64 v[2:3], v10, s[6:7]
	v_mbcnt_lo_u32_b32 v13, -1, 0
	s_lshr_b32 s0, s3, 31
	s_ashr_i32 s1, s3, 31
	s_add_i32 s0, s3, s0
	s_lshr_b32 s1, s1, 30
	v_xor_b32_e32 v15, 16, v13
	s_and_b32 s5, s0, -2
	s_add_i32 s0, s3, s1
	v_lshlrev_b32_e32 v5, 2, v9
	s_ashr_i32 s0, s0, 2
	v_xor_b32_e32 v16, 8, v13
	v_cmp_gt_i32_e32 vcc_lo, s0, v9
	v_cmp_gt_i32_e64 s0, 32, v15
	v_add_nc_u32_e32 v14, s15, v11
	v_xor_b32_e32 v17, 4, v13
	v_add3_u32 v11, 0, v12, v5
	v_xor_b32_e32 v18, 2, v13
	v_cndmask_b32_e64 v12, v13, v15, s0
	v_cmp_gt_i32_e64 s0, 32, v16
	v_add3_u32 v10, v14, v10, 0
	s_add_i32 s2, s18, s17
	s_lshl_b32 s4, s14, 3
	s_add_i32 s2, s2, s16
	v_cndmask_b32_e64 v14, v13, v16, s0
	v_cmp_gt_i32_e64 s0, 32, v17
	s_sub_i32 s1, s2, s4
	v_xor_b32_e32 v19, 1, v13
	v_mul_lo_u32 v4, s1, v4
	v_add_nc_u32_e32 v9, s5, v11
	v_cndmask_b32_e64 v15, v13, v17, s0
	v_cmp_gt_i32_e64 s0, 32, v18
	s_mov_b32 s2, 0
	s_mov_b32 s3, 0
	s_delay_alu instid0(VALU_DEP_1)
	v_cndmask_b32_e64 v16, v13, v18, s0
	v_cmp_gt_i32_e64 s0, 32, v19
	v_lshl_add_u32 v4, v4, 7, v8
	v_lshlrev_b32_e32 v8, 2, v12
	v_lshlrev_b32_e32 v12, 2, v14
	;; [unrolled: 1-line block ×3, first 2 shown]
	v_cndmask_b32_e64 v17, v13, v19, s0
	v_lshlrev_b32_e32 v13, 2, v15
	v_or_b32_e32 v4, v4, v5
	s_delay_alu instid0(VALU_DEP_3)
	v_lshlrev_b32_e32 v15, 2, v17
	s_waitcnt vmcnt(1)
	v_lshrrev_b32_e32 v16, 16, v0
	s_waitcnt vmcnt(0)
	v_lshrrev_b32_e32 v17, 16, v2
	v_lshrrev_b32_e32 v18, 16, v1
	;; [unrolled: 1-line block ×3, first 2 shown]
	s_branch .LBB68_10
.LBB68_9:                               ;   in Loop: Header=BB68_10 Depth=1
	s_or_b32 exec_lo, exec_lo, s0
	v_ashrrev_i32_e32 v5, 31, v4
	s_delay_alu instid0(VALU_DEP_2)
	v_cvt_f16_f32_e32 v24, v23
	v_cvt_f16_f32_e32 v25, v22
	;; [unrolled: 1-line block ×3, first 2 shown]
	s_add_i32 s3, s3, 1
	v_lshlrev_b64 v[22:23], 1, v[4:5]
	v_cvt_f16_f32_e32 v5, v21
	v_pack_b32_f16 v21, v24, v25
	v_add_nc_u32_e32 v4, 0x80, v4
	v_add_nc_u32_e32 v10, 0x100, v10
	s_delay_alu instid0(VALU_DEP_4) | instskip(SKIP_1) | instid1(VALU_DEP_1)
	v_pack_b32_f16 v20, v5, v20
	v_add_co_u32 v22, s0, s12, v22
	v_add_co_ci_u32_e64 v23, s0, s13, v23, s0
	v_cmp_ge_i32_e64 s0, s3, v7
	global_store_b64 v[22:23], v[20:21], off
	s_or_b32 s2, s0, s2
	s_delay_alu instid0(SALU_CYCLE_1)
	s_and_not1_b32 exec_lo, exec_lo, s2
	s_cbranch_execz .LBB68_12
.LBB68_10:                              ; =>This Inner Loop Header: Depth=1
	ds_load_b64 v[20:21], v10
	s_waitcnt lgkmcnt(0)
	v_lshrrev_b32_e32 v5, 16, v20
	v_lshrrev_b32_e32 v28, 16, v21
	s_delay_alu instid0(VALU_DEP_2) | instskip(NEXT) | instid1(VALU_DEP_2)
	v_cvt_f32_f16_e32 v5, v5
	v_cvt_f32_f16_e32 v28, v28
	s_delay_alu instid0(VALU_DEP_2) | instskip(NEXT) | instid1(VALU_DEP_1)
	v_mul_f32_e32 v22, v5, v5
	v_fma_mix_f32 v22, v20, v20, v22 op_sel_hi:[1,1,0]
	s_delay_alu instid0(VALU_DEP_1) | instskip(NEXT) | instid1(VALU_DEP_1)
	v_fma_mix_f32 v22, v21, v21, v22 op_sel_hi:[1,1,0]
	v_fma_mix_f32 v22, v21, v21, v22 op_sel:[1,1,0] op_sel_hi:[1,1,0]
	ds_bpermute_b32 v23, v8, v22
	s_waitcnt lgkmcnt(0)
	v_add_f32_e32 v22, v22, v23
	ds_bpermute_b32 v23, v12, v22
	s_waitcnt lgkmcnt(0)
	v_add_f32_e32 v22, v22, v23
	;; [unrolled: 3-line block ×5, first 2 shown]
	s_delay_alu instid0(VALU_DEP_1) | instskip(NEXT) | instid1(VALU_DEP_1)
	v_fma_f32 v22, 0x3c000000, v22, s19
	v_mul_f32_e32 v23, 0x4b800000, v22
	v_cmp_gt_f32_e64 s0, 0x800000, v22
	s_delay_alu instid0(VALU_DEP_1) | instskip(SKIP_1) | instid1(VALU_DEP_2)
	v_cndmask_b32_e64 v22, v22, v23, s0
	v_add_nc_u32_e32 v23, s3, v6
	v_rsq_f32_e32 v22, v22
	s_delay_alu instid0(VALU_DEP_1) | instskip(NEXT) | instid1(VALU_DEP_1)
	v_cmp_gt_i32_e64 s1, s16, v23
	v_cndmask_b32_e64 v24, v2, v0, s1
	v_cndmask_b32_e64 v23, v17, v16, s1
	;; [unrolled: 1-line block ×4, first 2 shown]
	s_delay_alu instid0(VALU_DEP_4) | instskip(NEXT) | instid1(TRANS32_DEP_1)
	v_cvt_f32_f16_e32 v24, v24
	v_mul_f32_e32 v26, 0x45800000, v22
	v_cvt_f32_f16_e32 v23, v23
	v_cvt_f32_f16_e32 v25, v25
	s_delay_alu instid0(VALU_DEP_3) | instskip(SKIP_3) | instid1(VALU_DEP_4)
	v_cndmask_b32_e64 v22, v22, v26, s0
	v_cvt_f32_f16_e32 v26, v27
	v_cvt_f32_f16_e32 v27, v21
	;; [unrolled: 1-line block ×3, first 2 shown]
	v_mul_f32_e32 v20, v22, v23
	v_mul_f32_e32 v23, v22, v24
	;; [unrolled: 1-line block ×3, first 2 shown]
	s_delay_alu instid0(VALU_DEP_3) | instskip(NEXT) | instid1(VALU_DEP_2)
	v_dual_mul_f32 v25, v22, v26 :: v_dual_mul_f32 v20, v20, v5
	v_dual_mul_f32 v21, v23, v21 :: v_dual_mul_f32 v22, v24, v28
	s_delay_alu instid0(VALU_DEP_2)
	v_mul_f32_e32 v23, v25, v27
	s_and_saveexec_b32 s0, vcc_lo
	s_cbranch_execz .LBB68_9
; %bb.11:                               ;   in Loop: Header=BB68_10 Depth=1
	ds_load_u16 v5, v9
	ds_load_u16 v24, v9 offset:2
	ds_load_u16 v25, v11
	ds_load_u16 v26, v11 offset:2
	s_waitcnt lgkmcnt(2)
	v_lshlrev_b32_e32 v24, 16, v24
	v_lshlrev_b32_e32 v5, 16, v5
	s_waitcnt lgkmcnt(0)
	v_lshlrev_b32_e32 v26, 16, v26
	s_delay_alu instid0(VALU_DEP_3) | instskip(NEXT) | instid1(VALU_DEP_2)
	v_dual_mul_f32 v28, v22, v24 :: v_dual_lshlrev_b32 v25, 16, v25
	v_dual_mul_f32 v27, v20, v5 :: v_dual_mul_f32 v22, v22, v26
	s_delay_alu instid0(VALU_DEP_2) | instskip(NEXT) | instid1(VALU_DEP_2)
	v_mul_f32_e32 v20, v20, v25
	v_fma_f32 v25, v21, v25, -v27
	s_delay_alu instid0(VALU_DEP_3) | instskip(NEXT) | instid1(VALU_DEP_3)
	v_fmac_f32_e32 v22, v23, v24
	v_fmac_f32_e32 v20, v21, v5
	s_delay_alu instid0(VALU_DEP_3) | instskip(SKIP_1) | instid1(VALU_DEP_1)
	v_mov_b32_e32 v21, v25
	v_fma_f32 v26, v23, v26, -v28
	v_mov_b32_e32 v23, v26
	s_branch .LBB68_9
.LBB68_12:
	s_nop 0
	s_sendmsg sendmsg(MSG_DEALLOC_VGPRS)
	s_endpgm
	.section	.rodata,"a",@progbits
	.p2align	6, 0x0
	.amdhsa_kernel _ZN12tensorrt_llm7kernels32fusedQKNormRopeKernelNTokenHeadsIN3c104HalfENS2_8BFloat16ELi128ELb1ELi8EEEvPviiifPKvS7_S7_PKlii
		.amdhsa_group_segment_fixed_size 0
		.amdhsa_private_segment_fixed_size 0
		.amdhsa_kernarg_size 320
		.amdhsa_user_sgpr_count 15
		.amdhsa_user_sgpr_dispatch_ptr 0
		.amdhsa_user_sgpr_queue_ptr 0
		.amdhsa_user_sgpr_kernarg_segment_ptr 1
		.amdhsa_user_sgpr_dispatch_id 0
		.amdhsa_user_sgpr_private_segment_size 0
		.amdhsa_wavefront_size32 1
		.amdhsa_uses_dynamic_stack 0
		.amdhsa_enable_private_segment 0
		.amdhsa_system_sgpr_workgroup_id_x 1
		.amdhsa_system_sgpr_workgroup_id_y 0
		.amdhsa_system_sgpr_workgroup_id_z 0
		.amdhsa_system_sgpr_workgroup_info 0
		.amdhsa_system_vgpr_workitem_id 0
		.amdhsa_next_free_vgpr 29
		.amdhsa_next_free_sgpr 21
		.amdhsa_reserve_vcc 1
		.amdhsa_float_round_mode_32 0
		.amdhsa_float_round_mode_16_64 0
		.amdhsa_float_denorm_mode_32 3
		.amdhsa_float_denorm_mode_16_64 3
		.amdhsa_dx10_clamp 1
		.amdhsa_ieee_mode 1
		.amdhsa_fp16_overflow 0
		.amdhsa_workgroup_processor_mode 1
		.amdhsa_memory_ordered 1
		.amdhsa_forward_progress 0
		.amdhsa_shared_vgpr_count 0
		.amdhsa_exception_fp_ieee_invalid_op 0
		.amdhsa_exception_fp_denorm_src 0
		.amdhsa_exception_fp_ieee_div_zero 0
		.amdhsa_exception_fp_ieee_overflow 0
		.amdhsa_exception_fp_ieee_underflow 0
		.amdhsa_exception_fp_ieee_inexact 0
		.amdhsa_exception_int_div_zero 0
	.end_amdhsa_kernel
	.section	.text._ZN12tensorrt_llm7kernels32fusedQKNormRopeKernelNTokenHeadsIN3c104HalfENS2_8BFloat16ELi128ELb1ELi8EEEvPviiifPKvS7_S7_PKlii,"axG",@progbits,_ZN12tensorrt_llm7kernels32fusedQKNormRopeKernelNTokenHeadsIN3c104HalfENS2_8BFloat16ELi128ELb1ELi8EEEvPviiifPKvS7_S7_PKlii,comdat
.Lfunc_end68:
	.size	_ZN12tensorrt_llm7kernels32fusedQKNormRopeKernelNTokenHeadsIN3c104HalfENS2_8BFloat16ELi128ELb1ELi8EEEvPviiifPKvS7_S7_PKlii, .Lfunc_end68-_ZN12tensorrt_llm7kernels32fusedQKNormRopeKernelNTokenHeadsIN3c104HalfENS2_8BFloat16ELi128ELb1ELi8EEEvPviiifPKvS7_S7_PKlii
                                        ; -- End function
	.section	.AMDGPU.csdata,"",@progbits
; Kernel info:
; codeLenInByte = 1744
; NumSgprs: 23
; NumVgprs: 29
; ScratchSize: 0
; MemoryBound: 0
; FloatMode: 240
; IeeeMode: 1
; LDSByteSize: 0 bytes/workgroup (compile time only)
; SGPRBlocks: 2
; VGPRBlocks: 3
; NumSGPRsForWavesPerEU: 23
; NumVGPRsForWavesPerEU: 29
; Occupancy: 16
; WaveLimiterHint : 0
; COMPUTE_PGM_RSRC2:SCRATCH_EN: 0
; COMPUTE_PGM_RSRC2:USER_SGPR: 15
; COMPUTE_PGM_RSRC2:TRAP_HANDLER: 0
; COMPUTE_PGM_RSRC2:TGID_X_EN: 1
; COMPUTE_PGM_RSRC2:TGID_Y_EN: 0
; COMPUTE_PGM_RSRC2:TGID_Z_EN: 0
; COMPUTE_PGM_RSRC2:TIDIG_COMP_CNT: 0
	.section	.text._ZN12tensorrt_llm7kernels32fusedQKNormRopeKernelNTokenHeadsIN3c104HalfENS2_8BFloat16ELi128ELb0ELi8EEEvPviiifPKvS7_S7_PKlii,"axG",@progbits,_ZN12tensorrt_llm7kernels32fusedQKNormRopeKernelNTokenHeadsIN3c104HalfENS2_8BFloat16ELi128ELb0ELi8EEEvPviiifPKvS7_S7_PKlii,comdat
	.protected	_ZN12tensorrt_llm7kernels32fusedQKNormRopeKernelNTokenHeadsIN3c104HalfENS2_8BFloat16ELi128ELb0ELi8EEEvPviiifPKvS7_S7_PKlii ; -- Begin function _ZN12tensorrt_llm7kernels32fusedQKNormRopeKernelNTokenHeadsIN3c104HalfENS2_8BFloat16ELi128ELb0ELi8EEEvPviiifPKvS7_S7_PKlii
	.globl	_ZN12tensorrt_llm7kernels32fusedQKNormRopeKernelNTokenHeadsIN3c104HalfENS2_8BFloat16ELi128ELb0ELi8EEEvPviiifPKvS7_S7_PKlii
	.p2align	8
	.type	_ZN12tensorrt_llm7kernels32fusedQKNormRopeKernelNTokenHeadsIN3c104HalfENS2_8BFloat16ELi128ELb0ELi8EEEvPviiifPKvS7_S7_PKlii,@function
_ZN12tensorrt_llm7kernels32fusedQKNormRopeKernelNTokenHeadsIN3c104HalfENS2_8BFloat16ELi128ELb0ELi8EEEvPviiifPKvS7_S7_PKlii: ; @_ZN12tensorrt_llm7kernels32fusedQKNormRopeKernelNTokenHeadsIN3c104HalfENS2_8BFloat16ELi128ELb0ELi8EEEvPviiifPKvS7_S7_PKlii
; %bb.0:
	s_clause 0x1
	s_load_b128 s[16:19], s[0:1], 0x8
	s_load_b64 s[2:3], s[0:1], 0x38
	s_waitcnt lgkmcnt(0)
	s_add_i32 s4, s17, s16
	s_delay_alu instid0(SALU_CYCLE_1) | instskip(NEXT) | instid1(SALU_CYCLE_1)
	s_add_i32 s5, s4, 7
	s_ashr_i32 s6, s5, 31
	s_delay_alu instid0(SALU_CYCLE_1) | instskip(NEXT) | instid1(SALU_CYCLE_1)
	s_lshr_b32 s6, s6, 29
	s_add_i32 s5, s5, s6
	s_delay_alu instid0(SALU_CYCLE_1) | instskip(SKIP_2) | instid1(SALU_CYCLE_1)
	s_ashr_i32 s14, s5, 3
	s_load_b32 s5, s[0:1], 0x4c
	s_abs_i32 s6, s14
	v_cvt_f32_u32_e32 v1, s6
	s_sub_i32 s7, 0, s6
	s_delay_alu instid0(VALU_DEP_1) | instskip(SKIP_4) | instid1(VALU_DEP_1)
	v_rcp_iflag_f32_e32 v1, v1
	s_waitcnt_depctr 0xfff
	v_mul_f32_e32 v1, 0x4f7ffffe, v1
	s_waitcnt lgkmcnt(0)
	s_bfe_u32 s5, s5, 0xb0005
	v_cvt_u32_f32_e32 v4, v1
	v_lshrrev_b32_e32 v1, 5, v0
	s_delay_alu instid0(VALU_DEP_2) | instskip(NEXT) | instid1(VALU_DEP_2)
	v_mul_lo_u32 v5, s7, v4
	v_mad_u64_u32 v[2:3], null, s15, s5, v[1:2]
	s_delay_alu instid0(VALU_DEP_2) | instskip(NEXT) | instid1(VALU_DEP_2)
	v_mul_hi_u32 v3, v4, v5
	v_sub_nc_u32_e32 v5, 0, v2
	s_delay_alu instid0(VALU_DEP_1) | instskip(NEXT) | instid1(VALU_DEP_3)
	v_max_i32_e32 v5, v2, v5
	v_add_nc_u32_e32 v3, v4, v3
	s_delay_alu instid0(VALU_DEP_1) | instskip(NEXT) | instid1(VALU_DEP_1)
	v_mul_hi_u32 v3, v5, v3
	v_mul_lo_u32 v4, v3, s6
	s_delay_alu instid0(VALU_DEP_1) | instskip(SKIP_1) | instid1(VALU_DEP_2)
	v_sub_nc_u32_e32 v4, v5, v4
	v_add_nc_u32_e32 v5, 1, v3
	v_subrev_nc_u32_e32 v6, s6, v4
	v_cmp_le_u32_e32 vcc_lo, s6, v4
	s_delay_alu instid0(VALU_DEP_2) | instskip(SKIP_1) | instid1(VALU_DEP_2)
	v_dual_cndmask_b32 v4, v4, v6 :: v_dual_cndmask_b32 v3, v3, v5
	v_xor_b32_e32 v5, s14, v2
	v_cmp_le_u32_e32 vcc_lo, s6, v4
	s_delay_alu instid0(VALU_DEP_3) | instskip(NEXT) | instid1(VALU_DEP_3)
	v_add_nc_u32_e32 v6, 1, v3
	v_ashrrev_i32_e32 v5, 31, v5
	s_delay_alu instid0(VALU_DEP_2) | instskip(NEXT) | instid1(VALU_DEP_1)
	v_cndmask_b32_e32 v3, v3, v6, vcc_lo
	v_xor_b32_e32 v3, v3, v5
	s_delay_alu instid0(VALU_DEP_1) | instskip(NEXT) | instid1(VALU_DEP_1)
	v_sub_nc_u32_e32 v4, v3, v5
	v_cmp_gt_i32_e32 vcc_lo, s2, v4
	s_and_saveexec_b32 s2, vcc_lo
	s_cbranch_execz .LBB69_12
; %bb.1:
	v_mul_lo_u32 v3, v4, s14
	s_load_b64 s[12:13], s[0:1], 0x0
	v_and_b32_e32 v9, 31, v0
	v_lshlrev_b32_e32 v11, 11, v1
	v_lshlrev_b32_e32 v10, 10, v2
	s_lshl_b32 s20, s3, 1
	s_delay_alu instid0(VALU_DEP_3) | instskip(SKIP_2) | instid1(VALU_DEP_1)
	v_lshlrev_b32_e32 v8, 3, v9
	v_sub_nc_u32_e32 v3, v2, v3
	s_mul_i32 s15, s20, s5
	v_lshlrev_b32_e32 v6, 3, v3
	s_delay_alu instid0(VALU_DEP_1) | instskip(SKIP_1) | instid1(VALU_DEP_2)
	v_add_nc_u32_e32 v3, 8, v6
	v_sub_nc_u32_e32 v5, s4, v6
	v_cmp_lt_i32_e32 vcc_lo, s4, v3
	s_delay_alu instid0(VALU_DEP_2) | instskip(NEXT) | instid1(VALU_DEP_1)
	v_cndmask_b32_e32 v7, 8, v5, vcc_lo
	v_cmp_lt_i32_e32 vcc_lo, 0, v7
	s_and_saveexec_b32 s4, vcc_lo
	s_cbranch_execz .LBB69_4
; %bb.2:
	s_add_i32 s2, s18, s17
	s_lshl_b32 s5, s14, 3
	s_add_i32 s2, s2, s16
	s_mov_b32 s6, 0
	s_sub_i32 s2, s2, s5
	s_mov_b32 s5, 0
	v_mul_lo_u32 v0, s2, v4
	s_add_i32 s2, s15, 0
	s_delay_alu instid0(VALU_DEP_1) | instskip(SKIP_1) | instid1(VALU_DEP_2)
	v_lshl_add_u32 v2, v0, 7, v10
	v_add3_u32 v0, s2, v11, v8
	v_lshl_or_b32 v2, v9, 2, v2
	.p2align	6
.LBB69_3:                               ; =>This Inner Loop Header: Depth=1
	s_delay_alu instid0(VALU_DEP_1) | instskip(SKIP_1) | instid1(VALU_DEP_1)
	v_ashrrev_i32_e32 v3, 31, v2
	s_add_i32 s6, s6, 1
	v_lshlrev_b64 v[12:13], 1, v[2:3]
	v_add_nc_u32_e32 v2, 0x80, v2
	s_waitcnt lgkmcnt(0)
	s_delay_alu instid0(VALU_DEP_2) | instskip(NEXT) | instid1(VALU_DEP_1)
	v_add_co_u32 v12, s2, s12, v12
	v_add_co_ci_u32_e64 v13, s2, s13, v13, s2
	v_cmp_ge_i32_e64 s2, s6, v7
	global_load_b64 v[12:13], v[12:13], off
	s_or_b32 s5, s2, s5
	s_waitcnt vmcnt(0)
	ds_store_b64 v0, v[12:13]
	v_add_nc_u32_e32 v0, 0x100, v0
	s_and_not1_b32 exec_lo, exec_lo, s5
	s_cbranch_execnz .LBB69_3
.LBB69_4:
	s_or_b32 exec_lo, exec_lo, s4
	s_load_b256 s[4:11], s[0:1], 0x18
	s_add_i32 s0, s20, 15
	v_mul_lo_u32 v12, v1, s3
	s_ashr_i32 s1, s0, 31
	s_mov_b32 s20, exec_lo
	s_lshr_b32 s1, s1, 28
	s_delay_alu instid0(SALU_CYCLE_1) | instskip(NEXT) | instid1(SALU_CYCLE_1)
	s_add_i32 s0, s0, s1
	s_ashr_i32 s2, s0, 4
	s_delay_alu instid0(SALU_CYCLE_1)
	v_cmpx_gt_i32_e64 s2, v9
	s_cbranch_execz .LBB69_7
; %bb.5:
	v_ashrrev_i32_e32 v5, 31, v4
	s_delay_alu instid0(VALU_DEP_1) | instskip(SKIP_1) | instid1(VALU_DEP_1)
	v_lshlrev_b64 v[0:1], 3, v[4:5]
	s_waitcnt lgkmcnt(0)
	v_add_co_u32 v0, s0, s10, v0
	s_delay_alu instid0(VALU_DEP_1)
	v_add_co_ci_u32_e64 v1, s0, s11, v1, s0
	s_ashr_i32 s0, s3, 31
	global_load_b64 v[0:1], v[0:1], off
	s_waitcnt vmcnt(0)
	v_mul_lo_u32 v3, v1, s3
	v_mul_lo_u32 v5, v0, s0
	v_mad_u64_u32 v[1:2], null, v0, s3, 0
	s_delay_alu instid0(VALU_DEP_1) | instskip(SKIP_1) | instid1(VALU_DEP_2)
	v_add3_u32 v2, v2, v5, v3
	v_lshlrev_b32_e32 v3, 1, v12
	v_lshlrev_b64 v[0:1], 1, v[1:2]
	v_lshlrev_b32_e32 v2, 4, v9
	s_delay_alu instid0(VALU_DEP_1) | instskip(NEXT) | instid1(VALU_DEP_1)
	v_add_co_u32 v0, s0, v0, v2
	v_add_co_ci_u32_e64 v1, s0, 0, v1, s0
	v_add3_u32 v2, v3, v2, 0
	v_mov_b32_e32 v3, v9
	s_delay_alu instid0(VALU_DEP_4) | instskip(NEXT) | instid1(VALU_DEP_1)
	v_add_co_u32 v0, s0, s8, v0
	v_add_co_ci_u32_e64 v1, s0, s9, v1, s0
	s_mov_b32 s8, 0
	.p2align	6
.LBB69_6:                               ; =>This Inner Loop Header: Depth=1
	global_load_b128 v[13:16], v[0:1], off
	v_add_nc_u32_e32 v3, 32, v3
	v_add_co_u32 v0, s0, 0x200, v0
	s_delay_alu instid0(VALU_DEP_1) | instskip(NEXT) | instid1(VALU_DEP_3)
	v_add_co_ci_u32_e64 v1, s0, 0, v1, s0
	v_cmp_le_i32_e64 s1, s2, v3
	s_delay_alu instid0(VALU_DEP_1)
	s_or_b32 s8, s1, s8
	s_waitcnt vmcnt(0)
	ds_store_b128 v2, v[13:16]
	v_add_nc_u32_e32 v2, 0x200, v2
	s_and_not1_b32 exec_lo, exec_lo, s8
	s_cbranch_execnz .LBB69_6
.LBB69_7:
	s_or_b32 exec_lo, exec_lo, s20
	s_delay_alu instid0(SALU_CYCLE_1)
	s_and_b32 exec_lo, exec_lo, vcc_lo
	s_cbranch_execz .LBB69_12
; %bb.8:
	s_waitcnt lgkmcnt(0)
	s_clause 0x1
	global_load_b64 v[0:1], v8, s[4:5]
	global_load_b64 v[2:3], v8, s[6:7]
	s_abs_i32 s2, s3
	v_lshl_add_u32 v21, v12, 1, 0
	v_cvt_f32_u32_e32 v5, s2
	v_mbcnt_lo_u32_b32 v12, -1, 0
	s_lshr_b32 s0, s3, 31
	s_ashr_i32 s1, s3, 31
	s_add_i32 s0, s3, s0
	s_lshr_b32 s6, s1, 30
	s_lshr_b32 s1, s1, 29
	v_rcp_iflag_f32_e32 v5, v5
	v_add_nc_u32_e32 v27, s15, v11
	v_xor_b32_e32 v11, 16, v12
	s_add_i32 s4, s18, s17
	s_and_b32 s0, s0, -2
	s_add_i32 s6, s3, s6
	s_add_i32 s1, s3, s1
	s_lshl_b32 s5, s14, 3
	s_add_i32 s4, s4, s16
	v_add_nc_u32_e32 v22, s0, v21
	s_ashr_i32 s0, s6, 2
	s_ashr_i32 s1, s1, 3
	s_sub_i32 s3, s4, s5
	v_cmp_gt_i32_e32 vcc_lo, s0, v9
	v_xor_b32_e32 v23, s1, v12
	v_cmp_gt_i32_e64 s0, s1, v9
	v_cmp_gt_i32_e64 s1, 32, v11
	v_mul_lo_u32 v4, s3, v4
	s_sub_i32 s7, 0, s2
	v_xor_b32_e32 v13, 8, v12
	v_xor_b32_e32 v18, 4, v12
	v_cndmask_b32_e64 v11, v12, v11, s1
	v_mul_f32_e32 v5, 0x4f7ffffe, v5
	v_xor_b32_e32 v19, 2, v12
	v_cmp_gt_i32_e64 s1, 32, v13
	v_lshl_add_u32 v4, v4, 7, v10
	v_lshlrev_b32_e32 v10, 2, v11
	v_cvt_u32_f32_e32 v5, v5
	v_or_b32_e32 v14, 2, v8
	v_cndmask_b32_e64 v13, v12, v13, s1
	v_cmp_gt_i32_e64 s1, 32, v18
	v_or_b32_e32 v15, 4, v8
	v_mul_lo_u32 v17, s7, v5
	v_or_b32_e32 v16, 6, v8
	v_xor_b32_e32 v20, 1, v12
	v_lshlrev_b32_e32 v11, 2, v13
	v_lshl_or_b32 v4, v9, 2, v4
	s_mov_b32 s3, 0
	s_mov_b32 s4, 0
	v_mul_hi_u32 v17, v5, v17
	s_delay_alu instid0(VALU_DEP_1) | instskip(SKIP_2) | instid1(VALU_DEP_3)
	v_add_nc_u32_e32 v5, v5, v17
	v_cndmask_b32_e64 v17, v12, v18, s1
	v_cmp_gt_i32_e64 s1, 32, v19
	v_mul_hi_u32 v24, v14, v5
	v_mul_hi_u32 v25, v15, v5
	s_delay_alu instid0(VALU_DEP_3) | instskip(SKIP_3) | instid1(VALU_DEP_4)
	v_cndmask_b32_e64 v18, v12, v19, s1
	v_mul_hi_u32 v19, v8, v5
	v_mul_hi_u32 v5, v16, v5
	v_cmp_gt_i32_e64 s1, 32, v20
	v_lshlrev_b32_e32 v13, 2, v18
	v_mul_lo_u32 v24, v24, s2
	v_mul_lo_u32 v25, v25, s2
	s_delay_alu instid0(VALU_DEP_4) | instskip(SKIP_4) | instid1(VALU_DEP_3)
	v_cndmask_b32_e64 v20, v12, v20, s1
	v_mul_lo_u32 v19, v19, s2
	v_cmp_gt_i32_e64 s1, 32, v23
	v_mul_lo_u32 v5, v5, s2
	v_sub_nc_u32_e32 v18, v14, v24
	v_cndmask_b32_e64 v23, v12, v23, s1
	v_lshlrev_b32_e32 v12, 2, v17
	v_sub_nc_u32_e32 v17, v8, v19
	v_sub_nc_u32_e32 v15, v15, v25
	;; [unrolled: 1-line block ×3, first 2 shown]
	v_subrev_nc_u32_e32 v19, s2, v18
	v_lshlrev_b32_e32 v14, 2, v20
	v_subrev_nc_u32_e32 v16, s2, v17
	v_cmp_le_u32_e64 s1, s2, v17
	v_subrev_nc_u32_e32 v20, s2, v15
	v_subrev_nc_u32_e32 v24, s2, v5
	v_add3_u32 v8, v27, v8, 0
	s_delay_alu instid0(VALU_DEP_4) | instskip(SKIP_1) | instid1(VALU_DEP_1)
	v_cndmask_b32_e64 v16, v17, v16, s1
	v_cmp_le_u32_e64 s1, s2, v18
	v_cndmask_b32_e64 v17, v18, v19, s1
	v_cmp_le_u32_e64 s1, s2, v15
	s_delay_alu instid0(VALU_DEP_4) | instskip(NEXT) | instid1(VALU_DEP_2)
	v_subrev_nc_u32_e32 v19, s2, v16
	v_cndmask_b32_e64 v18, v15, v20, s1
	v_cmp_le_u32_e64 s1, s2, v5
	v_subrev_nc_u32_e32 v20, s2, v17
	v_lshlrev_b32_e32 v15, 2, v23
	s_delay_alu instid0(VALU_DEP_4) | instskip(NEXT) | instid1(VALU_DEP_4)
	v_subrev_nc_u32_e32 v23, s2, v18
	v_cndmask_b32_e64 v5, v5, v24, s1
	v_cmp_le_u32_e64 s1, s2, v16
	s_delay_alu instid0(VALU_DEP_2) | instskip(NEXT) | instid1(VALU_DEP_2)
	v_subrev_nc_u32_e32 v24, s2, v5
	v_cndmask_b32_e64 v16, v16, v19, s1
	v_cmp_le_u32_e64 s1, s2, v17
	s_delay_alu instid0(VALU_DEP_2) | instskip(NEXT) | instid1(VALU_DEP_2)
	v_and_b32_e32 v16, -2, v16
	v_cndmask_b32_e64 v17, v17, v20, s1
	v_cmp_le_u32_e64 s1, s2, v18
	s_delay_alu instid0(VALU_DEP_3) | instskip(NEXT) | instid1(VALU_DEP_3)
	v_add_nc_u32_e32 v9, v21, v16
	v_and_b32_e32 v19, -2, v17
	s_delay_alu instid0(VALU_DEP_3) | instskip(SKIP_2) | instid1(VALU_DEP_4)
	v_cndmask_b32_e64 v18, v18, v23, s1
	v_cmp_le_u32_e64 s1, s2, v5
	v_add_nc_u32_e32 v16, v22, v16
	v_add_nc_u32_e32 v17, v21, v19
	s_delay_alu instid0(VALU_DEP_4) | instskip(NEXT) | instid1(VALU_DEP_4)
	v_and_b32_e32 v20, -2, v18
	v_cndmask_b32_e64 v5, v5, v24, s1
	v_add_nc_u32_e32 v18, v22, v19
	s_delay_alu instid0(VALU_DEP_3) | instskip(NEXT) | instid1(VALU_DEP_3)
	v_add_nc_u32_e32 v19, v21, v20
	v_and_b32_e32 v5, -2, v5
	v_add_nc_u32_e32 v20, v22, v20
	s_delay_alu instid0(VALU_DEP_2)
	v_add_nc_u32_e32 v21, v21, v5
	v_add_nc_u32_e32 v22, v22, v5
	s_waitcnt vmcnt(1)
	v_lshrrev_b32_e32 v23, 16, v0
	v_lshrrev_b32_e32 v24, 16, v1
	s_waitcnt vmcnt(0)
	v_lshrrev_b32_e32 v25, 16, v2
	v_lshrrev_b32_e32 v26, 16, v3
	s_branch .LBB69_10
.LBB69_9:                               ;   in Loop: Header=BB69_10 Depth=1
	s_or_b32 exec_lo, exec_lo, s1
	v_ashrrev_i32_e32 v5, 31, v4
	v_cvt_f16_f32_e32 v31, v30
	v_cvt_f16_f32_e32 v32, v29
	s_add_i32 s4, s4, 1
	v_add_nc_u32_e32 v8, 0x100, v8
	v_lshlrev_b64 v[29:30], 1, v[4:5]
	v_cvt_f16_f32_e32 v5, v27
	v_cvt_f16_f32_e32 v27, v28
	v_pack_b32_f16 v28, v31, v32
	v_add_nc_u32_e32 v4, 0x80, v4
	v_add_co_u32 v29, s1, s12, v29
	s_delay_alu instid0(VALU_DEP_1) | instskip(SKIP_2) | instid1(VALU_DEP_2)
	v_add_co_ci_u32_e64 v30, s1, s13, v30, s1
	v_cmp_ge_i32_e64 s1, s4, v7
	v_pack_b32_f16 v27, v5, v27
	s_or_b32 s3, s1, s3
	global_store_b64 v[29:30], v[27:28], off
	s_and_not1_b32 exec_lo, exec_lo, s3
	s_cbranch_execz .LBB69_12
.LBB69_10:                              ; =>This Inner Loop Header: Depth=1
	ds_load_b64 v[27:28], v8
	s_waitcnt lgkmcnt(0)
	v_lshrrev_b32_e32 v5, 16, v27
	v_lshrrev_b32_e32 v35, 16, v28
	s_delay_alu instid0(VALU_DEP_2) | instskip(NEXT) | instid1(VALU_DEP_2)
	v_cvt_f32_f16_e32 v5, v5
	v_cvt_f32_f16_e32 v35, v35
	s_delay_alu instid0(VALU_DEP_2) | instskip(NEXT) | instid1(VALU_DEP_1)
	v_mul_f32_e32 v29, v5, v5
	v_fma_mix_f32 v29, v27, v27, v29 op_sel_hi:[1,1,0]
	v_cvt_f32_f16_e32 v27, v27
	s_delay_alu instid0(VALU_DEP_2) | instskip(NEXT) | instid1(VALU_DEP_1)
	v_fma_mix_f32 v29, v28, v28, v29 op_sel_hi:[1,1,0]
	v_fma_mix_f32 v29, v28, v28, v29 op_sel:[1,1,0] op_sel_hi:[1,1,0]
	ds_bpermute_b32 v30, v10, v29
	s_waitcnt lgkmcnt(0)
	v_add_f32_e32 v29, v29, v30
	ds_bpermute_b32 v30, v11, v29
	s_waitcnt lgkmcnt(0)
	v_add_f32_e32 v29, v29, v30
	;; [unrolled: 3-line block ×5, first 2 shown]
	s_delay_alu instid0(VALU_DEP_1) | instskip(NEXT) | instid1(VALU_DEP_1)
	v_fma_f32 v29, 0x3c000000, v29, s19
	v_mul_f32_e32 v30, 0x4b800000, v29
	v_cmp_gt_f32_e64 s1, 0x800000, v29
	s_delay_alu instid0(VALU_DEP_1) | instskip(SKIP_1) | instid1(VALU_DEP_2)
	v_cndmask_b32_e64 v29, v29, v30, s1
	v_add_nc_u32_e32 v30, s4, v6
	v_rsq_f32_e32 v29, v29
	s_delay_alu instid0(VALU_DEP_1) | instskip(NEXT) | instid1(VALU_DEP_1)
	v_cmp_gt_i32_e64 s2, s16, v30
	v_cndmask_b32_e64 v30, v2, v0, s2
	v_cndmask_b32_e64 v31, v25, v23, s2
	;; [unrolled: 1-line block ×4, first 2 shown]
	s_delay_alu instid0(VALU_DEP_4) | instskip(NEXT) | instid1(TRANS32_DEP_1)
	v_cvt_f32_f16_e32 v30, v30
	v_mul_f32_e32 v33, 0x45800000, v29
	v_cvt_f32_f16_e32 v31, v31
	v_cvt_f32_f16_e32 v32, v32
	s_delay_alu instid0(VALU_DEP_3) | instskip(SKIP_2) | instid1(VALU_DEP_3)
	v_cndmask_b32_e64 v29, v29, v33, s1
	v_cvt_f32_f16_e32 v33, v34
	v_cvt_f32_f16_e32 v34, v28
	v_mul_f32_e32 v28, v29, v30
	v_mul_f32_e32 v30, v29, v31
	;; [unrolled: 1-line block ×4, first 2 shown]
	s_delay_alu instid0(VALU_DEP_3) | instskip(NEXT) | instid1(VALU_DEP_2)
	v_dual_mul_f32 v27, v28, v27 :: v_dual_mul_f32 v28, v30, v5
	v_dual_mul_f32 v30, v31, v34 :: v_dual_mul_f32 v29, v29, v35
	s_and_saveexec_b32 s1, vcc_lo
	s_cbranch_execz .LBB69_9
; %bb.11:                               ;   in Loop: Header=BB69_10 Depth=1
	; wave barrier
	ds_bpermute_b32 v5, v15, v27
	ds_load_u16 v31, v9
	ds_load_u16 v32, v16
	ds_bpermute_b32 v33, v15, v28
	ds_load_u16 v34, v17
	ds_load_u16 v35, v18
	;; [unrolled: 3-line block ×3, first 2 shown]
	ds_load_u16 v40, v19
	ds_load_u16 v41, v21
	ds_bpermute_b32 v38, v15, v29
	; wave barrier
	s_waitcnt lgkmcnt(11)
	v_cndmask_b32_e64 v5, v5, -v5, s0
	s_waitcnt lgkmcnt(8)
	v_cndmask_b32_e64 v33, v33, -v33, s0
	s_waitcnt lgkmcnt(6)
	v_lshlrev_b32_e32 v35, 16, v35
	s_waitcnt lgkmcnt(5)
	v_cndmask_b32_e64 v36, v36, -v36, s0
	s_waitcnt lgkmcnt(4)
	v_lshlrev_b32_e32 v37, 16, v37
	v_lshlrev_b32_e32 v32, 16, v32
	;; [unrolled: 1-line block ×3, first 2 shown]
	s_waitcnt lgkmcnt(0)
	v_cndmask_b32_e64 v38, v38, -v38, s0
	s_delay_alu instid0(VALU_DEP_3) | instskip(SKIP_2) | instid1(VALU_DEP_2)
	v_mul_f32_e32 v5, v5, v32
	v_dual_mul_f32 v32, v33, v35 :: v_dual_lshlrev_b32 v33, 16, v40
	v_mul_f32_e32 v35, v36, v37
	v_dual_fmac_f32 v32, v28, v34 :: v_dual_lshlrev_b32 v31, 16, v31
	s_delay_alu instid0(VALU_DEP_2) | instskip(SKIP_1) | instid1(VALU_DEP_3)
	v_fmac_f32_e32 v35, v30, v33
	v_lshlrev_b32_e32 v39, 16, v39
	v_dual_fmac_f32 v5, v27, v31 :: v_dual_mov_b32 v28, v32
	s_delay_alu instid0(VALU_DEP_3) | instskip(NEXT) | instid1(VALU_DEP_3)
	v_mov_b32_e32 v30, v35
	v_dual_mul_f32 v37, v38, v39 :: v_dual_lshlrev_b32 v36, 16, v41
	s_delay_alu instid0(VALU_DEP_3) | instskip(NEXT) | instid1(VALU_DEP_2)
	v_mov_b32_e32 v27, v5
	v_fmac_f32_e32 v37, v29, v36
	s_delay_alu instid0(VALU_DEP_1)
	v_mov_b32_e32 v29, v37
	s_branch .LBB69_9
.LBB69_12:
	s_nop 0
	s_sendmsg sendmsg(MSG_DEALLOC_VGPRS)
	s_endpgm
	.section	.rodata,"a",@progbits
	.p2align	6, 0x0
	.amdhsa_kernel _ZN12tensorrt_llm7kernels32fusedQKNormRopeKernelNTokenHeadsIN3c104HalfENS2_8BFloat16ELi128ELb0ELi8EEEvPviiifPKvS7_S7_PKlii
		.amdhsa_group_segment_fixed_size 0
		.amdhsa_private_segment_fixed_size 0
		.amdhsa_kernarg_size 320
		.amdhsa_user_sgpr_count 15
		.amdhsa_user_sgpr_dispatch_ptr 0
		.amdhsa_user_sgpr_queue_ptr 0
		.amdhsa_user_sgpr_kernarg_segment_ptr 1
		.amdhsa_user_sgpr_dispatch_id 0
		.amdhsa_user_sgpr_private_segment_size 0
		.amdhsa_wavefront_size32 1
		.amdhsa_uses_dynamic_stack 0
		.amdhsa_enable_private_segment 0
		.amdhsa_system_sgpr_workgroup_id_x 1
		.amdhsa_system_sgpr_workgroup_id_y 0
		.amdhsa_system_sgpr_workgroup_id_z 0
		.amdhsa_system_sgpr_workgroup_info 0
		.amdhsa_system_vgpr_workitem_id 0
		.amdhsa_next_free_vgpr 42
		.amdhsa_next_free_sgpr 21
		.amdhsa_reserve_vcc 1
		.amdhsa_float_round_mode_32 0
		.amdhsa_float_round_mode_16_64 0
		.amdhsa_float_denorm_mode_32 3
		.amdhsa_float_denorm_mode_16_64 3
		.amdhsa_dx10_clamp 1
		.amdhsa_ieee_mode 1
		.amdhsa_fp16_overflow 0
		.amdhsa_workgroup_processor_mode 1
		.amdhsa_memory_ordered 1
		.amdhsa_forward_progress 0
		.amdhsa_shared_vgpr_count 0
		.amdhsa_exception_fp_ieee_invalid_op 0
		.amdhsa_exception_fp_denorm_src 0
		.amdhsa_exception_fp_ieee_div_zero 0
		.amdhsa_exception_fp_ieee_overflow 0
		.amdhsa_exception_fp_ieee_underflow 0
		.amdhsa_exception_fp_ieee_inexact 0
		.amdhsa_exception_int_div_zero 0
	.end_amdhsa_kernel
	.section	.text._ZN12tensorrt_llm7kernels32fusedQKNormRopeKernelNTokenHeadsIN3c104HalfENS2_8BFloat16ELi128ELb0ELi8EEEvPviiifPKvS7_S7_PKlii,"axG",@progbits,_ZN12tensorrt_llm7kernels32fusedQKNormRopeKernelNTokenHeadsIN3c104HalfENS2_8BFloat16ELi128ELb0ELi8EEEvPviiifPKvS7_S7_PKlii,comdat
.Lfunc_end69:
	.size	_ZN12tensorrt_llm7kernels32fusedQKNormRopeKernelNTokenHeadsIN3c104HalfENS2_8BFloat16ELi128ELb0ELi8EEEvPviiifPKvS7_S7_PKlii, .Lfunc_end69-_ZN12tensorrt_llm7kernels32fusedQKNormRopeKernelNTokenHeadsIN3c104HalfENS2_8BFloat16ELi128ELb0ELi8EEEvPviiifPKvS7_S7_PKlii
                                        ; -- End function
	.section	.AMDGPU.csdata,"",@progbits
; Kernel info:
; codeLenInByte = 2300
; NumSgprs: 23
; NumVgprs: 42
; ScratchSize: 0
; MemoryBound: 0
; FloatMode: 240
; IeeeMode: 1
; LDSByteSize: 0 bytes/workgroup (compile time only)
; SGPRBlocks: 2
; VGPRBlocks: 5
; NumSGPRsForWavesPerEU: 23
; NumVGPRsForWavesPerEU: 42
; Occupancy: 16
; WaveLimiterHint : 0
; COMPUTE_PGM_RSRC2:SCRATCH_EN: 0
; COMPUTE_PGM_RSRC2:USER_SGPR: 15
; COMPUTE_PGM_RSRC2:TRAP_HANDLER: 0
; COMPUTE_PGM_RSRC2:TGID_X_EN: 1
; COMPUTE_PGM_RSRC2:TGID_Y_EN: 0
; COMPUTE_PGM_RSRC2:TGID_Z_EN: 0
; COMPUTE_PGM_RSRC2:TIDIG_COMP_CNT: 0
	.section	.text._ZN12tensorrt_llm7kernels32fusedQKNormRopeKernelNTokenHeadsIN3c104HalfENS2_8BFloat16ELi256ELb1ELi8EEEvPviiifPKvS7_S7_PKlii,"axG",@progbits,_ZN12tensorrt_llm7kernels32fusedQKNormRopeKernelNTokenHeadsIN3c104HalfENS2_8BFloat16ELi256ELb1ELi8EEEvPviiifPKvS7_S7_PKlii,comdat
	.protected	_ZN12tensorrt_llm7kernels32fusedQKNormRopeKernelNTokenHeadsIN3c104HalfENS2_8BFloat16ELi256ELb1ELi8EEEvPviiifPKvS7_S7_PKlii ; -- Begin function _ZN12tensorrt_llm7kernels32fusedQKNormRopeKernelNTokenHeadsIN3c104HalfENS2_8BFloat16ELi256ELb1ELi8EEEvPviiifPKvS7_S7_PKlii
	.globl	_ZN12tensorrt_llm7kernels32fusedQKNormRopeKernelNTokenHeadsIN3c104HalfENS2_8BFloat16ELi256ELb1ELi8EEEvPviiifPKvS7_S7_PKlii
	.p2align	8
	.type	_ZN12tensorrt_llm7kernels32fusedQKNormRopeKernelNTokenHeadsIN3c104HalfENS2_8BFloat16ELi256ELb1ELi8EEEvPviiifPKvS7_S7_PKlii,@function
_ZN12tensorrt_llm7kernels32fusedQKNormRopeKernelNTokenHeadsIN3c104HalfENS2_8BFloat16ELi256ELb1ELi8EEEvPviiifPKvS7_S7_PKlii: ; @_ZN12tensorrt_llm7kernels32fusedQKNormRopeKernelNTokenHeadsIN3c104HalfENS2_8BFloat16ELi256ELb1ELi8EEEvPviiifPKvS7_S7_PKlii
; %bb.0:
	s_clause 0x1
	s_load_b128 s[16:19], s[0:1], 0x8
	s_load_b64 s[2:3], s[0:1], 0x38
	s_waitcnt lgkmcnt(0)
	s_add_i32 s4, s17, s16
	s_delay_alu instid0(SALU_CYCLE_1) | instskip(NEXT) | instid1(SALU_CYCLE_1)
	s_add_i32 s5, s4, 7
	s_ashr_i32 s6, s5, 31
	s_delay_alu instid0(SALU_CYCLE_1) | instskip(NEXT) | instid1(SALU_CYCLE_1)
	s_lshr_b32 s6, s6, 29
	s_add_i32 s5, s5, s6
	s_delay_alu instid0(SALU_CYCLE_1) | instskip(SKIP_2) | instid1(SALU_CYCLE_1)
	s_ashr_i32 s14, s5, 3
	s_load_b32 s5, s[0:1], 0x4c
	s_abs_i32 s6, s14
	v_cvt_f32_u32_e32 v1, s6
	s_sub_i32 s7, 0, s6
	s_delay_alu instid0(VALU_DEP_1) | instskip(SKIP_4) | instid1(VALU_DEP_1)
	v_rcp_iflag_f32_e32 v1, v1
	s_waitcnt_depctr 0xfff
	v_mul_f32_e32 v1, 0x4f7ffffe, v1
	s_waitcnt lgkmcnt(0)
	s_bfe_u32 s5, s5, 0xb0005
	v_cvt_u32_f32_e32 v4, v1
	v_lshrrev_b32_e32 v1, 5, v0
	s_delay_alu instid0(VALU_DEP_2) | instskip(NEXT) | instid1(VALU_DEP_2)
	v_mul_lo_u32 v5, s7, v4
	v_mad_u64_u32 v[2:3], null, s15, s5, v[1:2]
	s_delay_alu instid0(VALU_DEP_2) | instskip(NEXT) | instid1(VALU_DEP_2)
	v_mul_hi_u32 v3, v4, v5
	v_sub_nc_u32_e32 v5, 0, v2
	s_delay_alu instid0(VALU_DEP_1) | instskip(NEXT) | instid1(VALU_DEP_3)
	v_max_i32_e32 v5, v2, v5
	v_add_nc_u32_e32 v3, v4, v3
	s_delay_alu instid0(VALU_DEP_1) | instskip(NEXT) | instid1(VALU_DEP_1)
	v_mul_hi_u32 v3, v5, v3
	v_mul_lo_u32 v4, v3, s6
	s_delay_alu instid0(VALU_DEP_1) | instskip(SKIP_1) | instid1(VALU_DEP_2)
	v_sub_nc_u32_e32 v4, v5, v4
	v_add_nc_u32_e32 v5, 1, v3
	v_subrev_nc_u32_e32 v6, s6, v4
	v_cmp_le_u32_e32 vcc_lo, s6, v4
	s_delay_alu instid0(VALU_DEP_2) | instskip(SKIP_1) | instid1(VALU_DEP_2)
	v_dual_cndmask_b32 v4, v4, v6 :: v_dual_cndmask_b32 v3, v3, v5
	v_xor_b32_e32 v5, s14, v2
	v_cmp_le_u32_e32 vcc_lo, s6, v4
	s_delay_alu instid0(VALU_DEP_3) | instskip(NEXT) | instid1(VALU_DEP_3)
	v_add_nc_u32_e32 v6, 1, v3
	v_ashrrev_i32_e32 v5, 31, v5
	s_delay_alu instid0(VALU_DEP_2) | instskip(NEXT) | instid1(VALU_DEP_1)
	v_cndmask_b32_e32 v3, v3, v6, vcc_lo
	v_xor_b32_e32 v3, v3, v5
	s_delay_alu instid0(VALU_DEP_1) | instskip(NEXT) | instid1(VALU_DEP_1)
	v_sub_nc_u32_e32 v4, v3, v5
	v_cmp_gt_i32_e32 vcc_lo, s2, v4
	s_and_saveexec_b32 s2, vcc_lo
	s_cbranch_execz .LBB70_12
; %bb.1:
	v_mul_lo_u32 v3, v4, s14
	s_load_b64 s[12:13], s[0:1], 0x0
	v_and_b32_e32 v14, 31, v0
	v_lshlrev_b32_e32 v12, 12, v1
	v_lshlrev_b32_e32 v15, 11, v2
	s_lshl_b32 s20, s3, 1
	s_delay_alu instid0(VALU_DEP_3) | instskip(SKIP_2) | instid1(VALU_DEP_1)
	v_lshlrev_b32_e32 v13, 4, v14
	v_sub_nc_u32_e32 v3, v2, v3
	s_mul_i32 s15, s20, s5
	v_lshlrev_b32_e32 v6, 3, v3
	s_delay_alu instid0(VALU_DEP_1) | instskip(SKIP_1) | instid1(VALU_DEP_2)
	v_add_nc_u32_e32 v3, 8, v6
	v_sub_nc_u32_e32 v5, s4, v6
	v_cmp_lt_i32_e32 vcc_lo, s4, v3
	s_delay_alu instid0(VALU_DEP_2) | instskip(NEXT) | instid1(VALU_DEP_1)
	v_cndmask_b32_e32 v7, 8, v5, vcc_lo
	v_cmp_lt_i32_e32 vcc_lo, 0, v7
	s_and_saveexec_b32 s4, vcc_lo
	s_cbranch_execz .LBB70_4
; %bb.2:
	s_add_i32 s2, s18, s17
	s_lshl_b32 s5, s14, 3
	s_add_i32 s2, s2, s16
	s_mov_b32 s6, 0
	s_sub_i32 s2, s2, s5
	s_mov_b32 s5, 0
	v_mul_lo_u32 v2, s2, v4
	s_add_i32 s2, s15, 0
	s_delay_alu instid0(SALU_CYCLE_1) | instskip(NEXT) | instid1(VALU_DEP_2)
	v_add3_u32 v5, s2, v12, v13
	v_lshl_add_u32 v2, v2, 8, v15
	s_delay_alu instid0(VALU_DEP_1)
	v_lshl_or_b32 v2, v14, 3, v2
	.p2align	6
.LBB70_3:                               ; =>This Inner Loop Header: Depth=1
	s_delay_alu instid0(VALU_DEP_1) | instskip(SKIP_1) | instid1(VALU_DEP_1)
	v_ashrrev_i32_e32 v3, 31, v2
	s_add_i32 s6, s6, 1
	v_lshlrev_b64 v[8:9], 1, v[2:3]
	v_add_nc_u32_e32 v2, 0x100, v2
	s_waitcnt lgkmcnt(0)
	s_delay_alu instid0(VALU_DEP_2) | instskip(NEXT) | instid1(VALU_DEP_1)
	v_add_co_u32 v8, s2, s12, v8
	v_add_co_ci_u32_e64 v9, s2, s13, v9, s2
	v_cmp_ge_i32_e64 s2, s6, v7
	global_load_b128 v[8:11], v[8:9], off
	s_or_b32 s5, s2, s5
	s_waitcnt vmcnt(0)
	ds_store_b128 v5, v[8:11]
	v_add_nc_u32_e32 v5, 0x200, v5
	s_and_not1_b32 exec_lo, exec_lo, s5
	s_cbranch_execnz .LBB70_3
.LBB70_4:
	s_or_b32 exec_lo, exec_lo, s4
	s_load_b256 s[4:11], s[0:1], 0x18
	v_mul_lo_u32 v1, v1, s3
	s_add_i32 s0, s20, 15
	s_mov_b32 s20, exec_lo
	s_ashr_i32 s1, s0, 31
	s_delay_alu instid0(SALU_CYCLE_1) | instskip(NEXT) | instid1(SALU_CYCLE_1)
	s_lshr_b32 s1, s1, 28
	s_add_i32 s0, s0, s1
	s_delay_alu instid0(VALU_DEP_1) | instskip(SKIP_1) | instid1(SALU_CYCLE_1)
	v_lshlrev_b32_e32 v16, 1, v1
	s_ashr_i32 s2, s0, 4
	v_cmpx_gt_i32_e64 s2, v14
	s_cbranch_execz .LBB70_7
; %bb.5:
	v_ashrrev_i32_e32 v5, 31, v4
	s_delay_alu instid0(VALU_DEP_1) | instskip(SKIP_1) | instid1(VALU_DEP_1)
	v_lshlrev_b64 v[1:2], 3, v[4:5]
	s_waitcnt lgkmcnt(0)
	v_add_co_u32 v1, s0, s10, v1
	s_delay_alu instid0(VALU_DEP_1)
	v_add_co_ci_u32_e64 v2, s0, s11, v2, s0
	s_ashr_i32 s0, s3, 31
	global_load_b64 v[1:2], v[1:2], off
	s_waitcnt vmcnt(0)
	v_mul_lo_u32 v5, v2, s3
	v_mul_lo_u32 v8, v1, s0
	v_mad_u64_u32 v[2:3], null, v1, s3, 0
	s_delay_alu instid0(VALU_DEP_1) | instskip(SKIP_1) | instid1(VALU_DEP_2)
	v_add3_u32 v3, v3, v8, v5
	v_and_b32_e32 v5, 31, v0
	v_lshlrev_b64 v[0:1], 1, v[2:3]
	s_delay_alu instid0(VALU_DEP_2) | instskip(NEXT) | instid1(VALU_DEP_1)
	v_dual_mov_b32 v3, v14 :: v_dual_lshlrev_b32 v2, 4, v5
	v_add_co_u32 v0, s0, v0, v2
	s_delay_alu instid0(VALU_DEP_1) | instskip(SKIP_1) | instid1(VALU_DEP_3)
	v_add_co_ci_u32_e64 v1, s0, 0, v1, s0
	v_add3_u32 v2, v16, v13, 0
	v_add_co_u32 v0, s0, s8, v0
	s_delay_alu instid0(VALU_DEP_1)
	v_add_co_ci_u32_e64 v1, s0, s9, v1, s0
	s_mov_b32 s8, 0
	.p2align	6
.LBB70_6:                               ; =>This Inner Loop Header: Depth=1
	global_load_b128 v[8:11], v[0:1], off
	v_add_nc_u32_e32 v3, 32, v3
	v_add_co_u32 v0, s0, 0x200, v0
	s_delay_alu instid0(VALU_DEP_1) | instskip(NEXT) | instid1(VALU_DEP_3)
	v_add_co_ci_u32_e64 v1, s0, 0, v1, s0
	v_cmp_le_i32_e64 s1, s2, v3
	s_delay_alu instid0(VALU_DEP_1)
	s_or_b32 s8, s1, s8
	s_waitcnt vmcnt(0)
	ds_store_b128 v2, v[8:11]
	v_add_nc_u32_e32 v2, 0x200, v2
	s_and_not1_b32 exec_lo, exec_lo, s8
	s_cbranch_execnz .LBB70_6
.LBB70_7:
	s_or_b32 exec_lo, exec_lo, s20
	s_delay_alu instid0(SALU_CYCLE_1)
	s_and_b32 exec_lo, exec_lo, vcc_lo
	s_cbranch_execz .LBB70_12
; %bb.8:
	s_waitcnt lgkmcnt(0)
	s_clause 0x5
	global_load_b32 v8, v13, s[6:7] offset:2
	global_load_b64 v[0:1], v13, s[4:5] offset:8
	global_load_u16 v9, v13, s[4:5]
	global_load_u16 v10, v13, s[6:7]
	global_load_b32 v11, v13, s[4:5] offset:2
	global_load_b64 v[2:3], v13, s[6:7] offset:8
	v_mbcnt_lo_u32_b32 v17, -1, 0
	s_lshr_b32 s0, s3, 31
	s_ashr_i32 s1, s3, 31
	s_add_i32 s0, s3, s0
	s_lshr_b32 s1, s1, 29
	v_xor_b32_e32 v19, 16, v17
	v_lshlrev_b32_e32 v5, 3, v14
	v_xor_b32_e32 v20, 8, v17
	v_add_nc_u32_e32 v18, s15, v12
	v_xor_b32_e32 v21, 4, v17
	v_xor_b32_e32 v22, 2, v17
	v_add3_u32 v12, 0, v16, v5
	s_add_i32 s2, s18, s17
	v_xor_b32_e32 v23, 1, v17
	s_add_i32 s2, s2, s16
	s_clause 0x1
	global_load_d16_hi_b16 v9, v13, s[4:5] offset:6
	global_load_d16_hi_b16 v10, v13, s[6:7] offset:6
	s_and_b32 s5, s0, -2
	s_add_i32 s0, s3, s1
	v_add3_u32 v13, v18, v13, 0
	s_ashr_i32 s0, s0, 3
	s_lshl_b32 s4, s14, 3
	v_cmp_gt_i32_e32 vcc_lo, s0, v14
	v_cmp_gt_i32_e64 s0, 32, v19
	s_sub_i32 s1, s2, s4
	v_add_nc_u32_e32 v14, s5, v12
	v_mul_lo_u32 v4, s1, v4
	s_waitcnt vmcnt(6)
	v_lshrrev_b32_e32 v24, 16, v1
	v_cndmask_b32_e64 v16, v17, v19, s0
	v_cmp_gt_i32_e64 s0, 32, v20
	s_waitcnt vmcnt(2)
	v_lshrrev_b32_e32 v27, 16, v3
	s_mov_b32 s2, 0
	s_mov_b32 s3, 0
	v_cndmask_b32_e64 v18, v17, v20, s0
	v_cmp_gt_i32_e64 s0, 32, v21
	v_lshl_add_u32 v4, v4, 8, v15
	v_lshlrev_b32_e32 v15, 2, v16
	s_delay_alu instid0(VALU_DEP_4) | instskip(NEXT) | instid1(VALU_DEP_4)
	v_lshlrev_b32_e32 v16, 2, v18
	v_cndmask_b32_e64 v19, v17, v21, s0
	v_cmp_gt_i32_e64 s0, 32, v22
	v_or_b32_e32 v4, v4, v5
	s_delay_alu instid0(VALU_DEP_2) | instskip(SKIP_2) | instid1(VALU_DEP_3)
	v_cndmask_b32_e64 v20, v17, v22, s0
	v_cmp_gt_i32_e64 s0, 32, v23
	v_lshrrev_b32_e32 v22, 16, v0
	v_lshlrev_b32_e32 v18, 2, v20
	s_delay_alu instid0(VALU_DEP_3) | instskip(SKIP_3) | instid1(VALU_DEP_4)
	v_cndmask_b32_e64 v21, v17, v23, s0
	v_lshlrev_b32_e32 v17, 2, v19
	v_lshrrev_b32_e32 v20, 16, v11
	v_lshrrev_b32_e32 v23, 16, v2
	v_lshlrev_b32_e32 v19, 2, v21
	v_lshrrev_b32_e32 v21, 16, v8
	s_waitcnt vmcnt(1)
	v_lshrrev_b32_e32 v25, 16, v9
	s_waitcnt vmcnt(0)
	v_lshrrev_b32_e32 v26, 16, v10
	s_branch .LBB70_10
.LBB70_9:                               ;   in Loop: Header=BB70_10 Depth=1
	s_or_b32 exec_lo, exec_lo, s0
	v_ashrrev_i32_e32 v5, 31, v4
	v_cvt_f16_f32_e32 v36, v30
	v_cvt_f16_f32_e32 v37, v31
	;; [unrolled: 1-line block ×4, first 2 shown]
	v_lshlrev_b64 v[30:31], 1, v[4:5]
	v_cvt_f16_f32_e32 v5, v34
	v_cvt_f16_f32_e32 v28, v28
	;; [unrolled: 1-line block ×4, first 2 shown]
	s_add_i32 s3, s3, 1
	v_add_co_u32 v32, s0, s12, v30
	s_delay_alu instid0(VALU_DEP_1)
	v_add_co_ci_u32_e64 v33, s0, s13, v31, s0
	v_cmp_ge_i32_e64 s0, s3, v7
	v_pack_b32_f16 v31, v34, v29
	v_pack_b32_f16 v30, v5, v28
	;; [unrolled: 1-line block ×4, first 2 shown]
	v_add_nc_u32_e32 v4, 0x100, v4
	v_add_nc_u32_e32 v13, 0x200, v13
	s_or_b32 s2, s0, s2
	global_store_b128 v[32:33], v[28:31], off
	s_and_not1_b32 exec_lo, exec_lo, s2
	s_cbranch_execz .LBB70_12
.LBB70_10:                              ; =>This Inner Loop Header: Depth=1
	ds_load_b128 v[28:31], v13
	s_waitcnt lgkmcnt(0)
	v_lshrrev_b32_e32 v5, 16, v28
	v_lshrrev_b32_e32 v41, 16, v29
	;; [unrolled: 1-line block ×3, first 2 shown]
	v_cvt_f32_f16_e32 v44, v31
	s_delay_alu instid0(VALU_DEP_4) | instskip(NEXT) | instid1(VALU_DEP_3)
	v_cvt_f32_f16_e32 v5, v5
	v_cvt_f32_f16_e32 v42, v42
	s_delay_alu instid0(VALU_DEP_2) | instskip(NEXT) | instid1(VALU_DEP_1)
	v_mul_f32_e32 v32, v5, v5
	v_fma_mix_f32 v32, v28, v28, v32 op_sel_hi:[1,1,0]
	v_cvt_f32_f16_e32 v28, v28
	s_delay_alu instid0(VALU_DEP_2) | instskip(NEXT) | instid1(VALU_DEP_1)
	v_fma_mix_f32 v32, v29, v29, v32 op_sel_hi:[1,1,0]
	v_fma_mix_f32 v32, v29, v29, v32 op_sel:[1,1,0] op_sel_hi:[1,1,0]
	v_cvt_f32_f16_e32 v29, v29
	s_delay_alu instid0(VALU_DEP_2) | instskip(NEXT) | instid1(VALU_DEP_1)
	v_fma_mix_f32 v32, v30, v30, v32 op_sel_hi:[1,1,0]
	v_fma_mix_f32 v32, v30, v30, v32 op_sel:[1,1,0] op_sel_hi:[1,1,0]
	s_delay_alu instid0(VALU_DEP_1) | instskip(NEXT) | instid1(VALU_DEP_1)
	v_fma_mix_f32 v32, v31, v31, v32 op_sel_hi:[1,1,0]
	v_fma_mix_f32 v32, v31, v31, v32 op_sel:[1,1,0] op_sel_hi:[1,1,0]
	v_lshrrev_b32_e32 v31, 16, v30
	ds_bpermute_b32 v33, v15, v32
	s_waitcnt lgkmcnt(0)
	v_add_f32_e32 v32, v32, v33
	ds_bpermute_b32 v33, v16, v32
	s_waitcnt lgkmcnt(0)
	v_add_f32_e32 v32, v32, v33
	;; [unrolled: 3-line block ×5, first 2 shown]
	s_delay_alu instid0(VALU_DEP_1) | instskip(NEXT) | instid1(VALU_DEP_1)
	v_fma_f32 v32, 0x3b800000, v32, s19
	v_dual_mul_f32 v35, 0x4b800000, v32 :: v_dual_add_nc_u32 v34, s3, v6
	v_cmp_gt_f32_e64 s1, 0x800000, v32
	s_delay_alu instid0(VALU_DEP_2) | instskip(NEXT) | instid1(VALU_DEP_2)
	v_cmp_gt_i32_e64 s0, s16, v34
	v_cndmask_b32_e64 v32, v32, v35, s1
	s_delay_alu instid0(VALU_DEP_2)
	v_cndmask_b32_e64 v34, v8, v11, s0
	v_cndmask_b32_e64 v33, v21, v20, s0
	;; [unrolled: 1-line block ×4, first 2 shown]
	v_rsq_f32_e32 v32, v32
	v_cndmask_b32_e64 v35, v23, v22, s0
	v_cndmask_b32_e64 v38, v2, v0, s0
	;; [unrolled: 1-line block ×4, first 2 shown]
	v_cvt_f32_f16_e32 v34, v34
	v_cvt_f32_f16_e32 v33, v33
	;; [unrolled: 1-line block ×5, first 2 shown]
	v_mul_f32_e32 v43, 0x45800000, v32
	v_cvt_f32_f16_e32 v38, v38
	v_cvt_f32_f16_e32 v39, v39
	;; [unrolled: 1-line block ×3, first 2 shown]
	s_delay_alu instid0(VALU_DEP_4) | instskip(SKIP_3) | instid1(VALU_DEP_4)
	v_cndmask_b32_e64 v32, v32, v43, s1
	v_cvt_f32_f16_e32 v43, v30
	v_cvt_f32_f16_e32 v30, v41
	;; [unrolled: 1-line block ×3, first 2 shown]
	v_mul_f32_e32 v34, v32, v34
	v_mul_f32_e32 v38, v32, v38
	;; [unrolled: 1-line block ×7, first 2 shown]
	s_delay_alu instid0(VALU_DEP_4) | instskip(NEXT) | instid1(VALU_DEP_4)
	v_dual_mul_f32 v32, v32, v39 :: v_dual_mul_f32 v35, v37, v29
	v_dual_mul_f32 v33, v36, v30 :: v_dual_mul_f32 v30, v31, v28
	v_mul_f32_e32 v31, v34, v5
	s_delay_alu instid0(VALU_DEP_3)
	v_dual_mul_f32 v28, v45, v41 :: v_dual_mul_f32 v29, v32, v42
	v_mul_f32_e32 v34, v38, v43
	v_mul_f32_e32 v32, v40, v44
	s_and_saveexec_b32 s0, vcc_lo
	s_cbranch_execz .LBB70_9
; %bb.11:                               ;   in Loop: Header=BB70_10 Depth=1
	ds_load_b64 v[36:37], v12
	ds_load_b64 v[38:39], v14
	s_waitcnt lgkmcnt(0)
	v_and_b32_e32 v40, 0xffff0000, v38
	v_lshlrev_b32_e32 v41, 16, v37
	v_and_b32_e32 v5, 0xffff0000, v36
	v_and_b32_e32 v37, 0xffff0000, v37
	v_lshlrev_b32_e32 v38, 16, v38
	v_lshlrev_b32_e32 v42, 16, v39
	v_and_b32_e32 v39, 0xffff0000, v39
	s_delay_alu instid0(VALU_DEP_1) | instskip(SKIP_2) | instid1(VALU_DEP_2)
	v_mul_f32_e32 v46, v29, v39
	v_dual_mul_f32 v29, v29, v37 :: v_dual_lshlrev_b32 v36, 16, v36
	v_mul_f32_e32 v43, v31, v38
	v_mul_f32_e32 v31, v31, v36
	;; [unrolled: 1-line block ×4, first 2 shown]
	s_delay_alu instid0(VALU_DEP_4) | instskip(NEXT) | instid1(VALU_DEP_4)
	v_fma_f32 v36, v30, v36, -v43
	v_fmac_f32_e32 v31, v30, v38
	v_mul_f32_e32 v45, v28, v42
	v_mul_f32_e32 v28, v28, v41
	v_fmac_f32_e32 v40, v33, v5
	v_fma_f32 v35, v35, v5, -v44
	v_fmac_f32_e32 v29, v32, v39
	v_fma_f32 v5, v34, v41, -v45
	s_delay_alu instid0(VALU_DEP_4) | instskip(SKIP_2) | instid1(VALU_DEP_4)
	v_dual_fmac_f32 v28, v34, v42 :: v_dual_mov_b32 v33, v40
	v_fma_f32 v37, v32, v37, -v46
	v_mov_b32_e32 v30, v36
	v_mov_b32_e32 v34, v5
	s_delay_alu instid0(VALU_DEP_3)
	v_mov_b32_e32 v32, v37
	s_branch .LBB70_9
.LBB70_12:
	s_nop 0
	s_sendmsg sendmsg(MSG_DEALLOC_VGPRS)
	s_endpgm
	.section	.rodata,"a",@progbits
	.p2align	6, 0x0
	.amdhsa_kernel _ZN12tensorrt_llm7kernels32fusedQKNormRopeKernelNTokenHeadsIN3c104HalfENS2_8BFloat16ELi256ELb1ELi8EEEvPviiifPKvS7_S7_PKlii
		.amdhsa_group_segment_fixed_size 0
		.amdhsa_private_segment_fixed_size 0
		.amdhsa_kernarg_size 320
		.amdhsa_user_sgpr_count 15
		.amdhsa_user_sgpr_dispatch_ptr 0
		.amdhsa_user_sgpr_queue_ptr 0
		.amdhsa_user_sgpr_kernarg_segment_ptr 1
		.amdhsa_user_sgpr_dispatch_id 0
		.amdhsa_user_sgpr_private_segment_size 0
		.amdhsa_wavefront_size32 1
		.amdhsa_uses_dynamic_stack 0
		.amdhsa_enable_private_segment 0
		.amdhsa_system_sgpr_workgroup_id_x 1
		.amdhsa_system_sgpr_workgroup_id_y 0
		.amdhsa_system_sgpr_workgroup_id_z 0
		.amdhsa_system_sgpr_workgroup_info 0
		.amdhsa_system_vgpr_workitem_id 0
		.amdhsa_next_free_vgpr 47
		.amdhsa_next_free_sgpr 21
		.amdhsa_reserve_vcc 1
		.amdhsa_float_round_mode_32 0
		.amdhsa_float_round_mode_16_64 0
		.amdhsa_float_denorm_mode_32 3
		.amdhsa_float_denorm_mode_16_64 3
		.amdhsa_dx10_clamp 1
		.amdhsa_ieee_mode 1
		.amdhsa_fp16_overflow 0
		.amdhsa_workgroup_processor_mode 1
		.amdhsa_memory_ordered 1
		.amdhsa_forward_progress 0
		.amdhsa_shared_vgpr_count 0
		.amdhsa_exception_fp_ieee_invalid_op 0
		.amdhsa_exception_fp_denorm_src 0
		.amdhsa_exception_fp_ieee_div_zero 0
		.amdhsa_exception_fp_ieee_overflow 0
		.amdhsa_exception_fp_ieee_underflow 0
		.amdhsa_exception_fp_ieee_inexact 0
		.amdhsa_exception_int_div_zero 0
	.end_amdhsa_kernel
	.section	.text._ZN12tensorrt_llm7kernels32fusedQKNormRopeKernelNTokenHeadsIN3c104HalfENS2_8BFloat16ELi256ELb1ELi8EEEvPviiifPKvS7_S7_PKlii,"axG",@progbits,_ZN12tensorrt_llm7kernels32fusedQKNormRopeKernelNTokenHeadsIN3c104HalfENS2_8BFloat16ELi256ELb1ELi8EEEvPviiifPKvS7_S7_PKlii,comdat
.Lfunc_end70:
	.size	_ZN12tensorrt_llm7kernels32fusedQKNormRopeKernelNTokenHeadsIN3c104HalfENS2_8BFloat16ELi256ELb1ELi8EEEvPviiifPKvS7_S7_PKlii, .Lfunc_end70-_ZN12tensorrt_llm7kernels32fusedQKNormRopeKernelNTokenHeadsIN3c104HalfENS2_8BFloat16ELi256ELb1ELi8EEEvPviiifPKvS7_S7_PKlii
                                        ; -- End function
	.section	.AMDGPU.csdata,"",@progbits
; Kernel info:
; codeLenInByte = 2060
; NumSgprs: 23
; NumVgprs: 47
; ScratchSize: 0
; MemoryBound: 0
; FloatMode: 240
; IeeeMode: 1
; LDSByteSize: 0 bytes/workgroup (compile time only)
; SGPRBlocks: 2
; VGPRBlocks: 5
; NumSGPRsForWavesPerEU: 23
; NumVGPRsForWavesPerEU: 47
; Occupancy: 16
; WaveLimiterHint : 0
; COMPUTE_PGM_RSRC2:SCRATCH_EN: 0
; COMPUTE_PGM_RSRC2:USER_SGPR: 15
; COMPUTE_PGM_RSRC2:TRAP_HANDLER: 0
; COMPUTE_PGM_RSRC2:TGID_X_EN: 1
; COMPUTE_PGM_RSRC2:TGID_Y_EN: 0
; COMPUTE_PGM_RSRC2:TGID_Z_EN: 0
; COMPUTE_PGM_RSRC2:TIDIG_COMP_CNT: 0
	.section	.text._ZN12tensorrt_llm7kernels32fusedQKNormRopeKernelNTokenHeadsIN3c104HalfENS2_8BFloat16ELi256ELb0ELi8EEEvPviiifPKvS7_S7_PKlii,"axG",@progbits,_ZN12tensorrt_llm7kernels32fusedQKNormRopeKernelNTokenHeadsIN3c104HalfENS2_8BFloat16ELi256ELb0ELi8EEEvPviiifPKvS7_S7_PKlii,comdat
	.protected	_ZN12tensorrt_llm7kernels32fusedQKNormRopeKernelNTokenHeadsIN3c104HalfENS2_8BFloat16ELi256ELb0ELi8EEEvPviiifPKvS7_S7_PKlii ; -- Begin function _ZN12tensorrt_llm7kernels32fusedQKNormRopeKernelNTokenHeadsIN3c104HalfENS2_8BFloat16ELi256ELb0ELi8EEEvPviiifPKvS7_S7_PKlii
	.globl	_ZN12tensorrt_llm7kernels32fusedQKNormRopeKernelNTokenHeadsIN3c104HalfENS2_8BFloat16ELi256ELb0ELi8EEEvPviiifPKvS7_S7_PKlii
	.p2align	8
	.type	_ZN12tensorrt_llm7kernels32fusedQKNormRopeKernelNTokenHeadsIN3c104HalfENS2_8BFloat16ELi256ELb0ELi8EEEvPviiifPKvS7_S7_PKlii,@function
_ZN12tensorrt_llm7kernels32fusedQKNormRopeKernelNTokenHeadsIN3c104HalfENS2_8BFloat16ELi256ELb0ELi8EEEvPviiifPKvS7_S7_PKlii: ; @_ZN12tensorrt_llm7kernels32fusedQKNormRopeKernelNTokenHeadsIN3c104HalfENS2_8BFloat16ELi256ELb0ELi8EEEvPviiifPKvS7_S7_PKlii
; %bb.0:
	s_clause 0x1
	s_load_b128 s[16:19], s[0:1], 0x8
	s_load_b64 s[2:3], s[0:1], 0x38
	s_waitcnt lgkmcnt(0)
	s_add_i32 s4, s17, s16
	s_delay_alu instid0(SALU_CYCLE_1) | instskip(NEXT) | instid1(SALU_CYCLE_1)
	s_add_i32 s5, s4, 7
	s_ashr_i32 s6, s5, 31
	s_delay_alu instid0(SALU_CYCLE_1) | instskip(NEXT) | instid1(SALU_CYCLE_1)
	s_lshr_b32 s6, s6, 29
	s_add_i32 s5, s5, s6
	s_delay_alu instid0(SALU_CYCLE_1) | instskip(SKIP_2) | instid1(SALU_CYCLE_1)
	s_ashr_i32 s14, s5, 3
	s_load_b32 s5, s[0:1], 0x4c
	s_abs_i32 s6, s14
	v_cvt_f32_u32_e32 v1, s6
	s_sub_i32 s7, 0, s6
	s_delay_alu instid0(VALU_DEP_1) | instskip(SKIP_4) | instid1(VALU_DEP_1)
	v_rcp_iflag_f32_e32 v1, v1
	s_waitcnt_depctr 0xfff
	v_mul_f32_e32 v1, 0x4f7ffffe, v1
	s_waitcnt lgkmcnt(0)
	s_bfe_u32 s5, s5, 0xb0005
	v_cvt_u32_f32_e32 v4, v1
	v_lshrrev_b32_e32 v1, 5, v0
	s_delay_alu instid0(VALU_DEP_2) | instskip(NEXT) | instid1(VALU_DEP_2)
	v_mul_lo_u32 v5, s7, v4
	v_mad_u64_u32 v[2:3], null, s15, s5, v[1:2]
	s_delay_alu instid0(VALU_DEP_2) | instskip(NEXT) | instid1(VALU_DEP_2)
	v_mul_hi_u32 v3, v4, v5
	v_sub_nc_u32_e32 v5, 0, v2
	s_delay_alu instid0(VALU_DEP_1) | instskip(NEXT) | instid1(VALU_DEP_3)
	v_max_i32_e32 v5, v2, v5
	v_add_nc_u32_e32 v3, v4, v3
	s_delay_alu instid0(VALU_DEP_1) | instskip(NEXT) | instid1(VALU_DEP_1)
	v_mul_hi_u32 v3, v5, v3
	v_mul_lo_u32 v4, v3, s6
	s_delay_alu instid0(VALU_DEP_1) | instskip(SKIP_1) | instid1(VALU_DEP_2)
	v_sub_nc_u32_e32 v4, v5, v4
	v_add_nc_u32_e32 v5, 1, v3
	v_subrev_nc_u32_e32 v6, s6, v4
	v_cmp_le_u32_e32 vcc_lo, s6, v4
	s_delay_alu instid0(VALU_DEP_2) | instskip(SKIP_1) | instid1(VALU_DEP_2)
	v_dual_cndmask_b32 v4, v4, v6 :: v_dual_cndmask_b32 v3, v3, v5
	v_xor_b32_e32 v5, s14, v2
	v_cmp_le_u32_e32 vcc_lo, s6, v4
	s_delay_alu instid0(VALU_DEP_3) | instskip(NEXT) | instid1(VALU_DEP_3)
	v_add_nc_u32_e32 v6, 1, v3
	v_ashrrev_i32_e32 v5, 31, v5
	s_delay_alu instid0(VALU_DEP_2) | instskip(NEXT) | instid1(VALU_DEP_1)
	v_cndmask_b32_e32 v3, v3, v6, vcc_lo
	v_xor_b32_e32 v3, v3, v5
	s_delay_alu instid0(VALU_DEP_1) | instskip(NEXT) | instid1(VALU_DEP_1)
	v_sub_nc_u32_e32 v8, v3, v5
	v_cmp_gt_i32_e32 vcc_lo, s2, v8
	s_and_saveexec_b32 s2, vcc_lo
	s_cbranch_execz .LBB71_12
; %bb.1:
	v_mul_lo_u32 v3, v8, s14
	s_load_b64 s[12:13], s[0:1], 0x0
	v_and_b32_e32 v19, 31, v0
	v_lshlrev_b32_e32 v14, 12, v1
	v_lshlrev_b32_e32 v13, 11, v2
	s_lshl_b32 s20, s3, 1
	s_delay_alu instid0(VALU_DEP_3) | instskip(SKIP_2) | instid1(VALU_DEP_1)
	v_lshlrev_b32_e32 v12, 4, v19
	v_sub_nc_u32_e32 v3, v2, v3
	s_mul_i32 s15, s20, s5
	v_lshlrev_b32_e32 v10, 3, v3
	s_delay_alu instid0(VALU_DEP_1) | instskip(SKIP_1) | instid1(VALU_DEP_2)
	v_add_nc_u32_e32 v3, 8, v10
	v_sub_nc_u32_e32 v4, s4, v10
	v_cmp_lt_i32_e32 vcc_lo, s4, v3
	s_delay_alu instid0(VALU_DEP_2) | instskip(NEXT) | instid1(VALU_DEP_1)
	v_cndmask_b32_e32 v11, 8, v4, vcc_lo
	v_cmp_lt_i32_e32 vcc_lo, 0, v11
	s_and_saveexec_b32 s4, vcc_lo
	s_cbranch_execz .LBB71_4
; %bb.2:
	s_add_i32 s2, s18, s17
	s_lshl_b32 s5, s14, 3
	s_add_i32 s2, s2, s16
	s_mov_b32 s6, 0
	s_sub_i32 s2, s2, s5
	s_mov_b32 s5, 0
	v_mul_lo_u32 v2, s2, v8
	s_add_i32 s2, s15, 0
	s_delay_alu instid0(SALU_CYCLE_1) | instskip(NEXT) | instid1(VALU_DEP_2)
	v_add3_u32 v4, s2, v14, v12
	v_lshl_add_u32 v2, v2, 8, v13
	s_delay_alu instid0(VALU_DEP_1)
	v_lshl_or_b32 v2, v19, 3, v2
	.p2align	6
.LBB71_3:                               ; =>This Inner Loop Header: Depth=1
	s_delay_alu instid0(VALU_DEP_1) | instskip(SKIP_1) | instid1(VALU_DEP_1)
	v_ashrrev_i32_e32 v3, 31, v2
	s_add_i32 s6, s6, 1
	v_lshlrev_b64 v[5:6], 1, v[2:3]
	v_add_nc_u32_e32 v2, 0x100, v2
	s_waitcnt lgkmcnt(0)
	s_delay_alu instid0(VALU_DEP_2) | instskip(NEXT) | instid1(VALU_DEP_1)
	v_add_co_u32 v5, s2, s12, v5
	v_add_co_ci_u32_e64 v6, s2, s13, v6, s2
	v_cmp_ge_i32_e64 s2, s6, v11
	global_load_b128 v[15:18], v[5:6], off
	s_or_b32 s5, s2, s5
	s_waitcnt vmcnt(0)
	ds_store_b128 v4, v[15:18]
	v_add_nc_u32_e32 v4, 0x200, v4
	s_and_not1_b32 exec_lo, exec_lo, s5
	s_cbranch_execnz .LBB71_3
.LBB71_4:
	s_or_b32 exec_lo, exec_lo, s4
	s_load_b256 s[4:11], s[0:1], 0x18
	s_add_i32 s0, s20, 15
	v_mul_lo_u32 v15, v1, s3
	s_ashr_i32 s1, s0, 31
	s_mov_b32 s20, exec_lo
	s_lshr_b32 s1, s1, 28
	s_delay_alu instid0(SALU_CYCLE_1) | instskip(NEXT) | instid1(SALU_CYCLE_1)
	s_add_i32 s0, s0, s1
	s_ashr_i32 s2, s0, 4
	s_delay_alu instid0(SALU_CYCLE_1)
	v_cmpx_gt_i32_e64 s2, v19
	s_cbranch_execz .LBB71_7
; %bb.5:
	v_ashrrev_i32_e32 v9, 31, v8
	s_delay_alu instid0(VALU_DEP_1) | instskip(SKIP_1) | instid1(VALU_DEP_1)
	v_lshlrev_b64 v[1:2], 3, v[8:9]
	s_waitcnt lgkmcnt(0)
	v_add_co_u32 v1, s0, s10, v1
	s_delay_alu instid0(VALU_DEP_1)
	v_add_co_ci_u32_e64 v2, s0, s11, v2, s0
	s_ashr_i32 s0, s3, 31
	global_load_b64 v[1:2], v[1:2], off
	s_waitcnt vmcnt(0)
	v_mul_lo_u32 v4, v2, s3
	v_mul_lo_u32 v5, v1, s0
	v_mad_u64_u32 v[2:3], null, v1, s3, 0
	s_delay_alu instid0(VALU_DEP_1) | instskip(SKIP_1) | instid1(VALU_DEP_2)
	v_add3_u32 v3, v3, v5, v4
	v_and_b32_e32 v4, 31, v0
	v_lshlrev_b64 v[0:1], 1, v[2:3]
	s_delay_alu instid0(VALU_DEP_2) | instskip(SKIP_1) | instid1(VALU_DEP_2)
	v_lshlrev_b32_e32 v2, 4, v4
	v_lshlrev_b32_e32 v3, 1, v15
	v_add_co_u32 v0, s0, v0, v2
	s_delay_alu instid0(VALU_DEP_1) | instskip(NEXT) | instid1(VALU_DEP_3)
	v_add_co_ci_u32_e64 v1, s0, 0, v1, s0
	v_add3_u32 v2, v3, v12, 0
	v_mov_b32_e32 v3, v19
	s_delay_alu instid0(VALU_DEP_4) | instskip(NEXT) | instid1(VALU_DEP_1)
	v_add_co_u32 v0, s0, s8, v0
	v_add_co_ci_u32_e64 v1, s0, s9, v1, s0
	s_mov_b32 s8, 0
	.p2align	6
.LBB71_6:                               ; =>This Inner Loop Header: Depth=1
	global_load_b128 v[4:7], v[0:1], off
	v_add_nc_u32_e32 v3, 32, v3
	v_add_co_u32 v0, s0, 0x200, v0
	s_delay_alu instid0(VALU_DEP_1) | instskip(NEXT) | instid1(VALU_DEP_3)
	v_add_co_ci_u32_e64 v1, s0, 0, v1, s0
	v_cmp_le_i32_e64 s1, s2, v3
	s_delay_alu instid0(VALU_DEP_1)
	s_or_b32 s8, s1, s8
	s_waitcnt vmcnt(0)
	ds_store_b128 v2, v[4:7]
	v_add_nc_u32_e32 v2, 0x200, v2
	s_and_not1_b32 exec_lo, exec_lo, s8
	s_cbranch_execnz .LBB71_6
.LBB71_7:
	s_or_b32 exec_lo, exec_lo, s20
	s_delay_alu instid0(SALU_CYCLE_1)
	s_and_b32 exec_lo, exec_lo, vcc_lo
	s_cbranch_execz .LBB71_12
; %bb.8:
	s_waitcnt lgkmcnt(0)
	s_clause 0x1
	global_load_b128 v[0:3], v12, s[4:5]
	global_load_b128 v[4:7], v12, s[6:7]
	s_abs_i32 s2, s3
	v_add_nc_u32_e32 v43, s15, v14
	v_cvt_f32_u32_e32 v14, s2
	v_lshl_add_u32 v9, v15, 1, 0
	v_mbcnt_lo_u32_b32 v15, -1, 0
	s_lshr_b32 s0, s3, 31
	s_ashr_i32 s1, s3, 31
	v_rcp_iflag_f32_e32 v14, v14
	s_add_i32 s0, s3, s0
	s_lshr_b32 s6, s1, 29
	s_lshr_b32 s1, s1, 28
	v_xor_b32_e32 v16, 16, v15
	s_and_b32 s0, s0, -2
	s_add_i32 s6, s3, s6
	s_add_i32 s1, s3, s1
	s_sub_i32 s7, 0, s2
	v_add_nc_u32_e32 v34, s0, v9
	s_waitcnt_depctr 0xfff
	v_mul_f32_e32 v14, 0x4f7ffffe, v14
	s_ashr_i32 s0, s6, 3
	s_ashr_i32 s1, s1, 4
	v_xor_b32_e32 v17, 8, v15
	v_cmp_gt_i32_e32 vcc_lo, s0, v19
	v_cvt_u32_f32_e32 v29, v14
	v_xor_b32_e32 v14, s1, v15
	v_cmp_gt_i32_e64 s0, s1, v19
	v_cmp_gt_i32_e64 s1, 32, v16
	s_add_i32 s4, s18, s17
	v_mul_lo_u32 v30, s7, v29
	s_lshl_b32 s5, s14, 3
	s_add_i32 s4, s4, s16
	v_xor_b32_e32 v18, 4, v15
	s_sub_i32 s3, s4, s5
	v_cndmask_b32_e64 v16, v15, v16, s1
	v_cmp_gt_i32_e64 s1, 32, v17
	v_mul_lo_u32 v8, s3, v8
	v_mul_hi_u32 v30, v29, v30
	v_xor_b32_e32 v27, 2, v15
	v_xor_b32_e32 v28, 1, v15
	v_cndmask_b32_e64 v17, v15, v17, s1
	v_cmp_gt_i32_e64 s1, 32, v18
	v_or_b32_e32 v20, 2, v12
	v_or_b32_e32 v21, 4, v12
	v_lshl_add_u32 v8, v8, 8, v13
	v_lshlrev_b32_e32 v13, 2, v16
	v_cndmask_b32_e64 v18, v15, v18, s1
	v_cmp_gt_i32_e64 s1, 32, v27
	v_add_nc_u32_e32 v29, v29, v30
	v_lshl_or_b32 v8, v19, 3, v8
	v_or_b32_e32 v22, 6, v12
	v_or_b32_e32 v23, 8, v12
	v_cndmask_b32_e64 v27, v15, v27, s1
	v_cmp_gt_i32_e64 s1, 32, v28
	v_mul_hi_u32 v19, v12, v29
	v_or_b32_e32 v24, 10, v12
	v_or_b32_e32 v25, 12, v12
	v_lshlrev_b32_e32 v16, 2, v27
	v_cndmask_b32_e64 v28, v15, v28, s1
	v_cmp_gt_i32_e64 s1, 32, v14
	v_mul_hi_u32 v27, v20, v29
	v_or_b32_e32 v26, 14, v12
	v_mul_lo_u32 v19, v19, s2
	v_mul_hi_u32 v30, v22, v29
	v_cndmask_b32_e64 v31, v15, v14, s1
	v_lshlrev_b32_e32 v14, 2, v17
	v_lshlrev_b32_e32 v17, 2, v28
	v_mul_hi_u32 v28, v21, v29
	v_mul_lo_u32 v27, v27, s2
	v_lshlrev_b32_e32 v15, 2, v18
	v_lshlrev_b32_e32 v18, 2, v31
	v_mul_hi_u32 v31, v23, v29
	v_mul_hi_u32 v32, v24, v29
	;; [unrolled: 1-line block ×4, first 2 shown]
	v_sub_nc_u32_e32 v19, v12, v19
	v_mul_lo_u32 v28, v28, s2
	v_sub_nc_u32_e32 v20, v20, v27
	v_mul_lo_u32 v30, v30, s2
	v_mul_lo_u32 v31, v31, s2
	v_subrev_nc_u32_e32 v27, s2, v19
	v_cmp_le_u32_e64 s1, s2, v19
	v_mul_lo_u32 v29, v29, s2
	v_mul_lo_u32 v32, v32, s2
	v_sub_nc_u32_e32 v21, v21, v28
	v_subrev_nc_u32_e32 v28, s2, v20
	v_cndmask_b32_e64 v19, v19, v27, s1
	v_cmp_le_u32_e64 s1, s2, v20
	v_sub_nc_u32_e32 v22, v22, v30
	v_sub_nc_u32_e32 v23, v23, v31
	;; [unrolled: 1-line block ×3, first 2 shown]
	v_subrev_nc_u32_e32 v29, s2, v21
	v_cndmask_b32_e64 v20, v20, v28, s1
	v_cmp_le_u32_e64 s1, s2, v21
	v_subrev_nc_u32_e32 v30, s2, v22
	v_mul_lo_u32 v33, v33, s2
	v_sub_nc_u32_e32 v24, v24, v32
	v_subrev_nc_u32_e32 v31, s2, v23
	v_cndmask_b32_e64 v21, v21, v29, s1
	v_cmp_le_u32_e64 s1, s2, v22
	v_subrev_nc_u32_e32 v35, s2, v26
	v_subrev_nc_u32_e32 v32, s2, v24
	v_subrev_nc_u32_e32 v27, s2, v19
	v_sub_nc_u32_e32 v25, v25, v33
	v_cndmask_b32_e64 v22, v22, v30, s1
	v_cmp_le_u32_e64 s1, s2, v23
	v_subrev_nc_u32_e32 v28, s2, v20
	v_subrev_nc_u32_e32 v29, s2, v21
	;; [unrolled: 1-line block ×4, first 2 shown]
	v_cndmask_b32_e64 v23, v23, v31, s1
	v_cmp_le_u32_e64 s1, s2, v24
	v_add3_u32 v12, v43, v12, 0
	s_mov_b32 s3, 0
	s_mov_b32 s4, 0
	v_subrev_nc_u32_e32 v31, s2, v23
	v_cndmask_b32_e64 v24, v24, v32, s1
	v_cmp_le_u32_e64 s1, s2, v25
	s_delay_alu instid0(VALU_DEP_2) | instskip(NEXT) | instid1(VALU_DEP_2)
	v_subrev_nc_u32_e32 v32, s2, v24
	v_cndmask_b32_e64 v25, v25, v33, s1
	v_cmp_le_u32_e64 s1, s2, v26
	s_delay_alu instid0(VALU_DEP_2) | instskip(NEXT) | instid1(VALU_DEP_2)
	;; [unrolled: 4-line block ×4, first 2 shown]
	v_and_b32_e32 v27, -2, v19
	v_cndmask_b32_e64 v20, v20, v28, s1
	v_cmp_le_u32_e64 s1, s2, v21
	s_delay_alu instid0(VALU_DEP_3) | instskip(NEXT) | instid1(VALU_DEP_3)
	v_add_nc_u32_e32 v19, v9, v27
	v_and_b32_e32 v28, -2, v20
	s_delay_alu instid0(VALU_DEP_3) | instskip(SKIP_2) | instid1(VALU_DEP_3)
	v_cndmask_b32_e64 v21, v21, v29, s1
	v_cmp_le_u32_e64 s1, s2, v22
	v_add_nc_u32_e32 v20, v34, v27
	v_and_b32_e32 v29, -2, v21
	s_delay_alu instid0(VALU_DEP_3) | instskip(SKIP_2) | instid1(VALU_DEP_3)
	v_cndmask_b32_e64 v22, v22, v30, s1
	v_cmp_le_u32_e64 s1, s2, v23
	;; [unrolled: 5-line block ×3, first 2 shown]
	v_add_nc_u32_e32 v22, v34, v28
	v_and_b32_e32 v31, -2, v23
	s_delay_alu instid0(VALU_DEP_3) | instskip(SKIP_2) | instid1(VALU_DEP_4)
	v_cndmask_b32_e64 v24, v24, v32, s1
	v_cmp_le_u32_e64 s1, s2, v25
	v_add_nc_u32_e32 v23, v9, v29
	v_add_nc_u32_e32 v27, v9, v31
	s_delay_alu instid0(VALU_DEP_4) | instskip(NEXT) | instid1(VALU_DEP_4)
	v_and_b32_e32 v32, -2, v24
	v_cndmask_b32_e64 v25, v25, v33, s1
	v_cmp_le_u32_e64 s1, s2, v26
	v_add_nc_u32_e32 v24, v34, v29
	v_add_nc_u32_e32 v28, v34, v31
	;; [unrolled: 1-line block ×3, first 2 shown]
	v_and_b32_e32 v33, -2, v25
	v_cndmask_b32_e64 v26, v26, v35, s1
	v_add_nc_u32_e32 v25, v9, v30
	s_delay_alu instid0(VALU_DEP_3) | instskip(NEXT) | instid1(VALU_DEP_3)
	v_add_nc_u32_e32 v31, v9, v33
	v_and_b32_e32 v35, -2, v26
	v_add_nc_u32_e32 v26, v34, v30
	v_add_nc_u32_e32 v30, v34, v32
	;; [unrolled: 1-line block ×3, first 2 shown]
	s_delay_alu instid0(VALU_DEP_4)
	v_add_nc_u32_e32 v33, v9, v35
	v_add_nc_u32_e32 v34, v34, v35
	s_waitcnt vmcnt(1)
	v_lshrrev_b32_e32 v35, 16, v0
	v_lshrrev_b32_e32 v36, 16, v1
	;; [unrolled: 1-line block ×4, first 2 shown]
	s_waitcnt vmcnt(0)
	v_lshrrev_b32_e32 v39, 16, v4
	v_lshrrev_b32_e32 v40, 16, v5
	;; [unrolled: 1-line block ×4, first 2 shown]
	s_branch .LBB71_10
.LBB71_9:                               ;   in Loop: Header=BB71_10 Depth=1
	s_or_b32 exec_lo, exec_lo, s1
	v_ashrrev_i32_e32 v9, 31, v8
	v_cvt_f16_f32_e32 v51, v48
	v_cvt_f16_f32_e32 v52, v47
	;; [unrolled: 1-line block ×4, first 2 shown]
	v_lshlrev_b64 v[47:48], 1, v[8:9]
	v_cvt_f16_f32_e32 v9, v44
	v_cvt_f16_f32_e32 v44, v45
	;; [unrolled: 1-line block ×4, first 2 shown]
	s_add_i32 s4, s4, 1
	v_add_co_u32 v47, s1, s12, v47
	s_delay_alu instid0(VALU_DEP_1)
	v_add_co_ci_u32_e64 v48, s1, s13, v48, s1
	v_cmp_ge_i32_e64 s1, s4, v11
	v_pack_b32_f16 v46, v45, v43
	v_pack_b32_f16 v45, v9, v44
	;; [unrolled: 1-line block ×4, first 2 shown]
	v_add_nc_u32_e32 v8, 0x100, v8
	v_add_nc_u32_e32 v12, 0x200, v12
	s_or_b32 s3, s1, s3
	global_store_b128 v[47:48], v[43:46], off
	s_and_not1_b32 exec_lo, exec_lo, s3
	s_cbranch_execz .LBB71_12
.LBB71_10:                              ; =>This Inner Loop Header: Depth=1
	ds_load_b128 v[43:46], v12
	v_add_nc_u32_e32 v49, s4, v10
	s_delay_alu instid0(VALU_DEP_1) | instskip(NEXT) | instid1(VALU_DEP_1)
	v_cmp_gt_i32_e64 s1, s16, v49
	v_cndmask_b32_e64 v50, v39, v35, s1
	v_cndmask_b32_e64 v52, v40, v36, s1
	;; [unrolled: 1-line block ×5, first 2 shown]
	v_cvt_f32_f16_e32 v50, v50
	v_cndmask_b32_e64 v55, v42, v38, s1
	v_cvt_f32_f16_e32 v52, v52
	v_cvt_f32_f16_e32 v51, v51
	s_waitcnt lgkmcnt(0)
	v_lshrrev_b32_e32 v9, 16, v43
	v_cvt_f32_f16_e32 v56, v44
	v_lshrrev_b32_e32 v59, 16, v46
	v_cvt_f32_f16_e32 v53, v53
	v_cvt_f32_f16_e32 v54, v54
	;; [unrolled: 1-line block ×5, first 2 shown]
	s_delay_alu instid0(VALU_DEP_3) | instskip(NEXT) | instid1(VALU_DEP_1)
	v_mul_f32_e32 v47, v9, v9
	v_fma_mix_f32 v47, v43, v43, v47 op_sel_hi:[1,1,0]
	v_cvt_f32_f16_e32 v43, v43
	s_delay_alu instid0(VALU_DEP_2) | instskip(NEXT) | instid1(VALU_DEP_1)
	v_fma_mix_f32 v47, v44, v44, v47 op_sel_hi:[1,1,0]
	v_fma_mix_f32 v47, v44, v44, v47 op_sel:[1,1,0] op_sel_hi:[1,1,0]
	v_lshrrev_b32_e32 v44, 16, v44
	s_delay_alu instid0(VALU_DEP_2) | instskip(NEXT) | instid1(VALU_DEP_2)
	v_fma_mix_f32 v47, v45, v45, v47 op_sel_hi:[1,1,0]
	v_cvt_f32_f16_e32 v44, v44
	s_delay_alu instid0(VALU_DEP_2) | instskip(SKIP_1) | instid1(VALU_DEP_2)
	v_fma_mix_f32 v47, v45, v45, v47 op_sel:[1,1,0] op_sel_hi:[1,1,0]
	v_lshrrev_b32_e32 v45, 16, v45
	v_fma_mix_f32 v47, v46, v46, v47 op_sel_hi:[1,1,0]
	s_delay_alu instid0(VALU_DEP_2) | instskip(NEXT) | instid1(VALU_DEP_2)
	v_cvt_f32_f16_e32 v45, v45
	v_fma_mix_f32 v47, v46, v46, v47 op_sel:[1,1,0] op_sel_hi:[1,1,0]
	v_cvt_f32_f16_e32 v46, v46
	ds_bpermute_b32 v48, v13, v47
	s_waitcnt lgkmcnt(0)
	v_add_f32_e32 v47, v47, v48
	ds_bpermute_b32 v48, v14, v47
	s_waitcnt lgkmcnt(0)
	v_add_f32_e32 v47, v47, v48
	;; [unrolled: 3-line block ×5, first 2 shown]
	v_cndmask_b32_e64 v48, v4, v0, s1
	s_delay_alu instid0(VALU_DEP_2) | instskip(NEXT) | instid1(VALU_DEP_2)
	v_fma_f32 v47, 0x3b800000, v47, s19
	v_cvt_f32_f16_e32 v48, v48
	s_delay_alu instid0(VALU_DEP_2) | instskip(SKIP_1) | instid1(VALU_DEP_1)
	v_mul_f32_e32 v49, 0x4b800000, v47
	v_cmp_gt_f32_e64 s2, 0x800000, v47
	v_cndmask_b32_e64 v47, v47, v49, s2
	v_cndmask_b32_e64 v49, v6, v2, s1
	s_delay_alu instid0(VALU_DEP_2) | instskip(NEXT) | instid1(VALU_DEP_1)
	v_rsq_f32_e32 v47, v47
	v_cvt_f32_f16_e32 v49, v49
	s_waitcnt_depctr 0xfff
	v_mul_f32_e32 v57, 0x45800000, v47
	s_delay_alu instid0(VALU_DEP_1) | instskip(SKIP_1) | instid1(VALU_DEP_2)
	v_cndmask_b32_e64 v47, v47, v57, s2
	v_cvt_f32_f16_e32 v57, v59
	v_mul_f32_e32 v52, v47, v52
	v_mul_f32_e32 v48, v47, v48
	;; [unrolled: 1-line block ×6, first 2 shown]
	v_dual_mul_f32 v54, v47, v54 :: v_dual_mul_f32 v49, v48, v43
	v_dual_mul_f32 v55, v47, v55 :: v_dual_mul_f32 v50, v50, v9
	v_mul_f32_e32 v48, v51, v56
	v_dual_mul_f32 v47, v52, v44 :: v_dual_mul_f32 v44, v59, v58
	s_delay_alu instid0(VALU_DEP_4) | instskip(NEXT) | instid1(VALU_DEP_4)
	v_dual_mul_f32 v45, v53, v45 :: v_dual_mul_f32 v46, v54, v46
	v_mul_f32_e32 v43, v55, v57
	s_and_saveexec_b32 s1, vcc_lo
	s_cbranch_execz .LBB71_9
; %bb.11:                               ;   in Loop: Header=BB71_10 Depth=1
	; wave barrier
	ds_bpermute_b32 v9, v18, v49
	ds_load_u16 v51, v19
	ds_load_u16 v52, v20
	ds_bpermute_b32 v53, v18, v50
	ds_load_u16 v54, v21
	ds_load_u16 v55, v22
	;; [unrolled: 1-line block ×4, first 2 shown]
	ds_bpermute_b32 v56, v18, v48
	ds_bpermute_b32 v59, v18, v47
	ds_load_u16 v60, v25
	ds_load_u16 v61, v26
	ds_bpermute_b32 v62, v18, v44
	ds_load_u16 v63, v27
	ds_load_u16 v64, v28
	;; [unrolled: 1-line block ×8, first 2 shown]
	ds_bpermute_b32 v65, v18, v43
	; wave barrier
	s_waitcnt lgkmcnt(21)
	v_cndmask_b32_e64 v9, v9, -v9, s0
	s_waitcnt lgkmcnt(19)
	v_lshlrev_b32_e32 v52, 16, v52
	s_waitcnt lgkmcnt(18)
	v_cndmask_b32_e64 v53, v53, -v53, s0
	s_waitcnt lgkmcnt(16)
	v_lshlrev_b32_e32 v55, 16, v55
	v_lshlrev_b32_e32 v54, 16, v54
	s_waitcnt lgkmcnt(13)
	v_cndmask_b32_e64 v56, v56, -v56, s0
	v_mul_f32_e32 v9, v9, v52
	v_dual_mul_f32 v52, v53, v55 :: v_dual_lshlrev_b32 v53, 16, v57
	ds_bpermute_b32 v55, v18, v45
	ds_bpermute_b32 v57, v18, v46
	v_dual_fmac_f32 v52, v50, v54 :: v_dual_lshlrev_b32 v51, 16, v51
	s_waitcnt lgkmcnt(14)
	v_cndmask_b32_e64 v50, v59, -v59, s0
	s_waitcnt lgkmcnt(11)
	v_cndmask_b32_e64 v54, v62, -v62, s0
	;; [unrolled: 2-line block ×3, first 2 shown]
	v_fmac_f32_e32 v9, v49, v51
	v_dual_mul_f32 v51, v56, v53 :: v_dual_lshlrev_b32 v56, 16, v64
	s_delay_alu instid0(VALU_DEP_1) | instskip(NEXT) | instid1(VALU_DEP_1)
	v_dual_mul_f32 v54, v54, v56 :: v_dual_lshlrev_b32 v53, 16, v61
	v_dual_mul_f32 v53, v50, v53 :: v_dual_lshlrev_b32 v56, 16, v67
	s_waitcnt lgkmcnt(1)
	v_cndmask_b32_e64 v50, v55, -v55, s0
	v_lshlrev_b32_e32 v49, 16, v58
	s_waitcnt lgkmcnt(0)
	v_cndmask_b32_e64 v57, v57, -v57, s0
	s_delay_alu instid0(VALU_DEP_2) | instskip(SKIP_4) | instid1(VALU_DEP_4)
	v_dual_mul_f32 v56, v50, v56 :: v_dual_fmac_f32 v51, v48, v49
	v_lshlrev_b32_e32 v48, 16, v60
	v_lshlrev_b32_e32 v60, 16, v71
	;; [unrolled: 1-line block ×4, first 2 shown]
	v_fmac_f32_e32 v53, v47, v48
	s_delay_alu instid0(VALU_DEP_4) | instskip(NEXT) | instid1(VALU_DEP_4)
	v_mul_f32_e32 v59, v59, v60
	v_mul_f32_e32 v57, v57, v58
	v_lshlrev_b32_e32 v58, 16, v70
	v_lshlrev_b32_e32 v50, 16, v68
	v_dual_mov_b32 v48, v51 :: v_dual_mov_b32 v47, v53
	s_delay_alu instid0(VALU_DEP_3) | instskip(NEXT) | instid1(VALU_DEP_3)
	v_fmac_f32_e32 v59, v43, v58
	v_dual_fmac_f32 v57, v46, v50 :: v_dual_mov_b32 v50, v52
	v_dual_fmac_f32 v54, v44, v49 :: v_dual_lshlrev_b32 v55, 16, v66
	v_mov_b32_e32 v49, v9
	s_delay_alu instid0(VALU_DEP_3) | instskip(NEXT) | instid1(VALU_DEP_3)
	v_dual_mov_b32 v46, v57 :: v_dual_mov_b32 v43, v59
	v_fmac_f32_e32 v56, v45, v55
	s_delay_alu instid0(VALU_DEP_1)
	v_dual_mov_b32 v44, v54 :: v_dual_mov_b32 v45, v56
	s_branch .LBB71_9
.LBB71_12:
	s_nop 0
	s_sendmsg sendmsg(MSG_DEALLOC_VGPRS)
	s_endpgm
	.section	.rodata,"a",@progbits
	.p2align	6, 0x0
	.amdhsa_kernel _ZN12tensorrt_llm7kernels32fusedQKNormRopeKernelNTokenHeadsIN3c104HalfENS2_8BFloat16ELi256ELb0ELi8EEEvPviiifPKvS7_S7_PKlii
		.amdhsa_group_segment_fixed_size 0
		.amdhsa_private_segment_fixed_size 0
		.amdhsa_kernarg_size 320
		.amdhsa_user_sgpr_count 15
		.amdhsa_user_sgpr_dispatch_ptr 0
		.amdhsa_user_sgpr_queue_ptr 0
		.amdhsa_user_sgpr_kernarg_segment_ptr 1
		.amdhsa_user_sgpr_dispatch_id 0
		.amdhsa_user_sgpr_private_segment_size 0
		.amdhsa_wavefront_size32 1
		.amdhsa_uses_dynamic_stack 0
		.amdhsa_enable_private_segment 0
		.amdhsa_system_sgpr_workgroup_id_x 1
		.amdhsa_system_sgpr_workgroup_id_y 0
		.amdhsa_system_sgpr_workgroup_id_z 0
		.amdhsa_system_sgpr_workgroup_info 0
		.amdhsa_system_vgpr_workitem_id 0
		.amdhsa_next_free_vgpr 72
		.amdhsa_next_free_sgpr 21
		.amdhsa_reserve_vcc 1
		.amdhsa_float_round_mode_32 0
		.amdhsa_float_round_mode_16_64 0
		.amdhsa_float_denorm_mode_32 3
		.amdhsa_float_denorm_mode_16_64 3
		.amdhsa_dx10_clamp 1
		.amdhsa_ieee_mode 1
		.amdhsa_fp16_overflow 0
		.amdhsa_workgroup_processor_mode 1
		.amdhsa_memory_ordered 1
		.amdhsa_forward_progress 0
		.amdhsa_shared_vgpr_count 0
		.amdhsa_exception_fp_ieee_invalid_op 0
		.amdhsa_exception_fp_denorm_src 0
		.amdhsa_exception_fp_ieee_div_zero 0
		.amdhsa_exception_fp_ieee_overflow 0
		.amdhsa_exception_fp_ieee_underflow 0
		.amdhsa_exception_fp_ieee_inexact 0
		.amdhsa_exception_int_div_zero 0
	.end_amdhsa_kernel
	.section	.text._ZN12tensorrt_llm7kernels32fusedQKNormRopeKernelNTokenHeadsIN3c104HalfENS2_8BFloat16ELi256ELb0ELi8EEEvPviiifPKvS7_S7_PKlii,"axG",@progbits,_ZN12tensorrt_llm7kernels32fusedQKNormRopeKernelNTokenHeadsIN3c104HalfENS2_8BFloat16ELi256ELb0ELi8EEEvPviiifPKvS7_S7_PKlii,comdat
.Lfunc_end71:
	.size	_ZN12tensorrt_llm7kernels32fusedQKNormRopeKernelNTokenHeadsIN3c104HalfENS2_8BFloat16ELi256ELb0ELi8EEEvPviiifPKvS7_S7_PKlii, .Lfunc_end71-_ZN12tensorrt_llm7kernels32fusedQKNormRopeKernelNTokenHeadsIN3c104HalfENS2_8BFloat16ELi256ELb0ELi8EEEvPviiifPKvS7_S7_PKlii
                                        ; -- End function
	.section	.AMDGPU.csdata,"",@progbits
; Kernel info:
; codeLenInByte = 3040
; NumSgprs: 23
; NumVgprs: 72
; ScratchSize: 0
; MemoryBound: 0
; FloatMode: 240
; IeeeMode: 1
; LDSByteSize: 0 bytes/workgroup (compile time only)
; SGPRBlocks: 2
; VGPRBlocks: 8
; NumSGPRsForWavesPerEU: 23
; NumVGPRsForWavesPerEU: 72
; Occupancy: 16
; WaveLimiterHint : 0
; COMPUTE_PGM_RSRC2:SCRATCH_EN: 0
; COMPUTE_PGM_RSRC2:USER_SGPR: 15
; COMPUTE_PGM_RSRC2:TRAP_HANDLER: 0
; COMPUTE_PGM_RSRC2:TGID_X_EN: 1
; COMPUTE_PGM_RSRC2:TGID_Y_EN: 0
; COMPUTE_PGM_RSRC2:TGID_Z_EN: 0
; COMPUTE_PGM_RSRC2:TIDIG_COMP_CNT: 0
	.section	.text._ZN12tensorrt_llm7kernels21fusedQKNormRopeKernelIN3c108BFloat16EfLi64ELb1EEEvPviiifPKvS6_S6_PKlii,"axG",@progbits,_ZN12tensorrt_llm7kernels21fusedQKNormRopeKernelIN3c108BFloat16EfLi64ELb1EEEvPviiifPKvS6_S6_PKlii,comdat
	.protected	_ZN12tensorrt_llm7kernels21fusedQKNormRopeKernelIN3c108BFloat16EfLi64ELb1EEEvPviiifPKvS6_S6_PKlii ; -- Begin function _ZN12tensorrt_llm7kernels21fusedQKNormRopeKernelIN3c108BFloat16EfLi64ELb1EEEvPviiifPKvS6_S6_PKlii
	.globl	_ZN12tensorrt_llm7kernels21fusedQKNormRopeKernelIN3c108BFloat16EfLi64ELb1EEEvPviiifPKvS6_S6_PKlii
	.p2align	8
	.type	_ZN12tensorrt_llm7kernels21fusedQKNormRopeKernelIN3c108BFloat16EfLi64ELb1EEEvPviiifPKvS6_S6_PKlii,@function
_ZN12tensorrt_llm7kernels21fusedQKNormRopeKernelIN3c108BFloat16EfLi64ELb1EEEvPviiifPKvS6_S6_PKlii: ; @_ZN12tensorrt_llm7kernels21fusedQKNormRopeKernelIN3c108BFloat16EfLi64ELb1EEEvPviiifPKvS6_S6_PKlii
; %bb.0:
	s_clause 0x2
	s_load_b128 s[8:11], s[0:1], 0x8
	s_load_b64 s[12:13], s[0:1], 0x38
	s_load_b32 s4, s[0:1], 0x4c
	v_lshrrev_b32_e32 v3, 5, v0
	s_waitcnt lgkmcnt(0)
	s_add_i32 s2, s9, s8
	s_bfe_u32 s4, s4, 0xb0005
	s_abs_i32 s3, s2
	s_delay_alu instid0(SALU_CYCLE_1) | instskip(SKIP_1) | instid1(VALU_DEP_1)
	v_cvt_f32_u32_e32 v1, s3
	s_sub_i32 s5, 0, s3
	v_rcp_iflag_f32_e32 v1, v1
	s_waitcnt_depctr 0xfff
	v_mul_f32_e32 v1, 0x4f7ffffe, v1
	s_delay_alu instid0(VALU_DEP_1) | instskip(NEXT) | instid1(VALU_DEP_1)
	v_cvt_u32_f32_e32 v4, v1
	v_mul_lo_u32 v5, s5, v4
	v_mad_u64_u32 v[1:2], null, s15, s4, v[3:4]
	s_delay_alu instid0(VALU_DEP_2) | instskip(NEXT) | instid1(VALU_DEP_2)
	v_mul_hi_u32 v2, v4, v5
	v_sub_nc_u32_e32 v3, 0, v1
	s_delay_alu instid0(VALU_DEP_1) | instskip(NEXT) | instid1(VALU_DEP_3)
	v_max_i32_e32 v3, v1, v3
	v_add_nc_u32_e32 v2, v4, v2
	s_delay_alu instid0(VALU_DEP_1) | instskip(NEXT) | instid1(VALU_DEP_1)
	v_mul_hi_u32 v2, v3, v2
	v_mul_lo_u32 v4, v2, s3
	s_delay_alu instid0(VALU_DEP_1) | instskip(NEXT) | instid1(VALU_DEP_1)
	v_sub_nc_u32_e32 v3, v3, v4
	v_subrev_nc_u32_e32 v5, s3, v3
	v_cmp_le_u32_e32 vcc_lo, s3, v3
	s_delay_alu instid0(VALU_DEP_2) | instskip(NEXT) | instid1(VALU_DEP_1)
	v_dual_cndmask_b32 v3, v3, v5 :: v_dual_add_nc_u32 v4, 1, v2
	v_cndmask_b32_e32 v2, v2, v4, vcc_lo
	v_xor_b32_e32 v4, s2, v1
	s_delay_alu instid0(VALU_DEP_3) | instskip(NEXT) | instid1(VALU_DEP_3)
	v_cmp_le_u32_e32 vcc_lo, s3, v3
	v_add_nc_u32_e32 v5, 1, v2
	s_delay_alu instid0(VALU_DEP_3) | instskip(SKIP_1) | instid1(VALU_DEP_2)
	v_ashrrev_i32_e32 v4, 31, v4
	s_mov_b32 s3, exec_lo
	v_cndmask_b32_e32 v2, v2, v5, vcc_lo
	s_delay_alu instid0(VALU_DEP_1) | instskip(NEXT) | instid1(VALU_DEP_1)
	v_xor_b32_e32 v2, v2, v4
	v_sub_nc_u32_e32 v2, v2, v4
	s_delay_alu instid0(VALU_DEP_1)
	v_cmpx_gt_i32_e64 s12, v2
	s_cbranch_execz .LBB72_12
; %bb.1:
	v_mul_lo_u32 v3, v2, s2
	s_add_i32 s2, s2, s10
	v_and_b32_e32 v7, 31, v0
	v_mul_lo_u32 v4, v2, s2
	s_load_b64 s[2:3], s[0:1], 0x0
	s_delay_alu instid0(VALU_DEP_3) | instskip(NEXT) | instid1(VALU_DEP_1)
	v_sub_nc_u32_e32 v1, v1, v3
	v_cmp_gt_i32_e32 vcc_lo, s8, v1
	v_cndmask_b32_e64 v3, s8, 0, vcc_lo
	s_delay_alu instid0(VALU_DEP_1) | instskip(SKIP_1) | instid1(VALU_DEP_2)
	v_sub_nc_u32_e32 v0, v1, v3
	v_lshlrev_b32_e32 v1, 1, v7
	v_add3_u32 v0, v4, v3, v0
	s_delay_alu instid0(VALU_DEP_1) | instskip(NEXT) | instid1(VALU_DEP_1)
	v_lshl_or_b32 v0, v0, 6, v1
	v_ashrrev_i32_e32 v1, 31, v0
	s_delay_alu instid0(VALU_DEP_1) | instskip(SKIP_1) | instid1(VALU_DEP_1)
	v_lshlrev_b64 v[0:1], 1, v[0:1]
	s_waitcnt lgkmcnt(0)
	v_add_co_u32 v0, s2, s2, v0
	s_delay_alu instid0(VALU_DEP_1)
	v_add_co_ci_u32_e64 v1, s2, s3, v1, s2
	s_load_b256 s[0:7], s[0:1], 0x18
	global_load_b32 v5, v[0:1], off
	s_waitcnt lgkmcnt(0)
	v_dual_mov_b32 v4, s1 :: v_dual_mov_b32 v3, s0
	v_lshlrev_b32_e32 v6, 2, v7
	s_lshr_b32 s0, s13, 31
	s_delay_alu instid0(VALU_DEP_2) | instskip(SKIP_1) | instid1(SALU_CYCLE_1)
	v_cndmask_b32_e32 v4, s3, v4, vcc_lo
	s_add_i32 s0, s13, s0
	s_ashr_i32 s0, s0, 1
	s_waitcnt vmcnt(0)
	v_lshlrev_b32_e32 v9, 16, v5
	v_cndmask_b32_e32 v3, s2, v3, vcc_lo
	v_and_b32_e32 v5, 0xffff0000, v5
	s_mov_b32 s2, exec_lo
	s_delay_alu instid0(VALU_DEP_3) | instskip(NEXT) | instid1(VALU_DEP_3)
	v_mul_f32_e32 v10, v9, v9
	v_add_co_u32 v3, vcc_lo, v3, v6
	v_add_co_ci_u32_e32 v4, vcc_lo, 0, v4, vcc_lo
	global_load_b32 v3, v[3:4], off
	v_mbcnt_lo_u32_b32 v4, -1, 0
	s_delay_alu instid0(VALU_DEP_1) | instskip(SKIP_1) | instid1(VALU_DEP_2)
	v_xor_b32_e32 v8, 16, v4
	v_xor_b32_e32 v11, 8, v4
	v_cmp_gt_i32_e32 vcc_lo, 32, v8
	v_cndmask_b32_e32 v8, v4, v8, vcc_lo
	s_delay_alu instid0(VALU_DEP_3) | instskip(NEXT) | instid1(VALU_DEP_2)
	v_cmp_gt_i32_e32 vcc_lo, 32, v11
	v_dual_cndmask_b32 v11, v4, v11 :: v_dual_lshlrev_b32 v8, 2, v8
	s_delay_alu instid0(VALU_DEP_1)
	v_dual_fmac_f32 v10, v5, v5 :: v_dual_lshlrev_b32 v11, 2, v11
	ds_bpermute_b32 v8, v8, v10
	s_waitcnt lgkmcnt(0)
	v_add_f32_e32 v8, v10, v8
	ds_bpermute_b32 v10, v11, v8
	v_xor_b32_e32 v11, 4, v4
	s_delay_alu instid0(VALU_DEP_1) | instskip(SKIP_2) | instid1(VALU_DEP_1)
	v_cmp_gt_i32_e32 vcc_lo, 32, v11
	v_cndmask_b32_e32 v11, v4, v11, vcc_lo
	s_waitcnt lgkmcnt(0)
	v_dual_add_f32 v8, v8, v10 :: v_dual_lshlrev_b32 v11, 2, v11
	ds_bpermute_b32 v10, v11, v8
	v_xor_b32_e32 v11, 2, v4
	s_delay_alu instid0(VALU_DEP_1) | instskip(SKIP_2) | instid1(VALU_DEP_1)
	v_cmp_gt_i32_e32 vcc_lo, 32, v11
	v_cndmask_b32_e32 v11, v4, v11, vcc_lo
	s_waitcnt lgkmcnt(0)
	v_dual_add_f32 v8, v8, v10 :: v_dual_lshlrev_b32 v11, 2, v11
	ds_bpermute_b32 v10, v11, v8
	v_xor_b32_e32 v11, 1, v4
	s_delay_alu instid0(VALU_DEP_1) | instskip(SKIP_1) | instid1(VALU_DEP_1)
	v_cmp_gt_i32_e32 vcc_lo, 32, v11
	v_cndmask_b32_e32 v4, v4, v11, vcc_lo
	v_lshlrev_b32_e32 v4, 2, v4
	s_waitcnt lgkmcnt(0)
	v_add_f32_e32 v8, v8, v10
	v_mov_b32_e32 v10, s11
	ds_bpermute_b32 v4, v4, v8
	s_waitcnt lgkmcnt(0)
	v_add_f32_e32 v4, v8, v4
	s_delay_alu instid0(VALU_DEP_1) | instskip(NEXT) | instid1(VALU_DEP_1)
	v_fmamk_f32 v4, v4, 0x3c800000, v10
	v_cmp_gt_f32_e32 vcc_lo, 0x800000, v4
	s_waitcnt vmcnt(0)
	v_lshlrev_b32_e32 v10, 16, v3
	v_and_b32_e32 v3, 0xffff0000, v3
	v_mul_f32_e32 v8, 0x4b800000, v4
	s_delay_alu instid0(VALU_DEP_1) | instskip(NEXT) | instid1(VALU_DEP_1)
	v_cndmask_b32_e32 v4, v4, v8, vcc_lo
	v_rsq_f32_e32 v4, v4
	s_waitcnt_depctr 0xfff
	v_mul_f32_e32 v8, 0x45800000, v4
	s_delay_alu instid0(VALU_DEP_1) | instskip(NEXT) | instid1(VALU_DEP_1)
	v_cndmask_b32_e32 v4, v4, v8, vcc_lo
	v_mul_f32_e32 v3, v4, v3
	s_delay_alu instid0(VALU_DEP_1) | instskip(NEXT) | instid1(VALU_DEP_1)
	v_dual_mul_f32 v8, v4, v10 :: v_dual_mul_f32 v5, v3, v5
	v_mul_f32_e32 v4, v8, v9
	v_cmpx_gt_i32_e64 s0, v7
	s_cbranch_execz .LBB72_3
; %bb.2:
	v_ashrrev_i32_e32 v3, 31, v2
	s_ashr_i32 s1, s13, 31
	s_delay_alu instid0(VALU_DEP_1) | instskip(NEXT) | instid1(VALU_DEP_1)
	v_lshlrev_b64 v[2:3], 3, v[2:3]
	v_add_co_u32 v2, vcc_lo, s6, v2
	s_delay_alu instid0(VALU_DEP_2)
	v_add_co_ci_u32_e32 v3, vcc_lo, s7, v3, vcc_lo
	global_load_b64 v[2:3], v[2:3], off
	s_waitcnt vmcnt(0)
	v_mul_lo_u32 v3, v3, s13
	v_mul_lo_u32 v9, v2, s1
	v_mad_u64_u32 v[7:8], null, v2, s13, 0
	s_mov_b32 s1, 0
	s_delay_alu instid0(SALU_CYCLE_1) | instskip(NEXT) | instid1(VALU_DEP_1)
	s_lshl_b64 s[0:1], s[0:1], 2
	v_add3_u32 v8, v8, v9, v3
	s_delay_alu instid0(VALU_DEP_1) | instskip(NEXT) | instid1(VALU_DEP_1)
	v_lshlrev_b64 v[2:3], 2, v[7:8]
	v_add_co_u32 v2, vcc_lo, s4, v2
	s_delay_alu instid0(VALU_DEP_2) | instskip(NEXT) | instid1(VALU_DEP_2)
	v_add_co_ci_u32_e32 v3, vcc_lo, s5, v3, vcc_lo
	v_add_co_u32 v2, vcc_lo, v2, v6
	s_delay_alu instid0(VALU_DEP_2) | instskip(NEXT) | instid1(VALU_DEP_2)
	v_add_co_ci_u32_e32 v3, vcc_lo, 0, v3, vcc_lo
	v_add_co_u32 v6, vcc_lo, v2, s0
	s_delay_alu instid0(VALU_DEP_2)
	v_add_co_ci_u32_e32 v7, vcc_lo, s1, v3, vcc_lo
	s_clause 0x1
	global_load_b32 v6, v[6:7], off
	global_load_b32 v7, v[2:3], off
	s_waitcnt vmcnt(1)
	v_mul_f32_e32 v2, v5, v6
	v_mul_f32_e32 v3, v4, v6
	s_waitcnt vmcnt(0)
	s_delay_alu instid0(VALU_DEP_2) | instskip(NEXT) | instid1(VALU_DEP_2)
	v_fma_f32 v2, v4, v7, -v2
	v_fmac_f32_e32 v3, v5, v7
	s_delay_alu instid0(VALU_DEP_1)
	v_dual_mov_b32 v5, v3 :: v_dual_mov_b32 v4, v2
.LBB72_3:
	s_or_b32 exec_lo, exec_lo, s2
	s_delay_alu instid0(VALU_DEP_1) | instskip(NEXT) | instid1(VALU_DEP_1)
	v_and_b32_e32 v2, 0x7f800000, v4
	v_cmp_ne_u32_e32 vcc_lo, 0x7f800000, v2
                                        ; implicit-def: $vgpr2
	s_and_saveexec_b32 s0, vcc_lo
	s_delay_alu instid0(SALU_CYCLE_1)
	s_xor_b32 s0, exec_lo, s0
; %bb.4:
	v_bfe_u32 v2, v4, 16, 1
	s_delay_alu instid0(VALU_DEP_1)
	v_add3_u32 v2, v4, v2, 0x7fff
; %bb.5:
	s_and_not1_saveexec_b32 s0, s0
; %bb.6:
	v_and_b32_e32 v2, 0xffff, v4
	v_or_b32_e32 v3, 0x10000, v4
	s_delay_alu instid0(VALU_DEP_2) | instskip(NEXT) | instid1(VALU_DEP_2)
	v_cmp_eq_u32_e32 vcc_lo, 0, v2
	v_cndmask_b32_e32 v2, v3, v4, vcc_lo
; %bb.7:
	s_or_b32 exec_lo, exec_lo, s0
	v_and_b32_e32 v3, 0x7f800000, v5
	s_delay_alu instid0(VALU_DEP_1) | instskip(SKIP_1) | instid1(SALU_CYCLE_1)
	v_cmp_ne_u32_e32 vcc_lo, 0x7f800000, v3
                                        ; implicit-def: $vgpr3
	s_and_saveexec_b32 s0, vcc_lo
	s_xor_b32 s0, exec_lo, s0
; %bb.8:
	v_bfe_u32 v3, v5, 16, 1
	s_delay_alu instid0(VALU_DEP_1)
	v_add3_u32 v3, v5, v3, 0x7fff
                                        ; implicit-def: $vgpr4_vgpr5
; %bb.9:
	s_and_not1_saveexec_b32 s0, s0
; %bb.10:
	v_and_b32_e32 v3, 0xffff, v5
	v_or_b32_e32 v4, 0x10000, v5
	s_delay_alu instid0(VALU_DEP_2) | instskip(NEXT) | instid1(VALU_DEP_2)
	v_cmp_eq_u32_e32 vcc_lo, 0, v3
	v_cndmask_b32_e32 v3, v4, v5, vcc_lo
; %bb.11:
	s_or_b32 exec_lo, exec_lo, s0
	v_lshrrev_b32_e32 v2, 16, v2
	s_delay_alu instid0(VALU_DEP_1)
	v_and_or_b32 v2, 0xffff0000, v3, v2
	global_store_b32 v[0:1], v2, off
.LBB72_12:
	s_nop 0
	s_sendmsg sendmsg(MSG_DEALLOC_VGPRS)
	s_endpgm
	.section	.rodata,"a",@progbits
	.p2align	6, 0x0
	.amdhsa_kernel _ZN12tensorrt_llm7kernels21fusedQKNormRopeKernelIN3c108BFloat16EfLi64ELb1EEEvPviiifPKvS6_S6_PKlii
		.amdhsa_group_segment_fixed_size 0
		.amdhsa_private_segment_fixed_size 0
		.amdhsa_kernarg_size 320
		.amdhsa_user_sgpr_count 15
		.amdhsa_user_sgpr_dispatch_ptr 0
		.amdhsa_user_sgpr_queue_ptr 0
		.amdhsa_user_sgpr_kernarg_segment_ptr 1
		.amdhsa_user_sgpr_dispatch_id 0
		.amdhsa_user_sgpr_private_segment_size 0
		.amdhsa_wavefront_size32 1
		.amdhsa_uses_dynamic_stack 0
		.amdhsa_enable_private_segment 0
		.amdhsa_system_sgpr_workgroup_id_x 1
		.amdhsa_system_sgpr_workgroup_id_y 0
		.amdhsa_system_sgpr_workgroup_id_z 0
		.amdhsa_system_sgpr_workgroup_info 0
		.amdhsa_system_vgpr_workitem_id 0
		.amdhsa_next_free_vgpr 12
		.amdhsa_next_free_sgpr 16
		.amdhsa_reserve_vcc 1
		.amdhsa_float_round_mode_32 0
		.amdhsa_float_round_mode_16_64 0
		.amdhsa_float_denorm_mode_32 3
		.amdhsa_float_denorm_mode_16_64 3
		.amdhsa_dx10_clamp 1
		.amdhsa_ieee_mode 1
		.amdhsa_fp16_overflow 0
		.amdhsa_workgroup_processor_mode 1
		.amdhsa_memory_ordered 1
		.amdhsa_forward_progress 0
		.amdhsa_shared_vgpr_count 0
		.amdhsa_exception_fp_ieee_invalid_op 0
		.amdhsa_exception_fp_denorm_src 0
		.amdhsa_exception_fp_ieee_div_zero 0
		.amdhsa_exception_fp_ieee_overflow 0
		.amdhsa_exception_fp_ieee_underflow 0
		.amdhsa_exception_fp_ieee_inexact 0
		.amdhsa_exception_int_div_zero 0
	.end_amdhsa_kernel
	.section	.text._ZN12tensorrt_llm7kernels21fusedQKNormRopeKernelIN3c108BFloat16EfLi64ELb1EEEvPviiifPKvS6_S6_PKlii,"axG",@progbits,_ZN12tensorrt_llm7kernels21fusedQKNormRopeKernelIN3c108BFloat16EfLi64ELb1EEEvPviiifPKvS6_S6_PKlii,comdat
.Lfunc_end72:
	.size	_ZN12tensorrt_llm7kernels21fusedQKNormRopeKernelIN3c108BFloat16EfLi64ELb1EEEvPviiifPKvS6_S6_PKlii, .Lfunc_end72-_ZN12tensorrt_llm7kernels21fusedQKNormRopeKernelIN3c108BFloat16EfLi64ELb1EEEvPviiifPKvS6_S6_PKlii
                                        ; -- End function
	.section	.AMDGPU.csdata,"",@progbits
; Kernel info:
; codeLenInByte = 1220
; NumSgprs: 18
; NumVgprs: 12
; ScratchSize: 0
; MemoryBound: 0
; FloatMode: 240
; IeeeMode: 1
; LDSByteSize: 0 bytes/workgroup (compile time only)
; SGPRBlocks: 2
; VGPRBlocks: 1
; NumSGPRsForWavesPerEU: 18
; NumVGPRsForWavesPerEU: 12
; Occupancy: 16
; WaveLimiterHint : 1
; COMPUTE_PGM_RSRC2:SCRATCH_EN: 0
; COMPUTE_PGM_RSRC2:USER_SGPR: 15
; COMPUTE_PGM_RSRC2:TRAP_HANDLER: 0
; COMPUTE_PGM_RSRC2:TGID_X_EN: 1
; COMPUTE_PGM_RSRC2:TGID_Y_EN: 0
; COMPUTE_PGM_RSRC2:TGID_Z_EN: 0
; COMPUTE_PGM_RSRC2:TIDIG_COMP_CNT: 0
	.section	.text._ZN12tensorrt_llm7kernels21fusedQKNormRopeKernelIN3c108BFloat16EfLi64ELb0EEEvPviiifPKvS6_S6_PKlii,"axG",@progbits,_ZN12tensorrt_llm7kernels21fusedQKNormRopeKernelIN3c108BFloat16EfLi64ELb0EEEvPviiifPKvS6_S6_PKlii,comdat
	.protected	_ZN12tensorrt_llm7kernels21fusedQKNormRopeKernelIN3c108BFloat16EfLi64ELb0EEEvPviiifPKvS6_S6_PKlii ; -- Begin function _ZN12tensorrt_llm7kernels21fusedQKNormRopeKernelIN3c108BFloat16EfLi64ELb0EEEvPviiifPKvS6_S6_PKlii
	.globl	_ZN12tensorrt_llm7kernels21fusedQKNormRopeKernelIN3c108BFloat16EfLi64ELb0EEEvPviiifPKvS6_S6_PKlii
	.p2align	8
	.type	_ZN12tensorrt_llm7kernels21fusedQKNormRopeKernelIN3c108BFloat16EfLi64ELb0EEEvPviiifPKvS6_S6_PKlii,@function
_ZN12tensorrt_llm7kernels21fusedQKNormRopeKernelIN3c108BFloat16EfLi64ELb0EEEvPviiifPKvS6_S6_PKlii: ; @_ZN12tensorrt_llm7kernels21fusedQKNormRopeKernelIN3c108BFloat16EfLi64ELb0EEEvPviiifPKvS6_S6_PKlii
; %bb.0:
	s_clause 0x2
	s_load_b128 s[8:11], s[0:1], 0x8
	s_load_b64 s[12:13], s[0:1], 0x38
	s_load_b32 s4, s[0:1], 0x4c
	v_lshrrev_b32_e32 v3, 5, v0
	s_waitcnt lgkmcnt(0)
	s_add_i32 s2, s9, s8
	s_bfe_u32 s4, s4, 0xb0005
	s_abs_i32 s3, s2
	s_delay_alu instid0(SALU_CYCLE_1) | instskip(SKIP_1) | instid1(VALU_DEP_1)
	v_cvt_f32_u32_e32 v1, s3
	s_sub_i32 s5, 0, s3
	v_rcp_iflag_f32_e32 v1, v1
	s_waitcnt_depctr 0xfff
	v_mul_f32_e32 v1, 0x4f7ffffe, v1
	s_delay_alu instid0(VALU_DEP_1) | instskip(NEXT) | instid1(VALU_DEP_1)
	v_cvt_u32_f32_e32 v4, v1
	v_mul_lo_u32 v5, s5, v4
	v_mad_u64_u32 v[1:2], null, s15, s4, v[3:4]
	s_delay_alu instid0(VALU_DEP_2) | instskip(NEXT) | instid1(VALU_DEP_2)
	v_mul_hi_u32 v2, v4, v5
	v_sub_nc_u32_e32 v3, 0, v1
	s_delay_alu instid0(VALU_DEP_1) | instskip(NEXT) | instid1(VALU_DEP_3)
	v_max_i32_e32 v3, v1, v3
	v_add_nc_u32_e32 v2, v4, v2
	s_delay_alu instid0(VALU_DEP_1) | instskip(NEXT) | instid1(VALU_DEP_1)
	v_mul_hi_u32 v2, v3, v2
	v_mul_lo_u32 v4, v2, s3
	s_delay_alu instid0(VALU_DEP_1) | instskip(NEXT) | instid1(VALU_DEP_1)
	v_sub_nc_u32_e32 v3, v3, v4
	v_subrev_nc_u32_e32 v5, s3, v3
	v_cmp_le_u32_e32 vcc_lo, s3, v3
	s_delay_alu instid0(VALU_DEP_2) | instskip(NEXT) | instid1(VALU_DEP_1)
	v_dual_cndmask_b32 v3, v3, v5 :: v_dual_add_nc_u32 v4, 1, v2
	v_cndmask_b32_e32 v2, v2, v4, vcc_lo
	v_xor_b32_e32 v4, s2, v1
	s_delay_alu instid0(VALU_DEP_3) | instskip(NEXT) | instid1(VALU_DEP_3)
	v_cmp_le_u32_e32 vcc_lo, s3, v3
	v_add_nc_u32_e32 v5, 1, v2
	s_delay_alu instid0(VALU_DEP_3) | instskip(SKIP_1) | instid1(VALU_DEP_2)
	v_ashrrev_i32_e32 v4, 31, v4
	s_mov_b32 s3, exec_lo
	v_cndmask_b32_e32 v2, v2, v5, vcc_lo
	s_delay_alu instid0(VALU_DEP_1) | instskip(NEXT) | instid1(VALU_DEP_1)
	v_xor_b32_e32 v2, v2, v4
	v_sub_nc_u32_e32 v4, v2, v4
	s_delay_alu instid0(VALU_DEP_1)
	v_cmpx_gt_i32_e64 s12, v4
	s_cbranch_execz .LBB73_12
; %bb.1:
	v_mul_lo_u32 v2, v4, s2
	s_add_i32 s2, s2, s10
	v_and_b32_e32 v6, 31, v0
	v_mul_lo_u32 v3, v4, s2
	s_load_b64 s[2:3], s[0:1], 0x0
	v_mbcnt_lo_u32_b32 v7, -1, 0
	s_delay_alu instid0(VALU_DEP_4) | instskip(NEXT) | instid1(VALU_DEP_2)
	v_sub_nc_u32_e32 v1, v1, v2
	v_xor_b32_e32 v11, 8, v7
	s_delay_alu instid0(VALU_DEP_2) | instskip(SKIP_1) | instid1(VALU_DEP_1)
	v_cmp_gt_i32_e32 vcc_lo, s8, v1
	v_cndmask_b32_e64 v2, s8, 0, vcc_lo
	v_sub_nc_u32_e32 v0, v1, v2
	v_lshlrev_b32_e32 v1, 1, v6
	s_delay_alu instid0(VALU_DEP_2) | instskip(NEXT) | instid1(VALU_DEP_1)
	v_add3_u32 v0, v3, v2, v0
	v_lshl_or_b32 v0, v0, 6, v1
	s_delay_alu instid0(VALU_DEP_1) | instskip(NEXT) | instid1(VALU_DEP_1)
	v_ashrrev_i32_e32 v1, 31, v0
	v_lshlrev_b64 v[0:1], 1, v[0:1]
	s_waitcnt lgkmcnt(0)
	s_delay_alu instid0(VALU_DEP_1) | instskip(NEXT) | instid1(VALU_DEP_1)
	v_add_co_u32 v0, s2, s2, v0
	v_add_co_ci_u32_e64 v1, s2, s3, v1, s2
	s_load_b256 s[0:7], s[0:1], 0x18
	global_load_b32 v5, v[0:1], off
	s_waitcnt lgkmcnt(0)
	v_dual_mov_b32 v2, s0 :: v_dual_mov_b32 v3, s1
	v_lshlrev_b32_e32 v8, 2, v6
	s_lshr_b32 s0, s13, 31
	s_delay_alu instid0(VALU_DEP_2) | instskip(NEXT) | instid1(VALU_DEP_3)
	v_cndmask_b32_e32 v2, s2, v2, vcc_lo
	v_cndmask_b32_e32 v3, s3, v3, vcc_lo
	s_add_i32 s0, s13, s0
	s_mov_b32 s2, exec_lo
	s_ashr_i32 s0, s0, 1
	s_waitcnt vmcnt(0)
	v_lshlrev_b32_e32 v9, 16, v5
	v_add_co_u32 v2, vcc_lo, v2, v8
	v_add_co_ci_u32_e32 v3, vcc_lo, 0, v3, vcc_lo
	v_and_b32_e32 v5, 0xffff0000, v5
	s_delay_alu instid0(VALU_DEP_4) | instskip(SKIP_3) | instid1(VALU_DEP_2)
	v_mul_f32_e32 v10, v9, v9
	global_load_b32 v2, v[2:3], off
	v_xor_b32_e32 v3, 16, v7
	v_fmac_f32_e32 v10, v5, v5
	v_cmp_gt_i32_e32 vcc_lo, 32, v3
	v_cndmask_b32_e32 v3, v7, v3, vcc_lo
	v_cmp_gt_i32_e32 vcc_lo, 32, v11
	s_delay_alu instid0(VALU_DEP_2)
	v_lshlrev_b32_e32 v3, 2, v3
	v_cndmask_b32_e32 v11, v7, v11, vcc_lo
	ds_bpermute_b32 v3, v3, v10
	v_lshlrev_b32_e32 v11, 2, v11
	s_waitcnt lgkmcnt(0)
	v_add_f32_e32 v3, v10, v3
	ds_bpermute_b32 v10, v11, v3
	v_xor_b32_e32 v11, 4, v7
	s_delay_alu instid0(VALU_DEP_1) | instskip(SKIP_1) | instid1(VALU_DEP_1)
	v_cmp_gt_i32_e32 vcc_lo, 32, v11
	v_cndmask_b32_e32 v11, v7, v11, vcc_lo
	v_lshlrev_b32_e32 v11, 2, v11
	s_waitcnt lgkmcnt(0)
	v_add_f32_e32 v3, v3, v10
	ds_bpermute_b32 v10, v11, v3
	v_xor_b32_e32 v11, 2, v7
	s_delay_alu instid0(VALU_DEP_1) | instskip(SKIP_1) | instid1(VALU_DEP_1)
	v_cmp_gt_i32_e32 vcc_lo, 32, v11
	v_cndmask_b32_e32 v11, v7, v11, vcc_lo
	;; [unrolled: 8-line block ×3, first 2 shown]
	v_lshlrev_b32_e32 v11, 2, v11
	s_waitcnt lgkmcnt(0)
	v_add_f32_e32 v3, v3, v10
	ds_bpermute_b32 v10, v11, v3
	v_mov_b32_e32 v11, s11
	s_waitcnt lgkmcnt(0)
	v_add_f32_e32 v3, v3, v10
	s_delay_alu instid0(VALU_DEP_1) | instskip(NEXT) | instid1(VALU_DEP_1)
	v_fmamk_f32 v3, v3, 0x3c800000, v11
	v_mul_f32_e32 v10, 0x4b800000, v3
	v_cmp_gt_f32_e32 vcc_lo, 0x800000, v3
	s_delay_alu instid0(VALU_DEP_2) | instskip(NEXT) | instid1(VALU_DEP_1)
	v_cndmask_b32_e32 v3, v3, v10, vcc_lo
	v_rsq_f32_e32 v3, v3
	s_waitcnt vmcnt(0)
	s_waitcnt_depctr 0xfff
	v_dual_mul_f32 v10, 0x45800000, v3 :: v_dual_lshlrev_b32 v11, 16, v2
	s_delay_alu instid0(VALU_DEP_1) | instskip(SKIP_1) | instid1(VALU_DEP_2)
	v_cndmask_b32_e32 v3, v3, v10, vcc_lo
	v_and_b32_e32 v2, 0xffff0000, v2
	v_mul_f32_e32 v10, v3, v11
	s_delay_alu instid0(VALU_DEP_1) | instskip(NEXT) | instid1(VALU_DEP_1)
	v_dual_mul_f32 v3, v3, v2 :: v_dual_mul_f32 v2, v10, v9
	v_mul_f32_e32 v3, v3, v5
	v_cmpx_gt_i32_e64 s0, v6
	s_cbranch_execz .LBB73_3
; %bb.2:
	v_ashrrev_i32_e32 v5, 31, v4
	s_abs_i32 s3, s13
	v_or_b32_e32 v11, 2, v8
	v_cvt_f32_u32_e32 v9, s3
	s_sub_i32 s1, 0, s3
	v_lshlrev_b64 v[4:5], 3, v[4:5]
	s_delay_alu instid0(VALU_DEP_2) | instskip(NEXT) | instid1(VALU_DEP_1)
	v_rcp_iflag_f32_e32 v9, v9
	v_add_co_u32 v4, vcc_lo, s6, v4
	s_delay_alu instid0(VALU_DEP_2) | instskip(SKIP_4) | instid1(VALU_DEP_1)
	v_add_co_ci_u32_e32 v5, vcc_lo, s7, v5, vcc_lo
	s_waitcnt_depctr 0xfff
	v_mul_f32_e32 v9, 0x4f7ffffe, v9
	global_load_b64 v[4:5], v[4:5], off
	; wave barrier
	v_cvt_u32_f32_e32 v9, v9
	v_mul_lo_u32 v10, s1, v9
	s_ashr_i32 s1, s13, 31
	s_delay_alu instid0(VALU_DEP_1) | instskip(NEXT) | instid1(VALU_DEP_1)
	v_mul_hi_u32 v10, v9, v10
	v_add_nc_u32_e32 v9, v9, v10
	s_delay_alu instid0(VALU_DEP_1) | instskip(SKIP_1) | instid1(VALU_DEP_2)
	v_mul_hi_u32 v10, v8, v9
	v_mul_hi_u32 v9, v11, v9
	v_mul_lo_u32 v10, v10, s3
	s_delay_alu instid0(VALU_DEP_2) | instskip(NEXT) | instid1(VALU_DEP_2)
	v_mul_lo_u32 v9, v9, s3
	v_sub_nc_u32_e32 v8, v8, v10
	s_delay_alu instid0(VALU_DEP_2) | instskip(NEXT) | instid1(VALU_DEP_2)
	v_sub_nc_u32_e32 v11, v11, v9
	v_subrev_nc_u32_e32 v10, s3, v8
	v_cmp_le_u32_e32 vcc_lo, s3, v8
	s_delay_alu instid0(VALU_DEP_3) | instskip(NEXT) | instid1(VALU_DEP_3)
	v_subrev_nc_u32_e32 v12, s3, v11
	v_cndmask_b32_e32 v10, v8, v10, vcc_lo
	v_cmp_le_u32_e32 vcc_lo, s3, v11
	s_delay_alu instid0(VALU_DEP_2) | instskip(NEXT) | instid1(VALU_DEP_4)
	v_subrev_nc_u32_e32 v13, s3, v10
	v_cndmask_b32_e32 v11, v11, v12, vcc_lo
	v_cmp_le_u32_e32 vcc_lo, s3, v10
	s_waitcnt vmcnt(0)
	v_mul_lo_u32 v5, v5, s13
	v_mul_lo_u32 v14, v4, s1
	v_mad_u64_u32 v[8:9], null, v4, s13, 0
	v_cndmask_b32_e32 v4, v10, v13, vcc_lo
	v_subrev_nc_u32_e32 v10, s3, v11
	v_cmp_le_u32_e32 vcc_lo, s3, v11
	s_mov_b32 s1, 0
	s_delay_alu instid0(VALU_DEP_3) | instskip(SKIP_4) | instid1(VALU_DEP_2)
	v_lshrrev_b32_e32 v4, 1, v4
	v_add3_u32 v9, v9, v14, v5
	v_dual_mov_b32 v5, 0 :: v_dual_cndmask_b32 v12, v11, v10
	s_lshl_b64 s[6:7], s[0:1], 2
	s_lshr_b32 s0, s0, 1
	v_lshlrev_b64 v[8:9], 2, v[8:9]
	s_delay_alu instid0(VALU_DEP_2) | instskip(SKIP_1) | instid1(VALU_DEP_3)
	v_lshlrev_b64 v[10:11], 2, v[4:5]
	v_lshrrev_b32_e32 v4, 1, v12
	v_add_co_u32 v14, vcc_lo, s4, v8
	s_delay_alu instid0(VALU_DEP_4) | instskip(NEXT) | instid1(VALU_DEP_3)
	v_add_co_ci_u32_e32 v15, vcc_lo, s5, v9, vcc_lo
	v_lshlrev_b64 v[4:5], 2, v[4:5]
	s_delay_alu instid0(VALU_DEP_3) | instskip(NEXT) | instid1(VALU_DEP_3)
	v_add_co_u32 v12, vcc_lo, v14, s6
	v_add_co_ci_u32_e32 v13, vcc_lo, s7, v15, vcc_lo
	v_add_co_u32 v8, vcc_lo, v14, v10
	v_add_co_ci_u32_e32 v9, vcc_lo, v15, v11, vcc_lo
	s_delay_alu instid0(VALU_DEP_4) | instskip(NEXT) | instid1(VALU_DEP_4)
	v_add_co_u32 v10, vcc_lo, v12, v10
	v_add_co_ci_u32_e32 v11, vcc_lo, v13, v11, vcc_lo
	v_add_co_u32 v12, vcc_lo, v12, v4
	v_add_co_ci_u32_e32 v13, vcc_lo, v13, v5, vcc_lo
	;; [unrolled: 2-line block ×3, first 2 shown]
	s_clause 0x3
	global_load_b32 v10, v[10:11], off
	global_load_b32 v11, v[12:13], off
	;; [unrolled: 1-line block ×4, first 2 shown]
	v_xor_b32_e32 v4, s0, v7
	; wave barrier
	s_delay_alu instid0(VALU_DEP_1) | instskip(SKIP_2) | instid1(VALU_DEP_2)
	v_cmp_gt_i32_e32 vcc_lo, 32, v4
	v_cndmask_b32_e32 v4, v7, v4, vcc_lo
	v_cmp_gt_u32_e32 vcc_lo, s0, v6
	v_lshlrev_b32_e32 v4, 2, v4
	ds_bpermute_b32 v5, v4, v2
	ds_bpermute_b32 v4, v4, v3
	s_waitcnt lgkmcnt(1)
	v_cndmask_b32_e64 v5, v5, -v5, vcc_lo
	s_waitcnt lgkmcnt(0)
	v_cndmask_b32_e64 v6, v4, -v4, vcc_lo
	s_waitcnt vmcnt(2)
	s_delay_alu instid0(VALU_DEP_1) | instskip(SKIP_1) | instid1(VALU_DEP_1)
	v_dual_mul_f32 v4, v5, v10 :: v_dual_mul_f32 v5, v6, v11
	s_waitcnt vmcnt(0)
	v_dual_fmac_f32 v4, v2, v8 :: v_dual_fmac_f32 v5, v3, v9
	s_delay_alu instid0(VALU_DEP_1)
	v_dual_mov_b32 v2, v4 :: v_dual_mov_b32 v3, v5
.LBB73_3:
	s_or_b32 exec_lo, exec_lo, s2
	s_delay_alu instid0(VALU_DEP_1) | instskip(NEXT) | instid1(VALU_DEP_1)
	v_and_b32_e32 v4, 0x7f800000, v2
	v_cmp_ne_u32_e32 vcc_lo, 0x7f800000, v4
                                        ; implicit-def: $vgpr4
	s_and_saveexec_b32 s0, vcc_lo
	s_delay_alu instid0(SALU_CYCLE_1)
	s_xor_b32 s0, exec_lo, s0
; %bb.4:
	v_bfe_u32 v4, v2, 16, 1
	s_delay_alu instid0(VALU_DEP_1)
	v_add3_u32 v4, v2, v4, 0x7fff
; %bb.5:
	s_and_not1_saveexec_b32 s0, s0
; %bb.6:
	v_and_b32_e32 v4, 0xffff, v2
	v_or_b32_e32 v5, 0x10000, v2
	s_delay_alu instid0(VALU_DEP_2) | instskip(NEXT) | instid1(VALU_DEP_2)
	v_cmp_eq_u32_e32 vcc_lo, 0, v4
	v_cndmask_b32_e32 v4, v5, v2, vcc_lo
; %bb.7:
	s_or_b32 exec_lo, exec_lo, s0
	v_and_b32_e32 v2, 0x7f800000, v3
	s_mov_b32 s0, exec_lo
                                        ; implicit-def: $vgpr5
	s_delay_alu instid0(VALU_DEP_1)
	v_cmpx_ne_u32_e32 0x7f800000, v2
	s_xor_b32 s0, exec_lo, s0
; %bb.8:
	v_bfe_u32 v2, v3, 16, 1
	s_delay_alu instid0(VALU_DEP_1)
	v_add3_u32 v5, v3, v2, 0x7fff
                                        ; implicit-def: $vgpr2_vgpr3
; %bb.9:
	s_and_not1_saveexec_b32 s0, s0
; %bb.10:
	v_and_b32_e32 v2, 0xffff, v3
	v_or_b32_e32 v5, 0x10000, v3
	s_delay_alu instid0(VALU_DEP_2) | instskip(NEXT) | instid1(VALU_DEP_2)
	v_cmp_eq_u32_e32 vcc_lo, 0, v2
	v_cndmask_b32_e32 v5, v5, v3, vcc_lo
; %bb.11:
	s_or_b32 exec_lo, exec_lo, s0
	v_lshrrev_b32_e32 v2, 16, v4
	s_delay_alu instid0(VALU_DEP_1)
	v_and_or_b32 v2, 0xffff0000, v5, v2
	global_store_b32 v[0:1], v2, off
.LBB73_12:
	s_nop 0
	s_sendmsg sendmsg(MSG_DEALLOC_VGPRS)
	s_endpgm
	.section	.rodata,"a",@progbits
	.p2align	6, 0x0
	.amdhsa_kernel _ZN12tensorrt_llm7kernels21fusedQKNormRopeKernelIN3c108BFloat16EfLi64ELb0EEEvPviiifPKvS6_S6_PKlii
		.amdhsa_group_segment_fixed_size 0
		.amdhsa_private_segment_fixed_size 0
		.amdhsa_kernarg_size 320
		.amdhsa_user_sgpr_count 15
		.amdhsa_user_sgpr_dispatch_ptr 0
		.amdhsa_user_sgpr_queue_ptr 0
		.amdhsa_user_sgpr_kernarg_segment_ptr 1
		.amdhsa_user_sgpr_dispatch_id 0
		.amdhsa_user_sgpr_private_segment_size 0
		.amdhsa_wavefront_size32 1
		.amdhsa_uses_dynamic_stack 0
		.amdhsa_enable_private_segment 0
		.amdhsa_system_sgpr_workgroup_id_x 1
		.amdhsa_system_sgpr_workgroup_id_y 0
		.amdhsa_system_sgpr_workgroup_id_z 0
		.amdhsa_system_sgpr_workgroup_info 0
		.amdhsa_system_vgpr_workitem_id 0
		.amdhsa_next_free_vgpr 16
		.amdhsa_next_free_sgpr 16
		.amdhsa_reserve_vcc 1
		.amdhsa_float_round_mode_32 0
		.amdhsa_float_round_mode_16_64 0
		.amdhsa_float_denorm_mode_32 3
		.amdhsa_float_denorm_mode_16_64 3
		.amdhsa_dx10_clamp 1
		.amdhsa_ieee_mode 1
		.amdhsa_fp16_overflow 0
		.amdhsa_workgroup_processor_mode 1
		.amdhsa_memory_ordered 1
		.amdhsa_forward_progress 0
		.amdhsa_shared_vgpr_count 0
		.amdhsa_exception_fp_ieee_invalid_op 0
		.amdhsa_exception_fp_denorm_src 0
		.amdhsa_exception_fp_ieee_div_zero 0
		.amdhsa_exception_fp_ieee_overflow 0
		.amdhsa_exception_fp_ieee_underflow 0
		.amdhsa_exception_fp_ieee_inexact 0
		.amdhsa_exception_int_div_zero 0
	.end_amdhsa_kernel
	.section	.text._ZN12tensorrt_llm7kernels21fusedQKNormRopeKernelIN3c108BFloat16EfLi64ELb0EEEvPviiifPKvS6_S6_PKlii,"axG",@progbits,_ZN12tensorrt_llm7kernels21fusedQKNormRopeKernelIN3c108BFloat16EfLi64ELb0EEEvPviiifPKvS6_S6_PKlii,comdat
.Lfunc_end73:
	.size	_ZN12tensorrt_llm7kernels21fusedQKNormRopeKernelIN3c108BFloat16EfLi64ELb0EEEvPviiifPKvS6_S6_PKlii, .Lfunc_end73-_ZN12tensorrt_llm7kernels21fusedQKNormRopeKernelIN3c108BFloat16EfLi64ELb0EEEvPviiifPKvS6_S6_PKlii
                                        ; -- End function
	.section	.AMDGPU.csdata,"",@progbits
; Kernel info:
; codeLenInByte = 1524
; NumSgprs: 18
; NumVgprs: 16
; ScratchSize: 0
; MemoryBound: 0
; FloatMode: 240
; IeeeMode: 1
; LDSByteSize: 0 bytes/workgroup (compile time only)
; SGPRBlocks: 2
; VGPRBlocks: 1
; NumSGPRsForWavesPerEU: 18
; NumVGPRsForWavesPerEU: 16
; Occupancy: 16
; WaveLimiterHint : 1
; COMPUTE_PGM_RSRC2:SCRATCH_EN: 0
; COMPUTE_PGM_RSRC2:USER_SGPR: 15
; COMPUTE_PGM_RSRC2:TRAP_HANDLER: 0
; COMPUTE_PGM_RSRC2:TGID_X_EN: 1
; COMPUTE_PGM_RSRC2:TGID_Y_EN: 0
; COMPUTE_PGM_RSRC2:TGID_Z_EN: 0
; COMPUTE_PGM_RSRC2:TIDIG_COMP_CNT: 0
	.section	.text._ZN12tensorrt_llm7kernels21fusedQKNormRopeKernelIN3c108BFloat16EfLi128ELb1EEEvPviiifPKvS6_S6_PKlii,"axG",@progbits,_ZN12tensorrt_llm7kernels21fusedQKNormRopeKernelIN3c108BFloat16EfLi128ELb1EEEvPviiifPKvS6_S6_PKlii,comdat
	.protected	_ZN12tensorrt_llm7kernels21fusedQKNormRopeKernelIN3c108BFloat16EfLi128ELb1EEEvPviiifPKvS6_S6_PKlii ; -- Begin function _ZN12tensorrt_llm7kernels21fusedQKNormRopeKernelIN3c108BFloat16EfLi128ELb1EEEvPviiifPKvS6_S6_PKlii
	.globl	_ZN12tensorrt_llm7kernels21fusedQKNormRopeKernelIN3c108BFloat16EfLi128ELb1EEEvPviiifPKvS6_S6_PKlii
	.p2align	8
	.type	_ZN12tensorrt_llm7kernels21fusedQKNormRopeKernelIN3c108BFloat16EfLi128ELb1EEEvPviiifPKvS6_S6_PKlii,@function
_ZN12tensorrt_llm7kernels21fusedQKNormRopeKernelIN3c108BFloat16EfLi128ELb1EEEvPviiifPKvS6_S6_PKlii: ; @_ZN12tensorrt_llm7kernels21fusedQKNormRopeKernelIN3c108BFloat16EfLi128ELb1EEEvPviiifPKvS6_S6_PKlii
; %bb.0:
	s_clause 0x2
	s_load_b128 s[8:11], s[0:1], 0x8
	s_load_b64 s[12:13], s[0:1], 0x38
	s_load_b32 s4, s[0:1], 0x4c
	v_lshrrev_b32_e32 v3, 5, v0
	s_waitcnt lgkmcnt(0)
	s_add_i32 s2, s9, s8
	s_bfe_u32 s4, s4, 0xb0005
	s_abs_i32 s3, s2
	s_delay_alu instid0(SALU_CYCLE_1) | instskip(SKIP_1) | instid1(VALU_DEP_1)
	v_cvt_f32_u32_e32 v1, s3
	s_sub_i32 s5, 0, s3
	v_rcp_iflag_f32_e32 v1, v1
	s_waitcnt_depctr 0xfff
	v_mul_f32_e32 v1, 0x4f7ffffe, v1
	s_delay_alu instid0(VALU_DEP_1) | instskip(NEXT) | instid1(VALU_DEP_1)
	v_cvt_u32_f32_e32 v4, v1
	v_mul_lo_u32 v5, s5, v4
	v_mad_u64_u32 v[1:2], null, s15, s4, v[3:4]
	s_delay_alu instid0(VALU_DEP_2) | instskip(NEXT) | instid1(VALU_DEP_2)
	v_mul_hi_u32 v2, v4, v5
	v_sub_nc_u32_e32 v3, 0, v1
	s_delay_alu instid0(VALU_DEP_1) | instskip(NEXT) | instid1(VALU_DEP_3)
	v_max_i32_e32 v3, v1, v3
	v_add_nc_u32_e32 v2, v4, v2
	s_delay_alu instid0(VALU_DEP_1) | instskip(NEXT) | instid1(VALU_DEP_1)
	v_mul_hi_u32 v2, v3, v2
	v_mul_lo_u32 v4, v2, s3
	s_delay_alu instid0(VALU_DEP_1) | instskip(NEXT) | instid1(VALU_DEP_1)
	v_sub_nc_u32_e32 v3, v3, v4
	v_subrev_nc_u32_e32 v5, s3, v3
	v_cmp_le_u32_e32 vcc_lo, s3, v3
	s_delay_alu instid0(VALU_DEP_2) | instskip(NEXT) | instid1(VALU_DEP_1)
	v_dual_cndmask_b32 v3, v3, v5 :: v_dual_add_nc_u32 v4, 1, v2
	v_cndmask_b32_e32 v2, v2, v4, vcc_lo
	v_xor_b32_e32 v4, s2, v1
	s_delay_alu instid0(VALU_DEP_3) | instskip(NEXT) | instid1(VALU_DEP_3)
	v_cmp_le_u32_e32 vcc_lo, s3, v3
	v_add_nc_u32_e32 v5, 1, v2
	s_delay_alu instid0(VALU_DEP_3) | instskip(SKIP_1) | instid1(VALU_DEP_2)
	v_ashrrev_i32_e32 v4, 31, v4
	s_mov_b32 s3, exec_lo
	v_cndmask_b32_e32 v2, v2, v5, vcc_lo
	s_delay_alu instid0(VALU_DEP_1) | instskip(NEXT) | instid1(VALU_DEP_1)
	v_xor_b32_e32 v2, v2, v4
	v_sub_nc_u32_e32 v6, v2, v4
	s_delay_alu instid0(VALU_DEP_1)
	v_cmpx_gt_i32_e64 s12, v6
	s_cbranch_execz .LBB74_20
; %bb.1:
	v_mul_lo_u32 v2, v6, s2
	s_add_i32 s2, s2, s10
	v_and_b32_e32 v7, 31, v0
	v_mul_lo_u32 v3, v6, s2
	s_load_b64 s[2:3], s[0:1], 0x0
	v_mbcnt_lo_u32_b32 v10, -1, 0
	s_delay_alu instid0(VALU_DEP_4) | instskip(NEXT) | instid1(VALU_DEP_2)
	v_sub_nc_u32_e32 v1, v1, v2
	v_xor_b32_e32 v13, 16, v10
	s_delay_alu instid0(VALU_DEP_2) | instskip(SKIP_1) | instid1(VALU_DEP_1)
	v_cmp_gt_i32_e32 vcc_lo, s8, v1
	v_cndmask_b32_e64 v2, s8, 0, vcc_lo
	v_sub_nc_u32_e32 v0, v1, v2
	v_lshlrev_b32_e32 v1, 2, v7
	s_delay_alu instid0(VALU_DEP_2) | instskip(NEXT) | instid1(VALU_DEP_1)
	v_add3_u32 v0, v3, v2, v0
	v_lshl_or_b32 v0, v0, 7, v1
	s_delay_alu instid0(VALU_DEP_1) | instskip(NEXT) | instid1(VALU_DEP_1)
	v_ashrrev_i32_e32 v1, 31, v0
	v_lshlrev_b64 v[0:1], 1, v[0:1]
	s_waitcnt lgkmcnt(0)
	s_delay_alu instid0(VALU_DEP_1) | instskip(NEXT) | instid1(VALU_DEP_1)
	v_add_co_u32 v4, s2, s2, v0
	v_add_co_ci_u32_e64 v5, s2, s3, v1, s2
	s_load_b256 s[0:7], s[0:1], 0x18
	global_load_b64 v[0:1], v[4:5], off
	s_waitcnt lgkmcnt(0)
	v_dual_mov_b32 v2, s0 :: v_dual_mov_b32 v3, s1
	v_lshlrev_b32_e32 v8, 3, v7
	s_ashr_i32 s1, s13, 31
	s_delay_alu instid0(VALU_DEP_2) | instskip(SKIP_1) | instid1(SALU_CYCLE_1)
	v_cndmask_b32_e32 v2, s2, v2, vcc_lo
	s_lshr_b32 s0, s1, 30
	s_add_i32 s0, s13, s0
	s_delay_alu instid0(SALU_CYCLE_1)
	s_ashr_i32 s0, s0, 2
	s_waitcnt vmcnt(0)
	v_lshlrev_b32_e32 v11, 16, v0
	v_and_b32_e32 v9, 0xffff0000, v0
	v_cndmask_b32_e32 v3, s3, v3, vcc_lo
	v_add_co_u32 v2, vcc_lo, v2, v8
	v_alignbit_b32 v0, v1, v0, 16
	s_delay_alu instid0(VALU_DEP_4) | instskip(NEXT) | instid1(VALU_DEP_4)
	v_mul_f32_e32 v12, v9, v9
	v_add_co_ci_u32_e32 v3, vcc_lo, 0, v3, vcc_lo
	v_cmp_gt_i32_e32 vcc_lo, 32, v13
	s_delay_alu instid0(VALU_DEP_4) | instskip(SKIP_4) | instid1(VALU_DEP_3)
	v_and_b32_e32 v14, 0xffff0000, v0
	global_load_b64 v[2:3], v[2:3], off
	v_cndmask_b32_e32 v0, v10, v13, vcc_lo
	v_dual_fmac_f32 v12, v11, v11 :: v_dual_and_b32 v13, 0xffff0000, v1
	v_xor_b32_e32 v1, 8, v10
	v_lshlrev_b32_e32 v0, 2, v0
	s_delay_alu instid0(VALU_DEP_2) | instskip(SKIP_2) | instid1(VALU_DEP_1)
	v_cmp_gt_i32_e32 vcc_lo, 32, v1
	v_cndmask_b32_e32 v1, v10, v1, vcc_lo
	v_fmac_f32_e32 v12, v14, v14
	v_fmac_f32_e32 v12, v13, v13
	ds_bpermute_b32 v0, v0, v12
	s_waitcnt lgkmcnt(0)
	v_dual_add_f32 v0, v12, v0 :: v_dual_lshlrev_b32 v1, 2, v1
	v_xor_b32_e32 v12, 4, v10
	ds_bpermute_b32 v1, v1, v0
	v_cmp_gt_i32_e32 vcc_lo, 32, v12
	v_cndmask_b32_e32 v12, v10, v12, vcc_lo
	s_delay_alu instid0(VALU_DEP_1) | instskip(SKIP_4) | instid1(VALU_DEP_1)
	v_lshlrev_b32_e32 v12, 2, v12
	s_waitcnt lgkmcnt(0)
	v_add_f32_e32 v0, v0, v1
	ds_bpermute_b32 v1, v12, v0
	v_xor_b32_e32 v12, 2, v10
	v_cmp_gt_i32_e32 vcc_lo, 32, v12
	v_cndmask_b32_e32 v12, v10, v12, vcc_lo
	s_delay_alu instid0(VALU_DEP_1) | instskip(SKIP_4) | instid1(VALU_DEP_1)
	v_lshlrev_b32_e32 v12, 2, v12
	s_waitcnt lgkmcnt(0)
	v_add_f32_e32 v0, v0, v1
	ds_bpermute_b32 v1, v12, v0
	v_xor_b32_e32 v12, 1, v10
	v_cmp_gt_i32_e32 vcc_lo, 32, v12
	v_cndmask_b32_e32 v10, v10, v12, vcc_lo
	s_delay_alu instid0(VALU_DEP_1)
	v_lshlrev_b32_e32 v10, 2, v10
	s_waitcnt lgkmcnt(0)
	v_add_f32_e32 v0, v0, v1
	ds_bpermute_b32 v1, v10, v0
	v_mov_b32_e32 v10, s11
	s_waitcnt lgkmcnt(0)
	v_add_f32_e32 v0, v0, v1
	s_delay_alu instid0(VALU_DEP_1) | instskip(NEXT) | instid1(VALU_DEP_1)
	v_fmamk_f32 v0, v0, 0x3c000000, v10
	v_mul_f32_e32 v1, 0x4b800000, v0
	v_cmp_gt_f32_e32 vcc_lo, 0x800000, v0
	s_delay_alu instid0(VALU_DEP_2) | instskip(NEXT) | instid1(VALU_DEP_1)
	v_cndmask_b32_e32 v0, v0, v1, vcc_lo
	v_rsq_f32_e32 v0, v0
	s_waitcnt_depctr 0xfff
	v_mul_f32_e32 v1, 0x45800000, v0
	s_delay_alu instid0(VALU_DEP_1)
	v_cndmask_b32_e32 v0, v0, v1, vcc_lo
	v_cmp_gt_i32_e32 vcc_lo, s0, v7
	s_waitcnt vmcnt(0)
	v_lshlrev_b32_e32 v10, 16, v2
	v_and_b32_e32 v1, 0xffff0000, v2
	v_lshlrev_b32_e32 v2, 16, v3
	s_delay_alu instid0(VALU_DEP_3) | instskip(NEXT) | instid1(VALU_DEP_3)
	v_dual_mul_f32 v10, v0, v10 :: v_dual_and_b32 v3, 0xffff0000, v3
	v_mul_f32_e32 v1, v0, v1
	s_delay_alu instid0(VALU_DEP_3) | instskip(NEXT) | instid1(VALU_DEP_3)
	v_mul_f32_e32 v2, v0, v2
	v_mul_f32_e32 v3, v0, v3
	s_delay_alu instid0(VALU_DEP_3) | instskip(NEXT) | instid1(VALU_DEP_2)
	v_dual_mul_f32 v0, v10, v11 :: v_dual_mul_f32 v1, v1, v9
	v_dual_mul_f32 v2, v2, v14 :: v_dual_mul_f32 v3, v3, v13
	s_and_saveexec_b32 s0, vcc_lo
	s_cbranch_execz .LBB74_3
; %bb.2:
	v_ashrrev_i32_e32 v7, 31, v6
	s_delay_alu instid0(VALU_DEP_1) | instskip(NEXT) | instid1(VALU_DEP_1)
	v_lshlrev_b64 v[6:7], 3, v[6:7]
	v_add_co_u32 v6, vcc_lo, s6, v6
	s_delay_alu instid0(VALU_DEP_2)
	v_add_co_ci_u32_e32 v7, vcc_lo, s7, v7, vcc_lo
	global_load_b64 v[6:7], v[6:7], off
	s_waitcnt vmcnt(0)
	v_mul_lo_u32 v7, v7, s13
	v_mul_lo_u32 v11, v6, s1
	v_mad_u64_u32 v[9:10], null, v6, s13, 0
	s_lshr_b32 s1, s13, 31
	s_delay_alu instid0(SALU_CYCLE_1) | instskip(NEXT) | instid1(SALU_CYCLE_1)
	s_add_i32 s1, s13, s1
	s_ashr_i32 s2, s1, 1
	s_delay_alu instid0(VALU_DEP_1) | instskip(SKIP_1) | instid1(SALU_CYCLE_1)
	v_add3_u32 v10, v10, v11, v7
	s_ashr_i32 s3, s2, 31
	s_lshl_b64 s[2:3], s[2:3], 2
	s_delay_alu instid0(VALU_DEP_1) | instskip(NEXT) | instid1(VALU_DEP_1)
	v_lshlrev_b64 v[6:7], 2, v[9:10]
	v_add_co_u32 v6, vcc_lo, s4, v6
	s_delay_alu instid0(VALU_DEP_2) | instskip(NEXT) | instid1(VALU_DEP_2)
	v_add_co_ci_u32_e32 v7, vcc_lo, s5, v7, vcc_lo
	v_add_co_u32 v6, vcc_lo, v6, v8
	s_delay_alu instid0(VALU_DEP_2) | instskip(NEXT) | instid1(VALU_DEP_2)
	v_add_co_ci_u32_e32 v7, vcc_lo, 0, v7, vcc_lo
	v_add_co_u32 v8, vcc_lo, v6, s2
	s_delay_alu instid0(VALU_DEP_2)
	v_add_co_ci_u32_e32 v9, vcc_lo, s3, v7, vcc_lo
	s_clause 0x1
	global_load_b64 v[8:9], v[8:9], off
	global_load_b64 v[10:11], v[6:7], off
	s_waitcnt vmcnt(1)
	v_mul_f32_e32 v6, v1, v8
	v_dual_mul_f32 v7, v0, v8 :: v_dual_mul_f32 v8, v3, v9
	v_mul_f32_e32 v9, v2, v9
	s_waitcnt vmcnt(0)
	s_delay_alu instid0(VALU_DEP_3) | instskip(NEXT) | instid1(VALU_DEP_3)
	v_fma_f32 v6, v0, v10, -v6
	v_fmac_f32_e32 v7, v1, v10
	v_fma_f32 v8, v2, v11, -v8
	v_fmac_f32_e32 v9, v3, v11
	s_delay_alu instid0(VALU_DEP_3) | instskip(NEXT) | instid1(VALU_DEP_2)
	v_dual_mov_b32 v0, v6 :: v_dual_mov_b32 v1, v7
	v_dual_mov_b32 v2, v8 :: v_dual_mov_b32 v3, v9
.LBB74_3:
	s_or_b32 exec_lo, exec_lo, s0
	s_delay_alu instid0(VALU_DEP_2) | instskip(NEXT) | instid1(VALU_DEP_1)
	v_and_b32_e32 v6, 0x7f800000, v0
	v_cmp_ne_u32_e32 vcc_lo, 0x7f800000, v6
                                        ; implicit-def: $vgpr6
	s_and_saveexec_b32 s0, vcc_lo
	s_delay_alu instid0(SALU_CYCLE_1)
	s_xor_b32 s0, exec_lo, s0
; %bb.4:
	v_bfe_u32 v6, v0, 16, 1
	s_delay_alu instid0(VALU_DEP_1)
	v_add3_u32 v6, v0, v6, 0x7fff
; %bb.5:
	s_and_not1_saveexec_b32 s0, s0
; %bb.6:
	v_and_b32_e32 v6, 0xffff, v0
	v_or_b32_e32 v7, 0x10000, v0
	s_delay_alu instid0(VALU_DEP_2) | instskip(NEXT) | instid1(VALU_DEP_2)
	v_cmp_eq_u32_e32 vcc_lo, 0, v6
	v_cndmask_b32_e32 v6, v7, v0, vcc_lo
; %bb.7:
	s_or_b32 exec_lo, exec_lo, s0
	v_and_b32_e32 v0, 0x7f800000, v1
	s_mov_b32 s0, exec_lo
                                        ; implicit-def: $vgpr7
	s_delay_alu instid0(VALU_DEP_1)
	v_cmpx_ne_u32_e32 0x7f800000, v0
	s_xor_b32 s0, exec_lo, s0
; %bb.8:
	v_bfe_u32 v0, v1, 16, 1
	s_delay_alu instid0(VALU_DEP_1)
	v_add3_u32 v7, v1, v0, 0x7fff
; %bb.9:
	s_and_not1_saveexec_b32 s0, s0
; %bb.10:
	v_and_b32_e32 v0, 0xffff, v1
	v_or_b32_e32 v7, 0x10000, v1
	s_delay_alu instid0(VALU_DEP_2) | instskip(NEXT) | instid1(VALU_DEP_2)
	v_cmp_eq_u32_e32 vcc_lo, 0, v0
	v_cndmask_b32_e32 v7, v7, v1, vcc_lo
; %bb.11:
	s_or_b32 exec_lo, exec_lo, s0
	v_and_b32_e32 v0, 0x7f800000, v2
	s_mov_b32 s0, exec_lo
                                        ; implicit-def: $vgpr8
	s_delay_alu instid0(VALU_DEP_1)
	v_cmpx_ne_u32_e32 0x7f800000, v0
	s_xor_b32 s0, exec_lo, s0
; %bb.12:
	v_bfe_u32 v0, v2, 16, 1
	s_delay_alu instid0(VALU_DEP_1)
	v_add3_u32 v8, v2, v0, 0x7fff
; %bb.13:
	s_and_not1_saveexec_b32 s0, s0
; %bb.14:
	v_and_b32_e32 v0, 0xffff, v2
	v_or_b32_e32 v1, 0x10000, v2
	s_delay_alu instid0(VALU_DEP_2) | instskip(NEXT) | instid1(VALU_DEP_2)
	v_cmp_eq_u32_e32 vcc_lo, 0, v0
	v_cndmask_b32_e32 v8, v1, v2, vcc_lo
; %bb.15:
	s_or_b32 exec_lo, exec_lo, s0
	v_and_b32_e32 v0, 0x7f800000, v3
	s_mov_b32 s0, exec_lo
                                        ; implicit-def: $vgpr9
	s_delay_alu instid0(VALU_DEP_1)
	v_cmpx_ne_u32_e32 0x7f800000, v0
	s_xor_b32 s0, exec_lo, s0
; %bb.16:
	v_bfe_u32 v0, v3, 16, 1
	s_delay_alu instid0(VALU_DEP_1)
	v_add3_u32 v9, v3, v0, 0x7fff
                                        ; implicit-def: $vgpr0_vgpr1_vgpr2_vgpr3
; %bb.17:
	s_and_not1_saveexec_b32 s0, s0
; %bb.18:
	v_and_b32_e32 v0, 0xffff, v3
	v_or_b32_e32 v1, 0x10000, v3
	s_delay_alu instid0(VALU_DEP_2) | instskip(NEXT) | instid1(VALU_DEP_2)
	v_cmp_eq_u32_e32 vcc_lo, 0, v0
	v_cndmask_b32_e32 v9, v1, v3, vcc_lo
; %bb.19:
	s_or_b32 exec_lo, exec_lo, s0
	v_lshrrev_b32_e32 v0, 16, v8
	s_delay_alu instid0(VALU_DEP_2) | instskip(SKIP_1) | instid1(VALU_DEP_2)
	v_and_b32_e32 v1, 0xffff0000, v9
	v_lshrrev_b32_e32 v2, 16, v6
	v_or_b32_e32 v1, v1, v0
	s_delay_alu instid0(VALU_DEP_2)
	v_and_or_b32 v0, 0xffff0000, v7, v2
	global_store_b64 v[4:5], v[0:1], off
.LBB74_20:
	s_nop 0
	s_sendmsg sendmsg(MSG_DEALLOC_VGPRS)
	s_endpgm
	.section	.rodata,"a",@progbits
	.p2align	6, 0x0
	.amdhsa_kernel _ZN12tensorrt_llm7kernels21fusedQKNormRopeKernelIN3c108BFloat16EfLi128ELb1EEEvPviiifPKvS6_S6_PKlii
		.amdhsa_group_segment_fixed_size 0
		.amdhsa_private_segment_fixed_size 0
		.amdhsa_kernarg_size 320
		.amdhsa_user_sgpr_count 15
		.amdhsa_user_sgpr_dispatch_ptr 0
		.amdhsa_user_sgpr_queue_ptr 0
		.amdhsa_user_sgpr_kernarg_segment_ptr 1
		.amdhsa_user_sgpr_dispatch_id 0
		.amdhsa_user_sgpr_private_segment_size 0
		.amdhsa_wavefront_size32 1
		.amdhsa_uses_dynamic_stack 0
		.amdhsa_enable_private_segment 0
		.amdhsa_system_sgpr_workgroup_id_x 1
		.amdhsa_system_sgpr_workgroup_id_y 0
		.amdhsa_system_sgpr_workgroup_id_z 0
		.amdhsa_system_sgpr_workgroup_info 0
		.amdhsa_system_vgpr_workitem_id 0
		.amdhsa_next_free_vgpr 15
		.amdhsa_next_free_sgpr 16
		.amdhsa_reserve_vcc 1
		.amdhsa_float_round_mode_32 0
		.amdhsa_float_round_mode_16_64 0
		.amdhsa_float_denorm_mode_32 3
		.amdhsa_float_denorm_mode_16_64 3
		.amdhsa_dx10_clamp 1
		.amdhsa_ieee_mode 1
		.amdhsa_fp16_overflow 0
		.amdhsa_workgroup_processor_mode 1
		.amdhsa_memory_ordered 1
		.amdhsa_forward_progress 0
		.amdhsa_shared_vgpr_count 0
		.amdhsa_exception_fp_ieee_invalid_op 0
		.amdhsa_exception_fp_denorm_src 0
		.amdhsa_exception_fp_ieee_div_zero 0
		.amdhsa_exception_fp_ieee_overflow 0
		.amdhsa_exception_fp_ieee_underflow 0
		.amdhsa_exception_fp_ieee_inexact 0
		.amdhsa_exception_int_div_zero 0
	.end_amdhsa_kernel
	.section	.text._ZN12tensorrt_llm7kernels21fusedQKNormRopeKernelIN3c108BFloat16EfLi128ELb1EEEvPviiifPKvS6_S6_PKlii,"axG",@progbits,_ZN12tensorrt_llm7kernels21fusedQKNormRopeKernelIN3c108BFloat16EfLi128ELb1EEEvPviiifPKvS6_S6_PKlii,comdat
.Lfunc_end74:
	.size	_ZN12tensorrt_llm7kernels21fusedQKNormRopeKernelIN3c108BFloat16EfLi128ELb1EEEvPviiifPKvS6_S6_PKlii, .Lfunc_end74-_ZN12tensorrt_llm7kernels21fusedQKNormRopeKernelIN3c108BFloat16EfLi128ELb1EEEvPviiifPKvS6_S6_PKlii
                                        ; -- End function
	.section	.AMDGPU.csdata,"",@progbits
; Kernel info:
; codeLenInByte = 1524
; NumSgprs: 18
; NumVgprs: 15
; ScratchSize: 0
; MemoryBound: 0
; FloatMode: 240
; IeeeMode: 1
; LDSByteSize: 0 bytes/workgroup (compile time only)
; SGPRBlocks: 2
; VGPRBlocks: 1
; NumSGPRsForWavesPerEU: 18
; NumVGPRsForWavesPerEU: 15
; Occupancy: 16
; WaveLimiterHint : 1
; COMPUTE_PGM_RSRC2:SCRATCH_EN: 0
; COMPUTE_PGM_RSRC2:USER_SGPR: 15
; COMPUTE_PGM_RSRC2:TRAP_HANDLER: 0
; COMPUTE_PGM_RSRC2:TGID_X_EN: 1
; COMPUTE_PGM_RSRC2:TGID_Y_EN: 0
; COMPUTE_PGM_RSRC2:TGID_Z_EN: 0
; COMPUTE_PGM_RSRC2:TIDIG_COMP_CNT: 0
	.section	.text._ZN12tensorrt_llm7kernels21fusedQKNormRopeKernelIN3c108BFloat16EfLi128ELb0EEEvPviiifPKvS6_S6_PKlii,"axG",@progbits,_ZN12tensorrt_llm7kernels21fusedQKNormRopeKernelIN3c108BFloat16EfLi128ELb0EEEvPviiifPKvS6_S6_PKlii,comdat
	.protected	_ZN12tensorrt_llm7kernels21fusedQKNormRopeKernelIN3c108BFloat16EfLi128ELb0EEEvPviiifPKvS6_S6_PKlii ; -- Begin function _ZN12tensorrt_llm7kernels21fusedQKNormRopeKernelIN3c108BFloat16EfLi128ELb0EEEvPviiifPKvS6_S6_PKlii
	.globl	_ZN12tensorrt_llm7kernels21fusedQKNormRopeKernelIN3c108BFloat16EfLi128ELb0EEEvPviiifPKvS6_S6_PKlii
	.p2align	8
	.type	_ZN12tensorrt_llm7kernels21fusedQKNormRopeKernelIN3c108BFloat16EfLi128ELb0EEEvPviiifPKvS6_S6_PKlii,@function
_ZN12tensorrt_llm7kernels21fusedQKNormRopeKernelIN3c108BFloat16EfLi128ELb0EEEvPviiifPKvS6_S6_PKlii: ; @_ZN12tensorrt_llm7kernels21fusedQKNormRopeKernelIN3c108BFloat16EfLi128ELb0EEEvPviiifPKvS6_S6_PKlii
; %bb.0:
	s_clause 0x2
	s_load_b128 s[8:11], s[0:1], 0x8
	s_load_b64 s[12:13], s[0:1], 0x38
	s_load_b32 s4, s[0:1], 0x4c
	v_lshrrev_b32_e32 v3, 5, v0
	s_waitcnt lgkmcnt(0)
	s_add_i32 s2, s9, s8
	s_bfe_u32 s4, s4, 0xb0005
	s_abs_i32 s3, s2
	s_delay_alu instid0(SALU_CYCLE_1) | instskip(SKIP_1) | instid1(VALU_DEP_1)
	v_cvt_f32_u32_e32 v1, s3
	s_sub_i32 s5, 0, s3
	v_rcp_iflag_f32_e32 v1, v1
	s_waitcnt_depctr 0xfff
	v_mul_f32_e32 v1, 0x4f7ffffe, v1
	s_delay_alu instid0(VALU_DEP_1) | instskip(NEXT) | instid1(VALU_DEP_1)
	v_cvt_u32_f32_e32 v4, v1
	v_mul_lo_u32 v5, s5, v4
	v_mad_u64_u32 v[1:2], null, s15, s4, v[3:4]
	s_delay_alu instid0(VALU_DEP_2) | instskip(NEXT) | instid1(VALU_DEP_2)
	v_mul_hi_u32 v2, v4, v5
	v_sub_nc_u32_e32 v3, 0, v1
	s_delay_alu instid0(VALU_DEP_1) | instskip(NEXT) | instid1(VALU_DEP_3)
	v_max_i32_e32 v3, v1, v3
	v_add_nc_u32_e32 v2, v4, v2
	s_delay_alu instid0(VALU_DEP_1) | instskip(NEXT) | instid1(VALU_DEP_1)
	v_mul_hi_u32 v2, v3, v2
	v_mul_lo_u32 v4, v2, s3
	s_delay_alu instid0(VALU_DEP_1) | instskip(NEXT) | instid1(VALU_DEP_1)
	v_sub_nc_u32_e32 v3, v3, v4
	v_subrev_nc_u32_e32 v5, s3, v3
	v_cmp_le_u32_e32 vcc_lo, s3, v3
	s_delay_alu instid0(VALU_DEP_2) | instskip(NEXT) | instid1(VALU_DEP_1)
	v_dual_cndmask_b32 v3, v3, v5 :: v_dual_add_nc_u32 v4, 1, v2
	v_cndmask_b32_e32 v2, v2, v4, vcc_lo
	v_xor_b32_e32 v4, s2, v1
	s_delay_alu instid0(VALU_DEP_3) | instskip(NEXT) | instid1(VALU_DEP_3)
	v_cmp_le_u32_e32 vcc_lo, s3, v3
	v_add_nc_u32_e32 v5, 1, v2
	s_delay_alu instid0(VALU_DEP_3) | instskip(SKIP_1) | instid1(VALU_DEP_2)
	v_ashrrev_i32_e32 v4, 31, v4
	s_mov_b32 s3, exec_lo
	v_cndmask_b32_e32 v2, v2, v5, vcc_lo
	s_delay_alu instid0(VALU_DEP_1) | instskip(NEXT) | instid1(VALU_DEP_1)
	v_xor_b32_e32 v2, v2, v4
	v_sub_nc_u32_e32 v6, v2, v4
	s_delay_alu instid0(VALU_DEP_1)
	v_cmpx_gt_i32_e64 s12, v6
	s_cbranch_execz .LBB75_20
; %bb.1:
	v_mul_lo_u32 v2, v6, s2
	s_add_i32 s2, s2, s10
	v_and_b32_e32 v8, 31, v0
	v_mul_lo_u32 v3, v6, s2
	s_load_b64 s[2:3], s[0:1], 0x0
	v_mbcnt_lo_u32_b32 v9, -1, 0
	s_delay_alu instid0(VALU_DEP_4) | instskip(NEXT) | instid1(VALU_DEP_2)
	v_sub_nc_u32_e32 v1, v1, v2
	v_xor_b32_e32 v13, 16, v9
	s_delay_alu instid0(VALU_DEP_2) | instskip(SKIP_1) | instid1(VALU_DEP_1)
	v_cmp_gt_i32_e32 vcc_lo, s8, v1
	v_cndmask_b32_e64 v2, s8, 0, vcc_lo
	v_sub_nc_u32_e32 v0, v1, v2
	v_lshlrev_b32_e32 v1, 2, v8
	s_delay_alu instid0(VALU_DEP_2) | instskip(NEXT) | instid1(VALU_DEP_1)
	v_add3_u32 v0, v3, v2, v0
	v_lshl_or_b32 v0, v0, 7, v1
	s_delay_alu instid0(VALU_DEP_1) | instskip(NEXT) | instid1(VALU_DEP_1)
	v_ashrrev_i32_e32 v1, 31, v0
	v_lshlrev_b64 v[0:1], 1, v[0:1]
	s_waitcnt lgkmcnt(0)
	s_delay_alu instid0(VALU_DEP_1) | instskip(NEXT) | instid1(VALU_DEP_1)
	v_add_co_u32 v4, s2, s2, v0
	v_add_co_ci_u32_e64 v5, s2, s3, v1, s2
	s_load_b256 s[0:7], s[0:1], 0x18
	global_load_b64 v[0:1], v[4:5], off
	s_waitcnt lgkmcnt(0)
	v_dual_mov_b32 v2, s0 :: v_dual_mov_b32 v3, s1
	v_lshlrev_b32_e32 v10, 3, v8
	s_ashr_i32 s1, s13, 31
	s_delay_alu instid0(VALU_DEP_2) | instskip(NEXT) | instid1(VALU_DEP_3)
	v_cndmask_b32_e32 v2, s2, v2, vcc_lo
	v_cndmask_b32_e32 v3, s3, v3, vcc_lo
	s_lshr_b32 s0, s1, 30
	s_delay_alu instid0(SALU_CYCLE_1) | instskip(NEXT) | instid1(SALU_CYCLE_1)
	s_add_i32 s0, s13, s0
	s_ashr_i32 s0, s0, 2
	s_waitcnt vmcnt(0)
	v_lshlrev_b32_e32 v11, 16, v0
	v_add_co_u32 v2, vcc_lo, v2, v10
	v_add_co_ci_u32_e32 v3, vcc_lo, 0, v3, vcc_lo
	v_and_b32_e32 v7, 0xffff0000, v0
	v_alignbit_b32 v0, v1, v0, 16
	v_cmp_gt_i32_e32 vcc_lo, 32, v13
	global_load_b64 v[2:3], v[2:3], off
	v_mul_f32_e32 v12, v7, v7
	v_and_b32_e32 v14, 0xffff0000, v0
	v_cndmask_b32_e32 v0, v9, v13, vcc_lo
	v_and_b32_e32 v13, 0xffff0000, v1
	v_xor_b32_e32 v1, 8, v9
	v_fmac_f32_e32 v12, v11, v11
	s_delay_alu instid0(VALU_DEP_4) | instskip(NEXT) | instid1(VALU_DEP_3)
	v_lshlrev_b32_e32 v0, 2, v0
	v_cmp_gt_i32_e32 vcc_lo, 32, v1
	s_delay_alu instid0(VALU_DEP_3) | instskip(NEXT) | instid1(VALU_DEP_1)
	v_dual_cndmask_b32 v1, v9, v1 :: v_dual_fmac_f32 v12, v14, v14
	v_lshlrev_b32_e32 v1, 2, v1
	s_delay_alu instid0(VALU_DEP_2)
	v_fmac_f32_e32 v12, v13, v13
	ds_bpermute_b32 v0, v0, v12
	s_waitcnt lgkmcnt(0)
	v_add_f32_e32 v0, v12, v0
	v_xor_b32_e32 v12, 4, v9
	ds_bpermute_b32 v1, v1, v0
	v_cmp_gt_i32_e32 vcc_lo, 32, v12
	v_cndmask_b32_e32 v12, v9, v12, vcc_lo
	s_delay_alu instid0(VALU_DEP_1) | instskip(SKIP_4) | instid1(VALU_DEP_1)
	v_lshlrev_b32_e32 v12, 2, v12
	s_waitcnt lgkmcnt(0)
	v_add_f32_e32 v0, v0, v1
	ds_bpermute_b32 v1, v12, v0
	v_xor_b32_e32 v12, 2, v9
	v_cmp_gt_i32_e32 vcc_lo, 32, v12
	v_cndmask_b32_e32 v12, v9, v12, vcc_lo
	s_delay_alu instid0(VALU_DEP_1) | instskip(SKIP_4) | instid1(VALU_DEP_1)
	v_lshlrev_b32_e32 v12, 2, v12
	s_waitcnt lgkmcnt(0)
	v_add_f32_e32 v0, v0, v1
	ds_bpermute_b32 v1, v12, v0
	v_xor_b32_e32 v12, 1, v9
	v_cmp_gt_i32_e32 vcc_lo, 32, v12
	v_cndmask_b32_e32 v12, v9, v12, vcc_lo
	s_delay_alu instid0(VALU_DEP_1)
	v_lshlrev_b32_e32 v12, 2, v12
	s_waitcnt lgkmcnt(0)
	v_add_f32_e32 v0, v0, v1
	ds_bpermute_b32 v1, v12, v0
	v_mov_b32_e32 v12, s11
	s_waitcnt lgkmcnt(0)
	v_add_f32_e32 v0, v0, v1
	s_delay_alu instid0(VALU_DEP_1) | instskip(NEXT) | instid1(VALU_DEP_1)
	v_fmamk_f32 v0, v0, 0x3c000000, v12
	v_mul_f32_e32 v1, 0x4b800000, v0
	v_cmp_gt_f32_e32 vcc_lo, 0x800000, v0
	s_delay_alu instid0(VALU_DEP_2) | instskip(NEXT) | instid1(VALU_DEP_1)
	v_cndmask_b32_e32 v0, v0, v1, vcc_lo
	v_rsq_f32_e32 v0, v0
	s_waitcnt_depctr 0xfff
	v_mul_f32_e32 v1, 0x45800000, v0
	s_delay_alu instid0(VALU_DEP_1)
	v_cndmask_b32_e32 v0, v0, v1, vcc_lo
	v_cmp_gt_i32_e32 vcc_lo, s0, v8
	s_waitcnt vmcnt(0)
	v_lshlrev_b32_e32 v12, 16, v2
	v_and_b32_e32 v1, 0xffff0000, v2
	v_lshlrev_b32_e32 v2, 16, v3
	s_delay_alu instid0(VALU_DEP_3) | instskip(NEXT) | instid1(VALU_DEP_3)
	v_dual_mul_f32 v12, v0, v12 :: v_dual_and_b32 v3, 0xffff0000, v3
	v_mul_f32_e32 v1, v0, v1
	s_delay_alu instid0(VALU_DEP_3) | instskip(NEXT) | instid1(VALU_DEP_3)
	v_mul_f32_e32 v2, v0, v2
	v_mul_f32_e32 v3, v0, v3
	s_delay_alu instid0(VALU_DEP_4) | instskip(NEXT) | instid1(VALU_DEP_3)
	v_mul_f32_e32 v0, v12, v11
	v_dual_mul_f32 v1, v1, v7 :: v_dual_mul_f32 v2, v2, v14
	s_delay_alu instid0(VALU_DEP_3)
	v_mul_f32_e32 v3, v3, v13
	s_and_saveexec_b32 s0, vcc_lo
	s_cbranch_execz .LBB75_3
; %bb.2:
	v_ashrrev_i32_e32 v7, 31, v6
	v_or_b32_e32 v14, 4, v10
	v_or_b32_e32 v17, 6, v10
	s_delay_alu instid0(VALU_DEP_3) | instskip(NEXT) | instid1(VALU_DEP_1)
	v_lshlrev_b64 v[6:7], 3, v[6:7]
	v_add_co_u32 v6, vcc_lo, s6, v6
	s_delay_alu instid0(VALU_DEP_2) | instskip(SKIP_1) | instid1(SALU_CYCLE_1)
	v_add_co_ci_u32_e32 v7, vcc_lo, s7, v7, vcc_lo
	s_abs_i32 s6, s13
	v_cvt_f32_u32_e32 v11, s6
	global_load_b64 v[6:7], v[6:7], off
	s_sub_i32 s2, 0, s6
	; wave barrier
	v_rcp_iflag_f32_e32 v11, v11
	s_waitcnt_depctr 0xfff
	v_mul_f32_e32 v11, 0x4f7ffffe, v11
	s_delay_alu instid0(VALU_DEP_1) | instskip(NEXT) | instid1(VALU_DEP_1)
	v_cvt_u32_f32_e32 v11, v11
	v_mul_lo_u32 v12, s2, v11
	s_lshr_b32 s2, s13, 31
	s_delay_alu instid0(SALU_CYCLE_1) | instskip(NEXT) | instid1(SALU_CYCLE_1)
	s_add_i32 s2, s13, s2
	s_ashr_i32 s2, s2, 1
	s_delay_alu instid0(SALU_CYCLE_1) | instskip(NEXT) | instid1(VALU_DEP_1)
	s_ashr_i32 s3, s2, 31
	v_mul_hi_u32 v12, v11, v12
	s_lshl_b64 s[2:3], s[2:3], 2
	s_delay_alu instid0(VALU_DEP_1) | instskip(SKIP_1) | instid1(VALU_DEP_2)
	v_add_nc_u32_e32 v11, v11, v12
	v_or_b32_e32 v12, 2, v10
	v_mul_hi_u32 v13, v10, v11
	s_delay_alu instid0(VALU_DEP_2) | instskip(NEXT) | instid1(VALU_DEP_2)
	v_mul_hi_u32 v15, v12, v11
	v_mul_lo_u32 v13, v13, s6
	s_delay_alu instid0(VALU_DEP_2) | instskip(NEXT) | instid1(VALU_DEP_2)
	v_mul_lo_u32 v15, v15, s6
	v_sub_nc_u32_e32 v10, v10, v13
	s_delay_alu instid0(VALU_DEP_2) | instskip(NEXT) | instid1(VALU_DEP_2)
	v_sub_nc_u32_e32 v12, v12, v15
	v_subrev_nc_u32_e32 v15, s6, v10
	v_cmp_le_u32_e32 vcc_lo, s6, v10
	s_delay_alu instid0(VALU_DEP_2) | instskip(SKIP_3) | instid1(VALU_DEP_3)
	v_cndmask_b32_e32 v10, v10, v15, vcc_lo
	v_mul_hi_u32 v16, v14, v11
	v_mul_hi_u32 v18, v17, v11
	v_cmp_le_u32_e32 vcc_lo, s6, v12
	v_mul_lo_u32 v16, v16, s6
	s_delay_alu instid0(VALU_DEP_3) | instskip(NEXT) | instid1(VALU_DEP_2)
	v_mul_lo_u32 v13, v18, s6
	v_sub_nc_u32_e32 v14, v14, v16
	v_subrev_nc_u32_e32 v16, s6, v12
	s_delay_alu instid0(VALU_DEP_2) | instskip(NEXT) | instid1(VALU_DEP_2)
	v_subrev_nc_u32_e32 v15, s6, v14
	v_cndmask_b32_e32 v12, v12, v16, vcc_lo
	v_cmp_le_u32_e32 vcc_lo, s6, v14
	v_mov_b32_e32 v11, 0
	v_sub_nc_u32_e32 v16, v17, v13
	v_subrev_nc_u32_e32 v13, s6, v10
	v_cndmask_b32_e32 v14, v14, v15, vcc_lo
	v_cmp_le_u32_e32 vcc_lo, s6, v10
	v_subrev_nc_u32_e32 v15, s6, v12
	v_subrev_nc_u32_e32 v17, s6, v16
	s_delay_alu instid0(VALU_DEP_4) | instskip(SKIP_4) | instid1(VALU_DEP_4)
	v_subrev_nc_u32_e32 v18, s6, v14
	v_cndmask_b32_e32 v10, v10, v13, vcc_lo
	v_cmp_le_u32_e32 vcc_lo, s6, v12
	v_cndmask_b32_e32 v15, v12, v15, vcc_lo
	v_cmp_le_u32_e32 vcc_lo, s6, v16
	v_lshrrev_b32_e32 v10, 1, v10
	v_cndmask_b32_e32 v16, v16, v17, vcc_lo
	v_cmp_le_u32_e32 vcc_lo, s6, v14
	v_cndmask_b32_e32 v17, v14, v18, vcc_lo
	s_delay_alu instid0(VALU_DEP_3) | instskip(SKIP_1) | instid1(VALU_DEP_2)
	v_subrev_nc_u32_e32 v18, s6, v16
	v_cmp_le_u32_e32 vcc_lo, s6, v16
	v_cndmask_b32_e32 v18, v16, v18, vcc_lo
	s_waitcnt vmcnt(0)
	v_mul_lo_u32 v19, v7, s13
	v_mul_lo_u32 v20, v6, s1
	v_mad_u64_u32 v[12:13], null, v6, s13, 0
	v_lshlrev_b64 v[6:7], 2, v[10:11]
	v_lshrrev_b32_e32 v10, 1, v15
	s_lshr_b32 s1, s1, 29
	s_delay_alu instid0(SALU_CYCLE_1) | instskip(NEXT) | instid1(VALU_DEP_3)
	s_add_i32 s1, s13, s1
	v_add3_u32 v13, v13, v20, v19
	s_delay_alu instid0(VALU_DEP_2) | instskip(SKIP_2) | instid1(VALU_DEP_3)
	v_lshlrev_b64 v[14:15], 2, v[10:11]
	v_lshrrev_b32_e32 v10, 1, v17
	s_ashr_i32 s1, s1, 3
	v_lshlrev_b64 v[12:13], 2, v[12:13]
	s_delay_alu instid0(VALU_DEP_2) | instskip(SKIP_1) | instid1(VALU_DEP_3)
	v_lshlrev_b64 v[16:17], 2, v[10:11]
	v_lshrrev_b32_e32 v10, 1, v18
	v_add_co_u32 v22, vcc_lo, s4, v12
	s_delay_alu instid0(VALU_DEP_4) | instskip(NEXT) | instid1(VALU_DEP_3)
	v_add_co_ci_u32_e32 v23, vcc_lo, s5, v13, vcc_lo
	v_lshlrev_b64 v[10:11], 2, v[10:11]
	s_delay_alu instid0(VALU_DEP_3) | instskip(NEXT) | instid1(VALU_DEP_3)
	v_add_co_u32 v24, vcc_lo, v22, s2
	v_add_co_ci_u32_e32 v25, vcc_lo, s3, v23, vcc_lo
	v_add_co_u32 v12, vcc_lo, v22, v6
	v_add_co_ci_u32_e32 v13, vcc_lo, v23, v7, vcc_lo
	;; [unrolled: 2-line block ×9, first 2 shown]
	s_clause 0x7
	global_load_b32 v6, v[6:7], off
	global_load_b32 v7, v[14:15], off
	;; [unrolled: 1-line block ×8, first 2 shown]
	v_xor_b32_e32 v16, s1, v9
	; wave barrier
	s_delay_alu instid0(VALU_DEP_1) | instskip(SKIP_2) | instid1(VALU_DEP_2)
	v_cmp_gt_i32_e32 vcc_lo, 32, v16
	v_cndmask_b32_e32 v9, v9, v16, vcc_lo
	v_cmp_gt_i32_e32 vcc_lo, s1, v8
	v_lshlrev_b32_e32 v9, 2, v9
	ds_bpermute_b32 v16, v9, v0
	s_waitcnt lgkmcnt(0)
	v_cndmask_b32_e64 v8, v16, -v16, vcc_lo
	s_waitcnt vmcnt(7)
	s_delay_alu instid0(VALU_DEP_1)
	v_mul_f32_e32 v6, v8, v6
	ds_bpermute_b32 v17, v9, v1
	ds_bpermute_b32 v18, v9, v2
	;; [unrolled: 1-line block ×3, first 2 shown]
	s_waitcnt vmcnt(3)
	v_fmac_f32_e32 v6, v0, v11
	s_waitcnt lgkmcnt(2)
	v_cndmask_b32_e64 v16, v17, -v17, vcc_lo
	s_waitcnt lgkmcnt(1)
	v_cndmask_b32_e64 v17, v18, -v18, vcc_lo
	;; [unrolled: 2-line block ×3, first 2 shown]
	s_delay_alu instid0(VALU_DEP_2) | instskip(NEXT) | instid1(VALU_DEP_2)
	v_dual_mul_f32 v7, v16, v7 :: v_dual_mul_f32 v8, v17, v14
	v_mul_f32_e32 v9, v9, v10
	s_waitcnt vmcnt(1)
	s_delay_alu instid0(VALU_DEP_2) | instskip(SKIP_1) | instid1(VALU_DEP_2)
	v_dual_fmac_f32 v7, v1, v12 :: v_dual_fmac_f32 v8, v2, v13
	s_waitcnt vmcnt(0)
	v_fmac_f32_e32 v9, v3, v15
	s_delay_alu instid0(VALU_DEP_2) | instskip(NEXT) | instid1(VALU_DEP_2)
	v_dual_mov_b32 v0, v6 :: v_dual_mov_b32 v1, v7
	v_dual_mov_b32 v2, v8 :: v_dual_mov_b32 v3, v9
.LBB75_3:
	s_or_b32 exec_lo, exec_lo, s0
	s_delay_alu instid0(VALU_DEP_2) | instskip(NEXT) | instid1(VALU_DEP_1)
	v_and_b32_e32 v6, 0x7f800000, v0
	v_cmp_ne_u32_e32 vcc_lo, 0x7f800000, v6
                                        ; implicit-def: $vgpr6
	s_and_saveexec_b32 s0, vcc_lo
	s_delay_alu instid0(SALU_CYCLE_1)
	s_xor_b32 s0, exec_lo, s0
; %bb.4:
	v_bfe_u32 v6, v0, 16, 1
	s_delay_alu instid0(VALU_DEP_1)
	v_add3_u32 v6, v0, v6, 0x7fff
; %bb.5:
	s_and_not1_saveexec_b32 s0, s0
; %bb.6:
	v_and_b32_e32 v6, 0xffff, v0
	v_or_b32_e32 v7, 0x10000, v0
	s_delay_alu instid0(VALU_DEP_2) | instskip(NEXT) | instid1(VALU_DEP_2)
	v_cmp_eq_u32_e32 vcc_lo, 0, v6
	v_cndmask_b32_e32 v6, v7, v0, vcc_lo
; %bb.7:
	s_or_b32 exec_lo, exec_lo, s0
	v_and_b32_e32 v0, 0x7f800000, v1
	s_mov_b32 s0, exec_lo
                                        ; implicit-def: $vgpr7
	s_delay_alu instid0(VALU_DEP_1)
	v_cmpx_ne_u32_e32 0x7f800000, v0
	s_xor_b32 s0, exec_lo, s0
; %bb.8:
	v_bfe_u32 v0, v1, 16, 1
	s_delay_alu instid0(VALU_DEP_1)
	v_add3_u32 v7, v1, v0, 0x7fff
; %bb.9:
	s_and_not1_saveexec_b32 s0, s0
; %bb.10:
	v_and_b32_e32 v0, 0xffff, v1
	v_or_b32_e32 v7, 0x10000, v1
	s_delay_alu instid0(VALU_DEP_2) | instskip(NEXT) | instid1(VALU_DEP_2)
	v_cmp_eq_u32_e32 vcc_lo, 0, v0
	v_cndmask_b32_e32 v7, v7, v1, vcc_lo
; %bb.11:
	s_or_b32 exec_lo, exec_lo, s0
	v_and_b32_e32 v0, 0x7f800000, v2
	s_mov_b32 s0, exec_lo
                                        ; implicit-def: $vgpr8
	s_delay_alu instid0(VALU_DEP_1)
	v_cmpx_ne_u32_e32 0x7f800000, v0
	s_xor_b32 s0, exec_lo, s0
; %bb.12:
	v_bfe_u32 v0, v2, 16, 1
	s_delay_alu instid0(VALU_DEP_1)
	v_add3_u32 v8, v2, v0, 0x7fff
; %bb.13:
	s_and_not1_saveexec_b32 s0, s0
; %bb.14:
	v_and_b32_e32 v0, 0xffff, v2
	v_or_b32_e32 v1, 0x10000, v2
	s_delay_alu instid0(VALU_DEP_2) | instskip(NEXT) | instid1(VALU_DEP_2)
	v_cmp_eq_u32_e32 vcc_lo, 0, v0
	v_cndmask_b32_e32 v8, v1, v2, vcc_lo
; %bb.15:
	s_or_b32 exec_lo, exec_lo, s0
	v_and_b32_e32 v0, 0x7f800000, v3
	s_mov_b32 s0, exec_lo
                                        ; implicit-def: $vgpr9
	s_delay_alu instid0(VALU_DEP_1)
	v_cmpx_ne_u32_e32 0x7f800000, v0
	s_xor_b32 s0, exec_lo, s0
; %bb.16:
	v_bfe_u32 v0, v3, 16, 1
	s_delay_alu instid0(VALU_DEP_1)
	v_add3_u32 v9, v3, v0, 0x7fff
                                        ; implicit-def: $vgpr0_vgpr1_vgpr2_vgpr3
; %bb.17:
	s_and_not1_saveexec_b32 s0, s0
; %bb.18:
	v_and_b32_e32 v0, 0xffff, v3
	v_or_b32_e32 v1, 0x10000, v3
	s_delay_alu instid0(VALU_DEP_2) | instskip(NEXT) | instid1(VALU_DEP_2)
	v_cmp_eq_u32_e32 vcc_lo, 0, v0
	v_cndmask_b32_e32 v9, v1, v3, vcc_lo
; %bb.19:
	s_or_b32 exec_lo, exec_lo, s0
	v_lshrrev_b32_e32 v0, 16, v8
	s_delay_alu instid0(VALU_DEP_2) | instskip(SKIP_1) | instid1(VALU_DEP_2)
	v_and_b32_e32 v1, 0xffff0000, v9
	v_lshrrev_b32_e32 v2, 16, v6
	v_or_b32_e32 v1, v1, v0
	s_delay_alu instid0(VALU_DEP_2)
	v_and_or_b32 v0, 0xffff0000, v7, v2
	global_store_b64 v[4:5], v[0:1], off
.LBB75_20:
	s_nop 0
	s_sendmsg sendmsg(MSG_DEALLOC_VGPRS)
	s_endpgm
	.section	.rodata,"a",@progbits
	.p2align	6, 0x0
	.amdhsa_kernel _ZN12tensorrt_llm7kernels21fusedQKNormRopeKernelIN3c108BFloat16EfLi128ELb0EEEvPviiifPKvS6_S6_PKlii
		.amdhsa_group_segment_fixed_size 0
		.amdhsa_private_segment_fixed_size 0
		.amdhsa_kernarg_size 320
		.amdhsa_user_sgpr_count 15
		.amdhsa_user_sgpr_dispatch_ptr 0
		.amdhsa_user_sgpr_queue_ptr 0
		.amdhsa_user_sgpr_kernarg_segment_ptr 1
		.amdhsa_user_sgpr_dispatch_id 0
		.amdhsa_user_sgpr_private_segment_size 0
		.amdhsa_wavefront_size32 1
		.amdhsa_uses_dynamic_stack 0
		.amdhsa_enable_private_segment 0
		.amdhsa_system_sgpr_workgroup_id_x 1
		.amdhsa_system_sgpr_workgroup_id_y 0
		.amdhsa_system_sgpr_workgroup_id_z 0
		.amdhsa_system_sgpr_workgroup_info 0
		.amdhsa_system_vgpr_workitem_id 0
		.amdhsa_next_free_vgpr 26
		.amdhsa_next_free_sgpr 16
		.amdhsa_reserve_vcc 1
		.amdhsa_float_round_mode_32 0
		.amdhsa_float_round_mode_16_64 0
		.amdhsa_float_denorm_mode_32 3
		.amdhsa_float_denorm_mode_16_64 3
		.amdhsa_dx10_clamp 1
		.amdhsa_ieee_mode 1
		.amdhsa_fp16_overflow 0
		.amdhsa_workgroup_processor_mode 1
		.amdhsa_memory_ordered 1
		.amdhsa_forward_progress 0
		.amdhsa_shared_vgpr_count 0
		.amdhsa_exception_fp_ieee_invalid_op 0
		.amdhsa_exception_fp_denorm_src 0
		.amdhsa_exception_fp_ieee_div_zero 0
		.amdhsa_exception_fp_ieee_overflow 0
		.amdhsa_exception_fp_ieee_underflow 0
		.amdhsa_exception_fp_ieee_inexact 0
		.amdhsa_exception_int_div_zero 0
	.end_amdhsa_kernel
	.section	.text._ZN12tensorrt_llm7kernels21fusedQKNormRopeKernelIN3c108BFloat16EfLi128ELb0EEEvPviiifPKvS6_S6_PKlii,"axG",@progbits,_ZN12tensorrt_llm7kernels21fusedQKNormRopeKernelIN3c108BFloat16EfLi128ELb0EEEvPviiifPKvS6_S6_PKlii,comdat
.Lfunc_end75:
	.size	_ZN12tensorrt_llm7kernels21fusedQKNormRopeKernelIN3c108BFloat16EfLi128ELb0EEEvPviiifPKvS6_S6_PKlii, .Lfunc_end75-_ZN12tensorrt_llm7kernels21fusedQKNormRopeKernelIN3c108BFloat16EfLi128ELb0EEEvPviiifPKvS6_S6_PKlii
                                        ; -- End function
	.section	.AMDGPU.csdata,"",@progbits
; Kernel info:
; codeLenInByte = 2120
; NumSgprs: 18
; NumVgprs: 26
; ScratchSize: 0
; MemoryBound: 0
; FloatMode: 240
; IeeeMode: 1
; LDSByteSize: 0 bytes/workgroup (compile time only)
; SGPRBlocks: 2
; VGPRBlocks: 3
; NumSGPRsForWavesPerEU: 18
; NumVGPRsForWavesPerEU: 26
; Occupancy: 16
; WaveLimiterHint : 1
; COMPUTE_PGM_RSRC2:SCRATCH_EN: 0
; COMPUTE_PGM_RSRC2:USER_SGPR: 15
; COMPUTE_PGM_RSRC2:TRAP_HANDLER: 0
; COMPUTE_PGM_RSRC2:TGID_X_EN: 1
; COMPUTE_PGM_RSRC2:TGID_Y_EN: 0
; COMPUTE_PGM_RSRC2:TGID_Z_EN: 0
; COMPUTE_PGM_RSRC2:TIDIG_COMP_CNT: 0
	.section	.text._ZN12tensorrt_llm7kernels21fusedQKNormRopeKernelIN3c108BFloat16EfLi256ELb1EEEvPviiifPKvS6_S6_PKlii,"axG",@progbits,_ZN12tensorrt_llm7kernels21fusedQKNormRopeKernelIN3c108BFloat16EfLi256ELb1EEEvPviiifPKvS6_S6_PKlii,comdat
	.protected	_ZN12tensorrt_llm7kernels21fusedQKNormRopeKernelIN3c108BFloat16EfLi256ELb1EEEvPviiifPKvS6_S6_PKlii ; -- Begin function _ZN12tensorrt_llm7kernels21fusedQKNormRopeKernelIN3c108BFloat16EfLi256ELb1EEEvPviiifPKvS6_S6_PKlii
	.globl	_ZN12tensorrt_llm7kernels21fusedQKNormRopeKernelIN3c108BFloat16EfLi256ELb1EEEvPviiifPKvS6_S6_PKlii
	.p2align	8
	.type	_ZN12tensorrt_llm7kernels21fusedQKNormRopeKernelIN3c108BFloat16EfLi256ELb1EEEvPviiifPKvS6_S6_PKlii,@function
_ZN12tensorrt_llm7kernels21fusedQKNormRopeKernelIN3c108BFloat16EfLi256ELb1EEEvPviiifPKvS6_S6_PKlii: ; @_ZN12tensorrt_llm7kernels21fusedQKNormRopeKernelIN3c108BFloat16EfLi256ELb1EEEvPviiifPKvS6_S6_PKlii
; %bb.0:
	s_clause 0x2
	s_load_b128 s[8:11], s[0:1], 0x8
	s_load_b64 s[12:13], s[0:1], 0x38
	s_load_b32 s4, s[0:1], 0x4c
	v_lshrrev_b32_e32 v3, 5, v0
	s_waitcnt lgkmcnt(0)
	s_add_i32 s2, s9, s8
	s_bfe_u32 s4, s4, 0xb0005
	s_abs_i32 s3, s2
	s_delay_alu instid0(SALU_CYCLE_1) | instskip(SKIP_1) | instid1(VALU_DEP_1)
	v_cvt_f32_u32_e32 v1, s3
	s_sub_i32 s5, 0, s3
	v_rcp_iflag_f32_e32 v1, v1
	s_waitcnt_depctr 0xfff
	v_mul_f32_e32 v1, 0x4f7ffffe, v1
	s_delay_alu instid0(VALU_DEP_1) | instskip(NEXT) | instid1(VALU_DEP_1)
	v_cvt_u32_f32_e32 v4, v1
	v_mul_lo_u32 v5, s5, v4
	v_mad_u64_u32 v[1:2], null, s15, s4, v[3:4]
	s_delay_alu instid0(VALU_DEP_2) | instskip(NEXT) | instid1(VALU_DEP_2)
	v_mul_hi_u32 v2, v4, v5
	v_sub_nc_u32_e32 v3, 0, v1
	s_delay_alu instid0(VALU_DEP_1) | instskip(NEXT) | instid1(VALU_DEP_3)
	v_max_i32_e32 v3, v1, v3
	v_add_nc_u32_e32 v2, v4, v2
	s_delay_alu instid0(VALU_DEP_1) | instskip(NEXT) | instid1(VALU_DEP_1)
	v_mul_hi_u32 v2, v3, v2
	v_mul_lo_u32 v4, v2, s3
	s_delay_alu instid0(VALU_DEP_1) | instskip(NEXT) | instid1(VALU_DEP_1)
	v_sub_nc_u32_e32 v3, v3, v4
	v_subrev_nc_u32_e32 v5, s3, v3
	v_cmp_le_u32_e32 vcc_lo, s3, v3
	s_delay_alu instid0(VALU_DEP_2) | instskip(NEXT) | instid1(VALU_DEP_1)
	v_dual_cndmask_b32 v3, v3, v5 :: v_dual_add_nc_u32 v4, 1, v2
	v_cndmask_b32_e32 v2, v2, v4, vcc_lo
	v_xor_b32_e32 v4, s2, v1
	s_delay_alu instid0(VALU_DEP_3) | instskip(NEXT) | instid1(VALU_DEP_3)
	v_cmp_le_u32_e32 vcc_lo, s3, v3
	v_add_nc_u32_e32 v5, 1, v2
	s_delay_alu instid0(VALU_DEP_3) | instskip(SKIP_1) | instid1(VALU_DEP_2)
	v_ashrrev_i32_e32 v4, 31, v4
	s_mov_b32 s3, exec_lo
	v_cndmask_b32_e32 v2, v2, v5, vcc_lo
	s_delay_alu instid0(VALU_DEP_1) | instskip(NEXT) | instid1(VALU_DEP_1)
	v_xor_b32_e32 v2, v2, v4
	v_sub_nc_u32_e32 v10, v2, v4
	s_delay_alu instid0(VALU_DEP_1)
	v_cmpx_gt_i32_e64 s12, v10
	s_cbranch_execz .LBB76_36
; %bb.1:
	v_mul_lo_u32 v2, v10, s2
	s_add_i32 s2, s2, s10
	v_and_b32_e32 v11, 31, v0
	v_mul_lo_u32 v3, v10, s2
	s_load_b64 s[2:3], s[0:1], 0x0
	s_delay_alu instid0(VALU_DEP_3) | instskip(NEXT) | instid1(VALU_DEP_1)
	v_sub_nc_u32_e32 v1, v1, v2
	v_cmp_gt_i32_e32 vcc_lo, s8, v1
	v_cndmask_b32_e64 v2, s8, 0, vcc_lo
	s_delay_alu instid0(VALU_DEP_1) | instskip(SKIP_1) | instid1(VALU_DEP_2)
	v_sub_nc_u32_e32 v0, v1, v2
	v_lshlrev_b32_e32 v1, 3, v11
	v_add3_u32 v0, v3, v2, v0
	s_delay_alu instid0(VALU_DEP_1) | instskip(NEXT) | instid1(VALU_DEP_1)
	v_lshl_or_b32 v0, v0, 8, v1
	v_ashrrev_i32_e32 v1, 31, v0
	s_delay_alu instid0(VALU_DEP_1) | instskip(SKIP_1) | instid1(VALU_DEP_1)
	v_lshlrev_b64 v[0:1], 1, v[0:1]
	s_waitcnt lgkmcnt(0)
	v_add_co_u32 v8, s2, s2, v0
	s_delay_alu instid0(VALU_DEP_1)
	v_add_co_ci_u32_e64 v9, s2, s3, v1, s2
	s_load_b256 s[0:7], s[0:1], 0x18
	global_load_b128 v[0:3], v[8:9], off
	s_waitcnt lgkmcnt(0)
	v_dual_mov_b32 v4, s0 :: v_dual_mov_b32 v5, s1
	v_lshlrev_b32_e32 v12, 4, v11
	s_ashr_i32 s1, s13, 31
	s_delay_alu instid0(VALU_DEP_2) | instskip(NEXT) | instid1(VALU_DEP_3)
	v_cndmask_b32_e32 v4, s2, v4, vcc_lo
	v_cndmask_b32_e32 v5, s3, v5, vcc_lo
	s_lshr_b32 s0, s1, 29
	s_delay_alu instid0(SALU_CYCLE_1) | instskip(NEXT) | instid1(VALU_DEP_2)
	s_add_i32 s0, s13, s0
	v_add_co_u32 v4, vcc_lo, v4, v12
	s_ashr_i32 s0, s0, 3
	s_waitcnt vmcnt(0)
	v_lshlrev_b32_e32 v15, 16, v1
	v_and_b32_e32 v13, 0xffff0000, v0
	v_lshlrev_b32_e32 v0, 16, v0
	v_add_co_ci_u32_e32 v5, vcc_lo, 0, v5, vcc_lo
	v_and_b32_e32 v16, 0xffff0000, v1
	v_mbcnt_lo_u32_b32 v1, -1, 0
	v_dual_mul_f32 v14, v13, v13 :: v_dual_lshlrev_b32 v17, 16, v2
	global_load_b128 v[4:7], v[4:5], off
	v_and_b32_e32 v18, 0xffff0000, v2
	v_xor_b32_e32 v2, 16, v1
	v_dual_fmac_f32 v14, v0, v0 :: v_dual_lshlrev_b32 v19, 16, v3
	v_and_b32_e32 v20, 0xffff0000, v3
	v_xor_b32_e32 v3, 8, v1
	s_delay_alu instid0(VALU_DEP_4) | instskip(NEXT) | instid1(VALU_DEP_4)
	v_cmp_gt_i32_e32 vcc_lo, 32, v2
	v_fmac_f32_e32 v14, v15, v15
	v_cndmask_b32_e32 v2, v1, v2, vcc_lo
	s_delay_alu instid0(VALU_DEP_4) | instskip(NEXT) | instid1(VALU_DEP_2)
	v_cmp_gt_i32_e32 vcc_lo, 32, v3
	v_dual_cndmask_b32 v3, v1, v3 :: v_dual_lshlrev_b32 v2, 2, v2
	s_delay_alu instid0(VALU_DEP_1) | instskip(NEXT) | instid1(VALU_DEP_1)
	v_dual_fmac_f32 v14, v16, v16 :: v_dual_lshlrev_b32 v3, 2, v3
	v_fmac_f32_e32 v14, v17, v17
	s_delay_alu instid0(VALU_DEP_1) | instskip(NEXT) | instid1(VALU_DEP_1)
	v_fmac_f32_e32 v14, v18, v18
	v_fmac_f32_e32 v14, v19, v19
	s_delay_alu instid0(VALU_DEP_1)
	v_fmac_f32_e32 v14, v20, v20
	ds_bpermute_b32 v2, v2, v14
	s_waitcnt lgkmcnt(0)
	v_add_f32_e32 v2, v14, v2
	v_xor_b32_e32 v14, 4, v1
	ds_bpermute_b32 v3, v3, v2
	v_cmp_gt_i32_e32 vcc_lo, 32, v14
	v_cndmask_b32_e32 v14, v1, v14, vcc_lo
	s_waitcnt lgkmcnt(0)
	v_add_f32_e32 v2, v2, v3
	s_waitcnt vmcnt(0)
	v_lshlrev_b32_e32 v21, 16, v7
	v_lshlrev_b32_e32 v14, 2, v14
	v_and_b32_e32 v7, 0xffff0000, v7
	ds_bpermute_b32 v3, v14, v2
	v_xor_b32_e32 v14, 2, v1
	s_delay_alu instid0(VALU_DEP_1) | instskip(SKIP_1) | instid1(VALU_DEP_1)
	v_cmp_gt_i32_e32 vcc_lo, 32, v14
	v_cndmask_b32_e32 v14, v1, v14, vcc_lo
	v_lshlrev_b32_e32 v14, 2, v14
	s_waitcnt lgkmcnt(0)
	v_add_f32_e32 v2, v2, v3
	ds_bpermute_b32 v3, v14, v2
	v_xor_b32_e32 v14, 1, v1
	s_delay_alu instid0(VALU_DEP_1) | instskip(SKIP_2) | instid1(VALU_DEP_1)
	v_cmp_gt_i32_e32 vcc_lo, 32, v14
	v_cndmask_b32_e32 v1, v1, v14, vcc_lo
	s_waitcnt lgkmcnt(0)
	v_dual_add_f32 v2, v2, v3 :: v_dual_lshlrev_b32 v1, 2, v1
	v_mov_b32_e32 v3, s11
	ds_bpermute_b32 v1, v1, v2
	s_waitcnt lgkmcnt(0)
	v_add_f32_e32 v1, v2, v1
	s_delay_alu instid0(VALU_DEP_1) | instskip(NEXT) | instid1(VALU_DEP_1)
	v_fmamk_f32 v1, v1, 0x3b800000, v3
	v_dual_mul_f32 v2, 0x4b800000, v1 :: v_dual_lshlrev_b32 v3, 16, v4
	v_cmp_gt_f32_e32 vcc_lo, 0x800000, v1
	s_delay_alu instid0(VALU_DEP_2) | instskip(NEXT) | instid1(VALU_DEP_1)
	v_cndmask_b32_e32 v1, v1, v2, vcc_lo
	v_rsq_f32_e32 v1, v1
	s_waitcnt_depctr 0xfff
	v_mul_f32_e32 v2, 0x45800000, v1
	s_delay_alu instid0(VALU_DEP_1) | instskip(SKIP_3) | instid1(VALU_DEP_4)
	v_dual_cndmask_b32 v1, v1, v2 :: v_dual_and_b32 v4, 0xffff0000, v4
	v_lshlrev_b32_e32 v2, 16, v6
	v_and_b32_e32 v6, 0xffff0000, v6
	v_cmp_gt_i32_e32 vcc_lo, s0, v11
	v_dual_mul_f32 v7, v1, v7 :: v_dual_lshlrev_b32 v14, 16, v5
	v_and_b32_e32 v5, 0xffff0000, v5
	v_mul_f32_e32 v3, v1, v3
	v_mul_f32_e32 v4, v1, v4
	s_delay_alu instid0(VALU_DEP_4) | instskip(NEXT) | instid1(VALU_DEP_4)
	v_dual_mul_f32 v7, v7, v20 :: v_dual_mul_f32 v14, v1, v14
	v_mul_f32_e32 v5, v1, v5
	v_mul_f32_e32 v22, v1, v2
	;; [unrolled: 1-line block ×3, first 2 shown]
	v_dual_mul_f32 v21, v1, v21 :: v_dual_mul_f32 v0, v3, v0
	v_dual_mul_f32 v1, v4, v13 :: v_dual_mul_f32 v2, v14, v15
	s_delay_alu instid0(VALU_DEP_4) | instskip(NEXT) | instid1(VALU_DEP_3)
	v_dual_mul_f32 v3, v5, v16 :: v_dual_mul_f32 v4, v22, v17
	v_dual_mul_f32 v5, v6, v18 :: v_dual_mul_f32 v6, v21, v19
	s_and_saveexec_b32 s0, vcc_lo
	s_cbranch_execz .LBB76_3
; %bb.2:
	v_ashrrev_i32_e32 v11, 31, v10
	s_delay_alu instid0(VALU_DEP_1) | instskip(NEXT) | instid1(VALU_DEP_1)
	v_lshlrev_b64 v[10:11], 3, v[10:11]
	v_add_co_u32 v10, vcc_lo, s6, v10
	s_delay_alu instid0(VALU_DEP_2)
	v_add_co_ci_u32_e32 v11, vcc_lo, s7, v11, vcc_lo
	global_load_b64 v[10:11], v[10:11], off
	s_waitcnt vmcnt(0)
	v_mul_lo_u32 v11, v11, s13
	v_mul_lo_u32 v15, v10, s1
	v_mad_u64_u32 v[13:14], null, v10, s13, 0
	s_lshr_b32 s1, s13, 31
	s_delay_alu instid0(SALU_CYCLE_1) | instskip(NEXT) | instid1(SALU_CYCLE_1)
	s_add_i32 s1, s13, s1
	s_ashr_i32 s2, s1, 1
	s_delay_alu instid0(VALU_DEP_1) | instskip(SKIP_1) | instid1(SALU_CYCLE_1)
	v_add3_u32 v14, v14, v15, v11
	s_ashr_i32 s3, s2, 31
	s_lshl_b64 s[2:3], s[2:3], 2
	s_delay_alu instid0(VALU_DEP_1) | instskip(NEXT) | instid1(VALU_DEP_1)
	v_lshlrev_b64 v[10:11], 2, v[13:14]
	v_add_co_u32 v10, vcc_lo, s4, v10
	s_delay_alu instid0(VALU_DEP_2) | instskip(NEXT) | instid1(VALU_DEP_2)
	v_add_co_ci_u32_e32 v11, vcc_lo, s5, v11, vcc_lo
	v_add_co_u32 v10, vcc_lo, v10, v12
	s_delay_alu instid0(VALU_DEP_2) | instskip(NEXT) | instid1(VALU_DEP_2)
	v_add_co_ci_u32_e32 v11, vcc_lo, 0, v11, vcc_lo
	v_add_co_u32 v12, vcc_lo, v10, s2
	s_delay_alu instid0(VALU_DEP_2)
	v_add_co_ci_u32_e32 v13, vcc_lo, s3, v11, vcc_lo
	s_clause 0x1
	global_load_b128 v[13:16], v[12:13], off
	global_load_b128 v[18:21], v[10:11], off
	s_waitcnt vmcnt(1)
	v_mul_f32_e32 v10, v1, v13
	v_dual_mul_f32 v11, v0, v13 :: v_dual_mul_f32 v12, v3, v14
	v_dual_mul_f32 v13, v2, v14 :: v_dual_mul_f32 v14, v5, v15
	v_mul_f32_e32 v17, v6, v16
	v_dual_mul_f32 v15, v4, v15 :: v_dual_mul_f32 v22, v7, v16
	s_waitcnt vmcnt(0)
	v_fma_f32 v10, v0, v18, -v10
	v_fmac_f32_e32 v11, v1, v18
	v_fma_f32 v12, v2, v19, -v12
	v_fmac_f32_e32 v13, v3, v19
	;; [unrolled: 2-line block ×4, first 2 shown]
	v_dual_mov_b32 v0, v10 :: v_dual_mov_b32 v1, v11
	v_dual_mov_b32 v2, v12 :: v_dual_mov_b32 v3, v13
	;; [unrolled: 1-line block ×3, first 2 shown]
	s_delay_alu instid0(VALU_DEP_4)
	v_dual_mov_b32 v6, v16 :: v_dual_mov_b32 v7, v17
.LBB76_3:
	s_or_b32 exec_lo, exec_lo, s0
	v_and_b32_e32 v10, 0x7f800000, v0
	s_delay_alu instid0(VALU_DEP_1) | instskip(SKIP_1) | instid1(SALU_CYCLE_1)
	v_cmp_ne_u32_e32 vcc_lo, 0x7f800000, v10
                                        ; implicit-def: $vgpr10
	s_and_saveexec_b32 s0, vcc_lo
	s_xor_b32 s0, exec_lo, s0
; %bb.4:
	v_bfe_u32 v10, v0, 16, 1
	s_delay_alu instid0(VALU_DEP_1)
	v_add3_u32 v10, v0, v10, 0x7fff
; %bb.5:
	s_and_not1_saveexec_b32 s0, s0
; %bb.6:
	v_and_b32_e32 v10, 0xffff, v0
	v_or_b32_e32 v11, 0x10000, v0
	s_delay_alu instid0(VALU_DEP_2) | instskip(NEXT) | instid1(VALU_DEP_2)
	v_cmp_eq_u32_e32 vcc_lo, 0, v10
	v_cndmask_b32_e32 v10, v11, v0, vcc_lo
; %bb.7:
	s_or_b32 exec_lo, exec_lo, s0
	v_and_b32_e32 v0, 0x7f800000, v1
	s_mov_b32 s0, exec_lo
                                        ; implicit-def: $vgpr11
	s_delay_alu instid0(VALU_DEP_1)
	v_cmpx_ne_u32_e32 0x7f800000, v0
	s_xor_b32 s0, exec_lo, s0
; %bb.8:
	v_bfe_u32 v0, v1, 16, 1
	s_delay_alu instid0(VALU_DEP_1)
	v_add3_u32 v11, v1, v0, 0x7fff
; %bb.9:
	s_and_not1_saveexec_b32 s0, s0
; %bb.10:
	v_and_b32_e32 v0, 0xffff, v1
	v_or_b32_e32 v11, 0x10000, v1
	s_delay_alu instid0(VALU_DEP_2) | instskip(NEXT) | instid1(VALU_DEP_2)
	v_cmp_eq_u32_e32 vcc_lo, 0, v0
	v_cndmask_b32_e32 v11, v11, v1, vcc_lo
; %bb.11:
	s_or_b32 exec_lo, exec_lo, s0
	v_and_b32_e32 v0, 0x7f800000, v2
	s_mov_b32 s0, exec_lo
                                        ; implicit-def: $vgpr12
	s_delay_alu instid0(VALU_DEP_1)
	v_cmpx_ne_u32_e32 0x7f800000, v0
	s_xor_b32 s0, exec_lo, s0
; %bb.12:
	v_bfe_u32 v0, v2, 16, 1
	s_delay_alu instid0(VALU_DEP_1)
	v_add3_u32 v12, v2, v0, 0x7fff
; %bb.13:
	s_and_not1_saveexec_b32 s0, s0
; %bb.14:
	v_and_b32_e32 v0, 0xffff, v2
	v_or_b32_e32 v1, 0x10000, v2
	s_delay_alu instid0(VALU_DEP_2) | instskip(NEXT) | instid1(VALU_DEP_2)
	v_cmp_eq_u32_e32 vcc_lo, 0, v0
	v_cndmask_b32_e32 v12, v1, v2, vcc_lo
; %bb.15:
	s_or_b32 exec_lo, exec_lo, s0
	v_and_b32_e32 v0, 0x7f800000, v3
	s_mov_b32 s0, exec_lo
                                        ; implicit-def: $vgpr13
	s_delay_alu instid0(VALU_DEP_1)
	v_cmpx_ne_u32_e32 0x7f800000, v0
	s_xor_b32 s0, exec_lo, s0
; %bb.16:
	v_bfe_u32 v0, v3, 16, 1
	s_delay_alu instid0(VALU_DEP_1)
	v_add3_u32 v13, v3, v0, 0x7fff
; %bb.17:
	s_and_not1_saveexec_b32 s0, s0
; %bb.18:
	v_and_b32_e32 v0, 0xffff, v3
	v_or_b32_e32 v1, 0x10000, v3
	s_delay_alu instid0(VALU_DEP_2) | instskip(NEXT) | instid1(VALU_DEP_2)
	v_cmp_eq_u32_e32 vcc_lo, 0, v0
	v_cndmask_b32_e32 v13, v1, v3, vcc_lo
; %bb.19:
	s_or_b32 exec_lo, exec_lo, s0
	v_and_b32_e32 v0, 0x7f800000, v4
	s_mov_b32 s0, exec_lo
                                        ; implicit-def: $vgpr14
	s_delay_alu instid0(VALU_DEP_1)
	v_cmpx_ne_u32_e32 0x7f800000, v0
	s_xor_b32 s0, exec_lo, s0
; %bb.20:
	v_bfe_u32 v0, v4, 16, 1
	s_delay_alu instid0(VALU_DEP_1)
	v_add3_u32 v14, v4, v0, 0x7fff
; %bb.21:
	s_and_not1_saveexec_b32 s0, s0
; %bb.22:
	v_and_b32_e32 v0, 0xffff, v4
	v_or_b32_e32 v1, 0x10000, v4
	s_delay_alu instid0(VALU_DEP_2) | instskip(NEXT) | instid1(VALU_DEP_2)
	v_cmp_eq_u32_e32 vcc_lo, 0, v0
	v_cndmask_b32_e32 v14, v1, v4, vcc_lo
; %bb.23:
	s_or_b32 exec_lo, exec_lo, s0
	v_and_b32_e32 v0, 0x7f800000, v5
	s_mov_b32 s0, exec_lo
                                        ; implicit-def: $vgpr15
	s_delay_alu instid0(VALU_DEP_1)
	v_cmpx_ne_u32_e32 0x7f800000, v0
	s_xor_b32 s0, exec_lo, s0
; %bb.24:
	v_bfe_u32 v0, v5, 16, 1
	s_delay_alu instid0(VALU_DEP_1)
	v_add3_u32 v15, v5, v0, 0x7fff
; %bb.25:
	s_and_not1_saveexec_b32 s0, s0
; %bb.26:
	v_and_b32_e32 v0, 0xffff, v5
	v_or_b32_e32 v1, 0x10000, v5
	s_delay_alu instid0(VALU_DEP_2) | instskip(NEXT) | instid1(VALU_DEP_2)
	v_cmp_eq_u32_e32 vcc_lo, 0, v0
	v_cndmask_b32_e32 v15, v1, v5, vcc_lo
; %bb.27:
	s_or_b32 exec_lo, exec_lo, s0
	v_and_b32_e32 v0, 0x7f800000, v6
	s_mov_b32 s0, exec_lo
                                        ; implicit-def: $vgpr16
	s_delay_alu instid0(VALU_DEP_1)
	v_cmpx_ne_u32_e32 0x7f800000, v0
	s_xor_b32 s0, exec_lo, s0
; %bb.28:
	v_bfe_u32 v0, v6, 16, 1
	s_delay_alu instid0(VALU_DEP_1)
	v_add3_u32 v16, v6, v0, 0x7fff
; %bb.29:
	s_and_not1_saveexec_b32 s0, s0
; %bb.30:
	v_and_b32_e32 v0, 0xffff, v6
	v_or_b32_e32 v1, 0x10000, v6
	s_delay_alu instid0(VALU_DEP_2) | instskip(NEXT) | instid1(VALU_DEP_2)
	v_cmp_eq_u32_e32 vcc_lo, 0, v0
	v_cndmask_b32_e32 v16, v1, v6, vcc_lo
; %bb.31:
	s_or_b32 exec_lo, exec_lo, s0
	v_and_b32_e32 v0, 0x7f800000, v7
	s_mov_b32 s0, exec_lo
                                        ; implicit-def: $vgpr17
	s_delay_alu instid0(VALU_DEP_1)
	v_cmpx_ne_u32_e32 0x7f800000, v0
	s_xor_b32 s0, exec_lo, s0
; %bb.32:
	v_bfe_u32 v0, v7, 16, 1
	s_delay_alu instid0(VALU_DEP_1)
	v_add3_u32 v17, v7, v0, 0x7fff
                                        ; implicit-def: $vgpr0_vgpr1_vgpr2_vgpr3_vgpr4_vgpr5_vgpr6_vgpr7
; %bb.33:
	s_and_not1_saveexec_b32 s0, s0
; %bb.34:
	v_and_b32_e32 v0, 0xffff, v7
	v_or_b32_e32 v1, 0x10000, v7
	s_delay_alu instid0(VALU_DEP_2) | instskip(NEXT) | instid1(VALU_DEP_2)
	v_cmp_eq_u32_e32 vcc_lo, 0, v0
	v_cndmask_b32_e32 v17, v1, v7, vcc_lo
; %bb.35:
	s_or_b32 exec_lo, exec_lo, s0
	s_delay_alu instid0(VALU_DEP_1)
	v_perm_b32 v3, v17, v16, 0x7060302
	v_perm_b32 v2, v15, v14, 0x7060302
	;; [unrolled: 1-line block ×4, first 2 shown]
	global_store_b128 v[8:9], v[0:3], off
.LBB76_36:
	s_nop 0
	s_sendmsg sendmsg(MSG_DEALLOC_VGPRS)
	s_endpgm
	.section	.rodata,"a",@progbits
	.p2align	6, 0x0
	.amdhsa_kernel _ZN12tensorrt_llm7kernels21fusedQKNormRopeKernelIN3c108BFloat16EfLi256ELb1EEEvPviiifPKvS6_S6_PKlii
		.amdhsa_group_segment_fixed_size 0
		.amdhsa_private_segment_fixed_size 0
		.amdhsa_kernarg_size 320
		.amdhsa_user_sgpr_count 15
		.amdhsa_user_sgpr_dispatch_ptr 0
		.amdhsa_user_sgpr_queue_ptr 0
		.amdhsa_user_sgpr_kernarg_segment_ptr 1
		.amdhsa_user_sgpr_dispatch_id 0
		.amdhsa_user_sgpr_private_segment_size 0
		.amdhsa_wavefront_size32 1
		.amdhsa_uses_dynamic_stack 0
		.amdhsa_enable_private_segment 0
		.amdhsa_system_sgpr_workgroup_id_x 1
		.amdhsa_system_sgpr_workgroup_id_y 0
		.amdhsa_system_sgpr_workgroup_id_z 0
		.amdhsa_system_sgpr_workgroup_info 0
		.amdhsa_system_vgpr_workitem_id 0
		.amdhsa_next_free_vgpr 23
		.amdhsa_next_free_sgpr 16
		.amdhsa_reserve_vcc 1
		.amdhsa_float_round_mode_32 0
		.amdhsa_float_round_mode_16_64 0
		.amdhsa_float_denorm_mode_32 3
		.amdhsa_float_denorm_mode_16_64 3
		.amdhsa_dx10_clamp 1
		.amdhsa_ieee_mode 1
		.amdhsa_fp16_overflow 0
		.amdhsa_workgroup_processor_mode 1
		.amdhsa_memory_ordered 1
		.amdhsa_forward_progress 0
		.amdhsa_shared_vgpr_count 0
		.amdhsa_exception_fp_ieee_invalid_op 0
		.amdhsa_exception_fp_denorm_src 0
		.amdhsa_exception_fp_ieee_div_zero 0
		.amdhsa_exception_fp_ieee_overflow 0
		.amdhsa_exception_fp_ieee_underflow 0
		.amdhsa_exception_fp_ieee_inexact 0
		.amdhsa_exception_int_div_zero 0
	.end_amdhsa_kernel
	.section	.text._ZN12tensorrt_llm7kernels21fusedQKNormRopeKernelIN3c108BFloat16EfLi256ELb1EEEvPviiifPKvS6_S6_PKlii,"axG",@progbits,_ZN12tensorrt_llm7kernels21fusedQKNormRopeKernelIN3c108BFloat16EfLi256ELb1EEEvPviiifPKvS6_S6_PKlii,comdat
.Lfunc_end76:
	.size	_ZN12tensorrt_llm7kernels21fusedQKNormRopeKernelIN3c108BFloat16EfLi256ELb1EEEvPviiifPKvS6_S6_PKlii, .Lfunc_end76-_ZN12tensorrt_llm7kernels21fusedQKNormRopeKernelIN3c108BFloat16EfLi256ELb1EEEvPviiifPKvS6_S6_PKlii
                                        ; -- End function
	.section	.AMDGPU.csdata,"",@progbits
; Kernel info:
; codeLenInByte = 2020
; NumSgprs: 18
; NumVgprs: 23
; ScratchSize: 0
; MemoryBound: 0
; FloatMode: 240
; IeeeMode: 1
; LDSByteSize: 0 bytes/workgroup (compile time only)
; SGPRBlocks: 2
; VGPRBlocks: 2
; NumSGPRsForWavesPerEU: 18
; NumVGPRsForWavesPerEU: 23
; Occupancy: 16
; WaveLimiterHint : 1
; COMPUTE_PGM_RSRC2:SCRATCH_EN: 0
; COMPUTE_PGM_RSRC2:USER_SGPR: 15
; COMPUTE_PGM_RSRC2:TRAP_HANDLER: 0
; COMPUTE_PGM_RSRC2:TGID_X_EN: 1
; COMPUTE_PGM_RSRC2:TGID_Y_EN: 0
; COMPUTE_PGM_RSRC2:TGID_Z_EN: 0
; COMPUTE_PGM_RSRC2:TIDIG_COMP_CNT: 0
	.section	.text._ZN12tensorrt_llm7kernels21fusedQKNormRopeKernelIN3c108BFloat16EfLi256ELb0EEEvPviiifPKvS6_S6_PKlii,"axG",@progbits,_ZN12tensorrt_llm7kernels21fusedQKNormRopeKernelIN3c108BFloat16EfLi256ELb0EEEvPviiifPKvS6_S6_PKlii,comdat
	.protected	_ZN12tensorrt_llm7kernels21fusedQKNormRopeKernelIN3c108BFloat16EfLi256ELb0EEEvPviiifPKvS6_S6_PKlii ; -- Begin function _ZN12tensorrt_llm7kernels21fusedQKNormRopeKernelIN3c108BFloat16EfLi256ELb0EEEvPviiifPKvS6_S6_PKlii
	.globl	_ZN12tensorrt_llm7kernels21fusedQKNormRopeKernelIN3c108BFloat16EfLi256ELb0EEEvPviiifPKvS6_S6_PKlii
	.p2align	8
	.type	_ZN12tensorrt_llm7kernels21fusedQKNormRopeKernelIN3c108BFloat16EfLi256ELb0EEEvPviiifPKvS6_S6_PKlii,@function
_ZN12tensorrt_llm7kernels21fusedQKNormRopeKernelIN3c108BFloat16EfLi256ELb0EEEvPviiifPKvS6_S6_PKlii: ; @_ZN12tensorrt_llm7kernels21fusedQKNormRopeKernelIN3c108BFloat16EfLi256ELb0EEEvPviiifPKvS6_S6_PKlii
; %bb.0:
	s_clause 0x2
	s_load_b128 s[8:11], s[0:1], 0x8
	s_load_b64 s[12:13], s[0:1], 0x38
	s_load_b32 s4, s[0:1], 0x4c
	v_lshrrev_b32_e32 v3, 5, v0
	s_waitcnt lgkmcnt(0)
	s_add_i32 s2, s9, s8
	s_bfe_u32 s4, s4, 0xb0005
	s_abs_i32 s3, s2
	s_delay_alu instid0(SALU_CYCLE_1) | instskip(SKIP_1) | instid1(VALU_DEP_1)
	v_cvt_f32_u32_e32 v1, s3
	s_sub_i32 s5, 0, s3
	v_rcp_iflag_f32_e32 v1, v1
	s_waitcnt_depctr 0xfff
	v_mul_f32_e32 v1, 0x4f7ffffe, v1
	s_delay_alu instid0(VALU_DEP_1) | instskip(NEXT) | instid1(VALU_DEP_1)
	v_cvt_u32_f32_e32 v4, v1
	v_mul_lo_u32 v5, s5, v4
	v_mad_u64_u32 v[1:2], null, s15, s4, v[3:4]
	s_delay_alu instid0(VALU_DEP_2) | instskip(NEXT) | instid1(VALU_DEP_2)
	v_mul_hi_u32 v2, v4, v5
	v_sub_nc_u32_e32 v3, 0, v1
	s_delay_alu instid0(VALU_DEP_1) | instskip(NEXT) | instid1(VALU_DEP_3)
	v_max_i32_e32 v3, v1, v3
	v_add_nc_u32_e32 v2, v4, v2
	s_delay_alu instid0(VALU_DEP_1) | instskip(NEXT) | instid1(VALU_DEP_1)
	v_mul_hi_u32 v2, v3, v2
	v_mul_lo_u32 v4, v2, s3
	s_delay_alu instid0(VALU_DEP_1) | instskip(NEXT) | instid1(VALU_DEP_1)
	v_sub_nc_u32_e32 v3, v3, v4
	v_subrev_nc_u32_e32 v5, s3, v3
	v_cmp_le_u32_e32 vcc_lo, s3, v3
	s_delay_alu instid0(VALU_DEP_2) | instskip(NEXT) | instid1(VALU_DEP_1)
	v_dual_cndmask_b32 v3, v3, v5 :: v_dual_add_nc_u32 v4, 1, v2
	v_cndmask_b32_e32 v2, v2, v4, vcc_lo
	v_xor_b32_e32 v4, s2, v1
	s_delay_alu instid0(VALU_DEP_3) | instskip(NEXT) | instid1(VALU_DEP_3)
	v_cmp_le_u32_e32 vcc_lo, s3, v3
	v_add_nc_u32_e32 v5, 1, v2
	s_delay_alu instid0(VALU_DEP_3) | instskip(SKIP_1) | instid1(VALU_DEP_2)
	v_ashrrev_i32_e32 v4, 31, v4
	s_mov_b32 s3, exec_lo
	v_cndmask_b32_e32 v2, v2, v5, vcc_lo
	s_delay_alu instid0(VALU_DEP_1) | instskip(NEXT) | instid1(VALU_DEP_1)
	v_xor_b32_e32 v2, v2, v4
	v_sub_nc_u32_e32 v10, v2, v4
	s_delay_alu instid0(VALU_DEP_1)
	v_cmpx_gt_i32_e64 s12, v10
	s_cbranch_execz .LBB77_36
; %bb.1:
	v_mul_lo_u32 v2, v10, s2
	s_add_i32 s2, s2, s10
	v_and_b32_e32 v12, 31, v0
	v_mul_lo_u32 v3, v10, s2
	s_load_b64 s[2:3], s[0:1], 0x0
	v_mbcnt_lo_u32_b32 v13, -1, 0
	s_delay_alu instid0(VALU_DEP_4) | instskip(NEXT) | instid1(VALU_DEP_1)
	v_sub_nc_u32_e32 v1, v1, v2
	v_cmp_gt_i32_e32 vcc_lo, s8, v1
	v_cndmask_b32_e64 v2, s8, 0, vcc_lo
	s_delay_alu instid0(VALU_DEP_1) | instskip(SKIP_1) | instid1(VALU_DEP_2)
	v_sub_nc_u32_e32 v0, v1, v2
	v_lshlrev_b32_e32 v1, 3, v12
	v_add3_u32 v0, v3, v2, v0
	s_delay_alu instid0(VALU_DEP_1) | instskip(NEXT) | instid1(VALU_DEP_1)
	v_lshl_or_b32 v0, v0, 8, v1
	v_ashrrev_i32_e32 v1, 31, v0
	s_delay_alu instid0(VALU_DEP_1) | instskip(SKIP_1) | instid1(VALU_DEP_1)
	v_lshlrev_b64 v[0:1], 1, v[0:1]
	s_waitcnt lgkmcnt(0)
	v_add_co_u32 v8, s2, s2, v0
	s_delay_alu instid0(VALU_DEP_1) | instskip(SKIP_4) | instid1(VALU_DEP_1)
	v_add_co_ci_u32_e64 v9, s2, s3, v1, s2
	s_load_b256 s[0:7], s[0:1], 0x18
	global_load_b128 v[0:3], v[8:9], off
	s_waitcnt lgkmcnt(0)
	v_dual_mov_b32 v4, s0 :: v_dual_mov_b32 v5, s1
	v_dual_cndmask_b32 v5, s3, v5 :: v_dual_lshlrev_b32 v14, 4, v12
	s_ashr_i32 s3, s13, 31
	s_delay_alu instid0(SALU_CYCLE_1) | instskip(NEXT) | instid1(SALU_CYCLE_1)
	s_lshr_b32 s0, s3, 29
	s_add_i32 s0, s13, s0
	s_delay_alu instid0(SALU_CYCLE_1)
	s_ashr_i32 s0, s0, 3
	s_waitcnt vmcnt(0)
	v_and_b32_e32 v19, 0xffff0000, v2
	v_lshlrev_b32_e32 v18, 16, v2
	v_xor_b32_e32 v2, 8, v13
	v_and_b32_e32 v11, 0xffff0000, v0
	v_cndmask_b32_e32 v4, s2, v4, vcc_lo
	v_and_b32_e32 v17, 0xffff0000, v1
	v_lshlrev_b32_e32 v0, 16, v0
	v_and_b32_e32 v21, 0xffff0000, v3
	v_mul_f32_e32 v15, v11, v11
	v_add_co_u32 v4, vcc_lo, v4, v14
	v_add_co_ci_u32_e32 v5, vcc_lo, 0, v5, vcc_lo
	s_delay_alu instid0(VALU_DEP_3)
	v_dual_fmac_f32 v15, v0, v0 :: v_dual_lshlrev_b32 v16, 16, v1
	v_xor_b32_e32 v1, 16, v13
	global_load_b128 v[4:7], v[4:5], off
	v_lshlrev_b32_e32 v20, 16, v3
	v_xor_b32_e32 v3, 4, v13
	v_fmac_f32_e32 v15, v16, v16
	v_cmp_gt_i32_e32 vcc_lo, 32, v1
	s_mov_b32 s2, exec_lo
	s_delay_alu instid0(VALU_DEP_2) | instskip(SKIP_2) | instid1(VALU_DEP_3)
	v_fmac_f32_e32 v15, v17, v17
	v_cndmask_b32_e32 v1, v13, v1, vcc_lo
	v_cmp_gt_i32_e32 vcc_lo, 32, v2
	v_fmac_f32_e32 v15, v18, v18
	v_cndmask_b32_e32 v2, v13, v2, vcc_lo
	v_cmp_gt_i32_e32 vcc_lo, 32, v3
	s_delay_alu instid0(VALU_DEP_2) | instskip(SKIP_2) | instid1(VALU_DEP_3)
	v_dual_fmac_f32 v15, v19, v19 :: v_dual_lshlrev_b32 v2, 2, v2
	v_lshlrev_b32_e32 v1, 2, v1
	v_cndmask_b32_e32 v3, v13, v3, vcc_lo
	v_fmac_f32_e32 v15, v20, v20
	s_delay_alu instid0(VALU_DEP_1)
	v_fmac_f32_e32 v15, v21, v21
	ds_bpermute_b32 v1, v1, v15
	s_waitcnt lgkmcnt(0)
	v_add_f32_e32 v1, v15, v1
	ds_bpermute_b32 v2, v2, v1
	s_waitcnt vmcnt(0) lgkmcnt(0)
	v_dual_add_f32 v1, v1, v2 :: v_dual_lshlrev_b32 v22, 16, v7
	v_lshlrev_b32_e32 v3, 2, v3
	v_lshlrev_b32_e32 v15, 16, v5
	v_and_b32_e32 v5, 0xffff0000, v5
	v_and_b32_e32 v7, 0xffff0000, v7
	ds_bpermute_b32 v2, v3, v1
	v_xor_b32_e32 v3, 2, v13
	s_delay_alu instid0(VALU_DEP_1) | instskip(SKIP_1) | instid1(VALU_DEP_1)
	v_cmp_gt_i32_e32 vcc_lo, 32, v3
	v_cndmask_b32_e32 v3, v13, v3, vcc_lo
	v_lshlrev_b32_e32 v3, 2, v3
	s_waitcnt lgkmcnt(0)
	v_add_f32_e32 v1, v1, v2
	ds_bpermute_b32 v2, v3, v1
	v_xor_b32_e32 v3, 1, v13
	s_delay_alu instid0(VALU_DEP_1) | instskip(SKIP_1) | instid1(VALU_DEP_1)
	v_cmp_gt_i32_e32 vcc_lo, 32, v3
	v_cndmask_b32_e32 v3, v13, v3, vcc_lo
	v_lshlrev_b32_e32 v3, 2, v3
	s_waitcnt lgkmcnt(0)
	v_add_f32_e32 v1, v1, v2
	ds_bpermute_b32 v2, v3, v1
	v_mov_b32_e32 v3, s11
	s_waitcnt lgkmcnt(0)
	v_add_f32_e32 v1, v1, v2
	s_delay_alu instid0(VALU_DEP_1) | instskip(SKIP_2) | instid1(VALU_DEP_3)
	v_fmamk_f32 v1, v1, 0x3b800000, v3
	v_lshlrev_b32_e32 v3, 16, v4
	v_and_b32_e32 v4, 0xffff0000, v4
	v_mul_f32_e32 v2, 0x4b800000, v1
	v_cmp_gt_f32_e32 vcc_lo, 0x800000, v1
	s_delay_alu instid0(VALU_DEP_2) | instskip(NEXT) | instid1(VALU_DEP_1)
	v_cndmask_b32_e32 v1, v1, v2, vcc_lo
	v_rsq_f32_e32 v1, v1
	s_waitcnt_depctr 0xfff
	v_mul_f32_e32 v2, 0x45800000, v1
	s_delay_alu instid0(VALU_DEP_1) | instskip(SKIP_1) | instid1(VALU_DEP_2)
	v_cndmask_b32_e32 v1, v1, v2, vcc_lo
	v_lshlrev_b32_e32 v2, 16, v6
	v_dual_mul_f32 v3, v1, v3 :: v_dual_and_b32 v6, 0xffff0000, v6
	v_mul_f32_e32 v4, v1, v4
	v_mul_f32_e32 v15, v1, v15
	;; [unrolled: 1-line block ×6, first 2 shown]
	v_dual_mul_f32 v7, v1, v7 :: v_dual_mul_f32 v0, v3, v0
	v_dual_mul_f32 v1, v4, v11 :: v_dual_mul_f32 v2, v15, v16
	;; [unrolled: 1-line block ×3, first 2 shown]
	v_mul_f32_e32 v5, v6, v19
	s_delay_alu instid0(VALU_DEP_4)
	v_dual_mul_f32 v6, v22, v20 :: v_dual_mul_f32 v7, v7, v21
	v_cmpx_gt_i32_e64 s0, v12
	s_cbranch_execz .LBB77_3
; %bb.2:
	v_ashrrev_i32_e32 v11, 31, v10
	v_or_b32_e32 v18, 2, v14
	v_or_b32_e32 v19, 4, v14
	;; [unrolled: 1-line block ×4, first 2 shown]
	v_lshlrev_b64 v[10:11], 3, v[10:11]
	v_or_b32_e32 v22, 10, v14
	v_or_b32_e32 v23, 14, v14
	s_delay_alu instid0(VALU_DEP_3) | instskip(NEXT) | instid1(VALU_DEP_4)
	v_add_co_u32 v10, vcc_lo, s6, v10
	v_add_co_ci_u32_e32 v11, vcc_lo, s7, v11, vcc_lo
	s_abs_i32 s6, s13
	s_delay_alu instid0(SALU_CYCLE_1)
	v_cvt_f32_u32_e32 v15, s6
	global_load_b64 v[10:11], v[10:11], off
	s_sub_i32 s0, 0, s6
	; wave barrier
	v_rcp_iflag_f32_e32 v15, v15
	s_waitcnt_depctr 0xfff
	v_mul_f32_e32 v15, 0x4f7ffffe, v15
	s_delay_alu instid0(VALU_DEP_1) | instskip(NEXT) | instid1(VALU_DEP_1)
	v_cvt_u32_f32_e32 v16, v15
	v_mul_lo_u32 v15, s0, v16
	s_lshr_b32 s0, s13, 31
	s_delay_alu instid0(SALU_CYCLE_1) | instskip(NEXT) | instid1(SALU_CYCLE_1)
	s_add_i32 s0, s13, s0
	s_ashr_i32 s0, s0, 1
	s_delay_alu instid0(SALU_CYCLE_1) | instskip(NEXT) | instid1(VALU_DEP_1)
	s_ashr_i32 s1, s0, 31
	v_mul_hi_u32 v17, v16, v15
	s_lshl_b64 s[0:1], s[0:1], 2
	s_delay_alu instid0(VALU_DEP_1) | instskip(SKIP_1) | instid1(VALU_DEP_2)
	v_add_nc_u32_e32 v16, v16, v17
	v_or_b32_e32 v17, 12, v14
	v_mul_hi_u32 v24, v14, v16
	v_mul_hi_u32 v25, v18, v16
	;; [unrolled: 1-line block ×8, first 2 shown]
	v_mul_lo_u32 v24, v24, s6
	v_mul_lo_u32 v25, v25, s6
	;; [unrolled: 1-line block ×8, first 2 shown]
	v_sub_nc_u32_e32 v14, v14, v24
	v_sub_nc_u32_e32 v18, v18, v25
	;; [unrolled: 1-line block ×5, first 2 shown]
	v_cmp_le_u32_e32 vcc_lo, s6, v14
	v_sub_nc_u32_e32 v24, v17, v30
	v_sub_nc_u32_e32 v26, v23, v16
	v_subrev_nc_u32_e32 v16, s6, v14
	v_mov_b32_e32 v15, 0
	v_subrev_nc_u32_e32 v17, s6, v18
	v_subrev_nc_u32_e32 v23, s6, v19
	v_subrev_nc_u32_e32 v27, s6, v21
	v_cndmask_b32_e32 v14, v14, v16, vcc_lo
	v_cmp_le_u32_e32 vcc_lo, s6, v18
	v_subrev_nc_u32_e32 v25, s6, v20
	v_sub_nc_u32_e32 v22, v22, v29
	v_subrev_nc_u32_e32 v29, s6, v24
	v_subrev_nc_u32_e32 v30, s6, v26
	v_cndmask_b32_e32 v16, v18, v17, vcc_lo
	v_cmp_le_u32_e32 vcc_lo, s6, v19
	v_subrev_nc_u32_e32 v17, s6, v14
	v_subrev_nc_u32_e32 v28, s6, v22
	v_cndmask_b32_e32 v18, v19, v23, vcc_lo
	v_cmp_le_u32_e32 vcc_lo, s6, v20
	v_cndmask_b32_e32 v19, v20, v25, vcc_lo
	v_cmp_le_u32_e32 vcc_lo, s6, v14
	s_delay_alu instid0(VALU_DEP_4) | instskip(NEXT) | instid1(VALU_DEP_3)
	v_subrev_nc_u32_e32 v20, s6, v18
	v_subrev_nc_u32_e32 v25, s6, v19
	v_cndmask_b32_e32 v14, v14, v17, vcc_lo
	v_cmp_le_u32_e32 vcc_lo, s6, v21
	s_delay_alu instid0(VALU_DEP_2) | instskip(SKIP_3) | instid1(VALU_DEP_2)
	v_lshrrev_b32_e32 v14, 1, v14
	v_cndmask_b32_e32 v23, v21, v27, vcc_lo
	v_subrev_nc_u32_e32 v17, s6, v16
	v_cmp_le_u32_e32 vcc_lo, s6, v16
	v_cndmask_b32_e32 v21, v16, v17, vcc_lo
	v_cmp_le_u32_e32 vcc_lo, s6, v18
	v_lshlrev_b64 v[16:17], 2, v[14:15]
	v_cndmask_b32_e32 v20, v18, v20, vcc_lo
	v_cmp_le_u32_e32 vcc_lo, s6, v22
	v_lshrrev_b32_e32 v14, 1, v21
	v_cndmask_b32_e32 v22, v22, v28, vcc_lo
	v_cmp_le_u32_e32 vcc_lo, s6, v19
	v_cndmask_b32_e32 v25, v19, v25, vcc_lo
	v_cmp_le_u32_e32 vcc_lo, s6, v24
	v_lshlrev_b64 v[18:19], 2, v[14:15]
	v_lshrrev_b32_e32 v14, 1, v20
	v_subrev_nc_u32_e32 v28, s6, v22
	v_cndmask_b32_e32 v27, v24, v29, vcc_lo
	v_subrev_nc_u32_e32 v24, s6, v23
	v_cmp_le_u32_e32 vcc_lo, s6, v23
	v_lshlrev_b64 v[20:21], 2, v[14:15]
	v_lshrrev_b32_e32 v14, 1, v25
	s_delay_alu instid0(VALU_DEP_4)
	v_cndmask_b32_e32 v24, v23, v24, vcc_lo
	v_cmp_le_u32_e32 vcc_lo, s6, v22
	v_subrev_nc_u32_e32 v29, s6, v27
	v_cndmask_b32_e32 v28, v22, v28, vcc_lo
	v_lshlrev_b64 v[22:23], 2, v[14:15]
	v_lshrrev_b32_e32 v14, 1, v24
	v_cmp_le_u32_e32 vcc_lo, s6, v26
	v_cndmask_b32_e32 v30, v26, v30, vcc_lo
	v_cmp_le_u32_e32 vcc_lo, s6, v27
	s_waitcnt vmcnt(0)
	v_mul_lo_u32 v31, v11, s13
	v_mul_lo_u32 v32, v10, s3
	v_mad_u64_u32 v[24:25], null, v10, s13, 0
	v_lshlrev_b64 v[10:11], 2, v[14:15]
	v_lshrrev_b32_e32 v14, 1, v28
	v_cndmask_b32_e32 v28, v27, v29, vcc_lo
	v_subrev_nc_u32_e32 v29, s6, v30
	v_cmp_le_u32_e32 vcc_lo, s6, v30
	v_add3_u32 v25, v25, v32, v31
	v_lshlrev_b64 v[26:27], 2, v[14:15]
	v_lshrrev_b32_e32 v14, 1, v28
	v_cndmask_b32_e32 v30, v30, v29, vcc_lo
	s_delay_alu instid0(VALU_DEP_4) | instskip(NEXT) | instid1(VALU_DEP_3)
	v_lshlrev_b64 v[24:25], 2, v[24:25]
	v_lshlrev_b64 v[28:29], 2, v[14:15]
	s_delay_alu instid0(VALU_DEP_3) | instskip(NEXT) | instid1(VALU_DEP_3)
	v_lshrrev_b32_e32 v14, 1, v30
	v_add_co_u32 v44, vcc_lo, s4, v24
	s_delay_alu instid0(VALU_DEP_4) | instskip(NEXT) | instid1(VALU_DEP_3)
	v_add_co_ci_u32_e32 v45, vcc_lo, s5, v25, vcc_lo
	v_lshlrev_b64 v[14:15], 2, v[14:15]
	s_delay_alu instid0(VALU_DEP_3) | instskip(NEXT) | instid1(VALU_DEP_3)
	v_add_co_u32 v42, vcc_lo, v44, s0
	v_add_co_ci_u32_e32 v43, vcc_lo, s1, v45, vcc_lo
	v_add_co_u32 v24, vcc_lo, v44, v16
	v_add_co_ci_u32_e32 v25, vcc_lo, v45, v17, vcc_lo
	;; [unrolled: 2-line block ×16, first 2 shown]
	s_clause 0xa
	global_load_b32 v24, v[24:25], off
	global_load_b32 v16, v[16:17], off
	;; [unrolled: 1-line block ×11, first 2 shown]
	v_add_co_u32 v10, vcc_lo, v44, v14
	v_add_co_ci_u32_e32 v11, vcc_lo, v45, v15, vcc_lo
	s_clause 0x4
	global_load_b32 v27, v[34:35], off
	global_load_b32 v28, v[36:37], off
	;; [unrolled: 1-line block ×5, first 2 shown]
	s_lshr_b32 s0, s3, 28
	s_delay_alu instid0(SALU_CYCLE_1) | instskip(NEXT) | instid1(SALU_CYCLE_1)
	s_add_i32 s0, s13, s0
	; wave barrier
	s_ashr_i32 s0, s0, 4
	s_delay_alu instid0(SALU_CYCLE_1) | instskip(NEXT) | instid1(VALU_DEP_1)
	v_xor_b32_e32 v10, s0, v13
	v_cmp_gt_i32_e32 vcc_lo, 32, v10
	v_cndmask_b32_e32 v10, v13, v10, vcc_lo
	v_cmp_gt_i32_e32 vcc_lo, s0, v12
	s_delay_alu instid0(VALU_DEP_2)
	v_lshlrev_b32_e32 v10, 2, v10
	ds_bpermute_b32 v11, v10, v0
	ds_bpermute_b32 v13, v10, v1
	;; [unrolled: 1-line block ×8, first 2 shown]
	s_waitcnt lgkmcnt(7)
	v_cndmask_b32_e64 v11, v11, -v11, vcc_lo
	s_waitcnt lgkmcnt(6)
	v_cndmask_b32_e64 v12, v13, -v13, vcc_lo
	;; [unrolled: 2-line block ×8, first 2 shown]
	s_waitcnt vmcnt(12)
	v_dual_mul_f32 v10, v11, v16 :: v_dual_mul_f32 v11, v12, v17
	s_waitcnt vmcnt(9)
	v_dual_mul_f32 v12, v13, v19 :: v_dual_mul_f32 v13, v14, v20
	;; [unrolled: 2-line block ×4, first 2 shown]
	v_dual_fmac_f32 v10, v0, v24 :: v_dual_fmac_f32 v11, v1, v25
	s_waitcnt vmcnt(4)
	v_dual_fmac_f32 v12, v2, v18 :: v_dual_fmac_f32 v13, v3, v27
	s_waitcnt vmcnt(2)
	;; [unrolled: 2-line block ×3, first 2 shown]
	v_dual_fmac_f32 v16, v6, v30 :: v_dual_fmac_f32 v17, v7, v31
	v_dual_mov_b32 v0, v10 :: v_dual_mov_b32 v1, v11
	v_dual_mov_b32 v2, v12 :: v_dual_mov_b32 v3, v13
	;; [unrolled: 1-line block ×3, first 2 shown]
	s_delay_alu instid0(VALU_DEP_4)
	v_dual_mov_b32 v6, v16 :: v_dual_mov_b32 v7, v17
.LBB77_3:
	s_or_b32 exec_lo, exec_lo, s2
	v_and_b32_e32 v10, 0x7f800000, v0
	s_delay_alu instid0(VALU_DEP_1) | instskip(SKIP_1) | instid1(SALU_CYCLE_1)
	v_cmp_ne_u32_e32 vcc_lo, 0x7f800000, v10
                                        ; implicit-def: $vgpr10
	s_and_saveexec_b32 s0, vcc_lo
	s_xor_b32 s0, exec_lo, s0
; %bb.4:
	v_bfe_u32 v10, v0, 16, 1
	s_delay_alu instid0(VALU_DEP_1)
	v_add3_u32 v10, v0, v10, 0x7fff
; %bb.5:
	s_and_not1_saveexec_b32 s0, s0
; %bb.6:
	v_and_b32_e32 v10, 0xffff, v0
	v_or_b32_e32 v11, 0x10000, v0
	s_delay_alu instid0(VALU_DEP_2) | instskip(NEXT) | instid1(VALU_DEP_2)
	v_cmp_eq_u32_e32 vcc_lo, 0, v10
	v_cndmask_b32_e32 v10, v11, v0, vcc_lo
; %bb.7:
	s_or_b32 exec_lo, exec_lo, s0
	v_and_b32_e32 v0, 0x7f800000, v1
	s_mov_b32 s0, exec_lo
                                        ; implicit-def: $vgpr11
	s_delay_alu instid0(VALU_DEP_1)
	v_cmpx_ne_u32_e32 0x7f800000, v0
	s_xor_b32 s0, exec_lo, s0
; %bb.8:
	v_bfe_u32 v0, v1, 16, 1
	s_delay_alu instid0(VALU_DEP_1)
	v_add3_u32 v11, v1, v0, 0x7fff
; %bb.9:
	s_and_not1_saveexec_b32 s0, s0
; %bb.10:
	v_and_b32_e32 v0, 0xffff, v1
	v_or_b32_e32 v11, 0x10000, v1
	s_delay_alu instid0(VALU_DEP_2) | instskip(NEXT) | instid1(VALU_DEP_2)
	v_cmp_eq_u32_e32 vcc_lo, 0, v0
	v_cndmask_b32_e32 v11, v11, v1, vcc_lo
; %bb.11:
	s_or_b32 exec_lo, exec_lo, s0
	v_and_b32_e32 v0, 0x7f800000, v2
	s_mov_b32 s0, exec_lo
                                        ; implicit-def: $vgpr12
	s_delay_alu instid0(VALU_DEP_1)
	v_cmpx_ne_u32_e32 0x7f800000, v0
	s_xor_b32 s0, exec_lo, s0
; %bb.12:
	v_bfe_u32 v0, v2, 16, 1
	s_delay_alu instid0(VALU_DEP_1)
	v_add3_u32 v12, v2, v0, 0x7fff
; %bb.13:
	s_and_not1_saveexec_b32 s0, s0
; %bb.14:
	v_and_b32_e32 v0, 0xffff, v2
	v_or_b32_e32 v1, 0x10000, v2
	s_delay_alu instid0(VALU_DEP_2) | instskip(NEXT) | instid1(VALU_DEP_2)
	v_cmp_eq_u32_e32 vcc_lo, 0, v0
	v_cndmask_b32_e32 v12, v1, v2, vcc_lo
; %bb.15:
	s_or_b32 exec_lo, exec_lo, s0
	v_and_b32_e32 v0, 0x7f800000, v3
	s_mov_b32 s0, exec_lo
                                        ; implicit-def: $vgpr13
	s_delay_alu instid0(VALU_DEP_1)
	v_cmpx_ne_u32_e32 0x7f800000, v0
	s_xor_b32 s0, exec_lo, s0
; %bb.16:
	v_bfe_u32 v0, v3, 16, 1
	s_delay_alu instid0(VALU_DEP_1)
	v_add3_u32 v13, v3, v0, 0x7fff
; %bb.17:
	s_and_not1_saveexec_b32 s0, s0
; %bb.18:
	v_and_b32_e32 v0, 0xffff, v3
	v_or_b32_e32 v1, 0x10000, v3
	s_delay_alu instid0(VALU_DEP_2) | instskip(NEXT) | instid1(VALU_DEP_2)
	v_cmp_eq_u32_e32 vcc_lo, 0, v0
	v_cndmask_b32_e32 v13, v1, v3, vcc_lo
; %bb.19:
	s_or_b32 exec_lo, exec_lo, s0
	v_and_b32_e32 v0, 0x7f800000, v4
	s_mov_b32 s0, exec_lo
                                        ; implicit-def: $vgpr14
	s_delay_alu instid0(VALU_DEP_1)
	v_cmpx_ne_u32_e32 0x7f800000, v0
	s_xor_b32 s0, exec_lo, s0
; %bb.20:
	v_bfe_u32 v0, v4, 16, 1
	s_delay_alu instid0(VALU_DEP_1)
	v_add3_u32 v14, v4, v0, 0x7fff
; %bb.21:
	s_and_not1_saveexec_b32 s0, s0
; %bb.22:
	v_and_b32_e32 v0, 0xffff, v4
	v_or_b32_e32 v1, 0x10000, v4
	s_delay_alu instid0(VALU_DEP_2) | instskip(NEXT) | instid1(VALU_DEP_2)
	v_cmp_eq_u32_e32 vcc_lo, 0, v0
	v_cndmask_b32_e32 v14, v1, v4, vcc_lo
; %bb.23:
	s_or_b32 exec_lo, exec_lo, s0
	v_and_b32_e32 v0, 0x7f800000, v5
	s_mov_b32 s0, exec_lo
                                        ; implicit-def: $vgpr15
	s_delay_alu instid0(VALU_DEP_1)
	v_cmpx_ne_u32_e32 0x7f800000, v0
	s_xor_b32 s0, exec_lo, s0
; %bb.24:
	v_bfe_u32 v0, v5, 16, 1
	s_delay_alu instid0(VALU_DEP_1)
	v_add3_u32 v15, v5, v0, 0x7fff
; %bb.25:
	s_and_not1_saveexec_b32 s0, s0
; %bb.26:
	v_and_b32_e32 v0, 0xffff, v5
	v_or_b32_e32 v1, 0x10000, v5
	s_delay_alu instid0(VALU_DEP_2) | instskip(NEXT) | instid1(VALU_DEP_2)
	v_cmp_eq_u32_e32 vcc_lo, 0, v0
	v_cndmask_b32_e32 v15, v1, v5, vcc_lo
; %bb.27:
	s_or_b32 exec_lo, exec_lo, s0
	v_and_b32_e32 v0, 0x7f800000, v6
	s_mov_b32 s0, exec_lo
                                        ; implicit-def: $vgpr16
	s_delay_alu instid0(VALU_DEP_1)
	v_cmpx_ne_u32_e32 0x7f800000, v0
	s_xor_b32 s0, exec_lo, s0
; %bb.28:
	v_bfe_u32 v0, v6, 16, 1
	s_delay_alu instid0(VALU_DEP_1)
	v_add3_u32 v16, v6, v0, 0x7fff
; %bb.29:
	s_and_not1_saveexec_b32 s0, s0
; %bb.30:
	v_and_b32_e32 v0, 0xffff, v6
	v_or_b32_e32 v1, 0x10000, v6
	s_delay_alu instid0(VALU_DEP_2) | instskip(NEXT) | instid1(VALU_DEP_2)
	v_cmp_eq_u32_e32 vcc_lo, 0, v0
	v_cndmask_b32_e32 v16, v1, v6, vcc_lo
; %bb.31:
	s_or_b32 exec_lo, exec_lo, s0
	v_and_b32_e32 v0, 0x7f800000, v7
	s_mov_b32 s0, exec_lo
                                        ; implicit-def: $vgpr17
	s_delay_alu instid0(VALU_DEP_1)
	v_cmpx_ne_u32_e32 0x7f800000, v0
	s_xor_b32 s0, exec_lo, s0
; %bb.32:
	v_bfe_u32 v0, v7, 16, 1
	s_delay_alu instid0(VALU_DEP_1)
	v_add3_u32 v17, v7, v0, 0x7fff
                                        ; implicit-def: $vgpr0_vgpr1_vgpr2_vgpr3_vgpr4_vgpr5_vgpr6_vgpr7
; %bb.33:
	s_and_not1_saveexec_b32 s0, s0
; %bb.34:
	v_and_b32_e32 v0, 0xffff, v7
	v_or_b32_e32 v1, 0x10000, v7
	s_delay_alu instid0(VALU_DEP_2) | instskip(NEXT) | instid1(VALU_DEP_2)
	v_cmp_eq_u32_e32 vcc_lo, 0, v0
	v_cndmask_b32_e32 v17, v1, v7, vcc_lo
; %bb.35:
	s_or_b32 exec_lo, exec_lo, s0
	s_delay_alu instid0(VALU_DEP_1)
	v_perm_b32 v3, v17, v16, 0x7060302
	v_perm_b32 v2, v15, v14, 0x7060302
	;; [unrolled: 1-line block ×4, first 2 shown]
	global_store_b128 v[8:9], v[0:3], off
.LBB77_36:
	s_nop 0
	s_sendmsg sendmsg(MSG_DEALLOC_VGPRS)
	s_endpgm
	.section	.rodata,"a",@progbits
	.p2align	6, 0x0
	.amdhsa_kernel _ZN12tensorrt_llm7kernels21fusedQKNormRopeKernelIN3c108BFloat16EfLi256ELb0EEEvPviiifPKvS6_S6_PKlii
		.amdhsa_group_segment_fixed_size 0
		.amdhsa_private_segment_fixed_size 0
		.amdhsa_kernarg_size 320
		.amdhsa_user_sgpr_count 15
		.amdhsa_user_sgpr_dispatch_ptr 0
		.amdhsa_user_sgpr_queue_ptr 0
		.amdhsa_user_sgpr_kernarg_segment_ptr 1
		.amdhsa_user_sgpr_dispatch_id 0
		.amdhsa_user_sgpr_private_segment_size 0
		.amdhsa_wavefront_size32 1
		.amdhsa_uses_dynamic_stack 0
		.amdhsa_enable_private_segment 0
		.amdhsa_system_sgpr_workgroup_id_x 1
		.amdhsa_system_sgpr_workgroup_id_y 0
		.amdhsa_system_sgpr_workgroup_id_z 0
		.amdhsa_system_sgpr_workgroup_info 0
		.amdhsa_system_vgpr_workitem_id 0
		.amdhsa_next_free_vgpr 46
		.amdhsa_next_free_sgpr 16
		.amdhsa_reserve_vcc 1
		.amdhsa_float_round_mode_32 0
		.amdhsa_float_round_mode_16_64 0
		.amdhsa_float_denorm_mode_32 3
		.amdhsa_float_denorm_mode_16_64 3
		.amdhsa_dx10_clamp 1
		.amdhsa_ieee_mode 1
		.amdhsa_fp16_overflow 0
		.amdhsa_workgroup_processor_mode 1
		.amdhsa_memory_ordered 1
		.amdhsa_forward_progress 0
		.amdhsa_shared_vgpr_count 0
		.amdhsa_exception_fp_ieee_invalid_op 0
		.amdhsa_exception_fp_denorm_src 0
		.amdhsa_exception_fp_ieee_div_zero 0
		.amdhsa_exception_fp_ieee_overflow 0
		.amdhsa_exception_fp_ieee_underflow 0
		.amdhsa_exception_fp_ieee_inexact 0
		.amdhsa_exception_int_div_zero 0
	.end_amdhsa_kernel
	.section	.text._ZN12tensorrt_llm7kernels21fusedQKNormRopeKernelIN3c108BFloat16EfLi256ELb0EEEvPviiifPKvS6_S6_PKlii,"axG",@progbits,_ZN12tensorrt_llm7kernels21fusedQKNormRopeKernelIN3c108BFloat16EfLi256ELb0EEEvPviiifPKvS6_S6_PKlii,comdat
.Lfunc_end77:
	.size	_ZN12tensorrt_llm7kernels21fusedQKNormRopeKernelIN3c108BFloat16EfLi256ELb0EEEvPviiifPKvS6_S6_PKlii, .Lfunc_end77-_ZN12tensorrt_llm7kernels21fusedQKNormRopeKernelIN3c108BFloat16EfLi256ELb0EEEvPviiifPKvS6_S6_PKlii
                                        ; -- End function
	.section	.AMDGPU.csdata,"",@progbits
; Kernel info:
; codeLenInByte = 3068
; NumSgprs: 18
; NumVgprs: 46
; ScratchSize: 0
; MemoryBound: 0
; FloatMode: 240
; IeeeMode: 1
; LDSByteSize: 0 bytes/workgroup (compile time only)
; SGPRBlocks: 2
; VGPRBlocks: 5
; NumSGPRsForWavesPerEU: 18
; NumVGPRsForWavesPerEU: 46
; Occupancy: 16
; WaveLimiterHint : 1
; COMPUTE_PGM_RSRC2:SCRATCH_EN: 0
; COMPUTE_PGM_RSRC2:USER_SGPR: 15
; COMPUTE_PGM_RSRC2:TRAP_HANDLER: 0
; COMPUTE_PGM_RSRC2:TGID_X_EN: 1
; COMPUTE_PGM_RSRC2:TGID_Y_EN: 0
; COMPUTE_PGM_RSRC2:TGID_Z_EN: 0
; COMPUTE_PGM_RSRC2:TIDIG_COMP_CNT: 0
	.section	.text._ZN12tensorrt_llm7kernels32fusedQKNormRopeKernelNTokenHeadsIN3c108BFloat16EfLi64ELb1ELi2EEEvPviiifPKvS6_S6_PKlii,"axG",@progbits,_ZN12tensorrt_llm7kernels32fusedQKNormRopeKernelNTokenHeadsIN3c108BFloat16EfLi64ELb1ELi2EEEvPviiifPKvS6_S6_PKlii,comdat
	.protected	_ZN12tensorrt_llm7kernels32fusedQKNormRopeKernelNTokenHeadsIN3c108BFloat16EfLi64ELb1ELi2EEEvPviiifPKvS6_S6_PKlii ; -- Begin function _ZN12tensorrt_llm7kernels32fusedQKNormRopeKernelNTokenHeadsIN3c108BFloat16EfLi64ELb1ELi2EEEvPviiifPKvS6_S6_PKlii
	.globl	_ZN12tensorrt_llm7kernels32fusedQKNormRopeKernelNTokenHeadsIN3c108BFloat16EfLi64ELb1ELi2EEEvPviiifPKvS6_S6_PKlii
	.p2align	8
	.type	_ZN12tensorrt_llm7kernels32fusedQKNormRopeKernelNTokenHeadsIN3c108BFloat16EfLi64ELb1ELi2EEEvPviiifPKvS6_S6_PKlii,@function
_ZN12tensorrt_llm7kernels32fusedQKNormRopeKernelNTokenHeadsIN3c108BFloat16EfLi64ELb1ELi2EEEvPviiifPKvS6_S6_PKlii: ; @_ZN12tensorrt_llm7kernels32fusedQKNormRopeKernelNTokenHeadsIN3c108BFloat16EfLi64ELb1ELi2EEEvPviiifPKvS6_S6_PKlii
; %bb.0:
	s_clause 0x1
	s_load_b128 s[16:19], s[0:1], 0x8
	s_load_b64 s[2:3], s[0:1], 0x38
	v_lshrrev_b32_e32 v2, 5, v0
	s_waitcnt lgkmcnt(0)
	s_add_i32 s4, s17, s16
	s_delay_alu instid0(SALU_CYCLE_1) | instskip(NEXT) | instid1(SALU_CYCLE_1)
	s_add_i32 s5, s4, 1
	s_lshr_b32 s6, s5, 31
	s_delay_alu instid0(SALU_CYCLE_1) | instskip(NEXT) | instid1(SALU_CYCLE_1)
	s_add_i32 s5, s5, s6
	s_ashr_i32 s14, s5, 1
	s_load_b32 s5, s[0:1], 0x4c
	s_abs_i32 s6, s14
	s_delay_alu instid0(SALU_CYCLE_1) | instskip(SKIP_1) | instid1(VALU_DEP_1)
	v_cvt_f32_u32_e32 v1, s6
	s_sub_i32 s7, 0, s6
	v_rcp_iflag_f32_e32 v1, v1
	s_waitcnt_depctr 0xfff
	v_mul_f32_e32 v1, 0x4f7ffffe, v1
	s_waitcnt lgkmcnt(0)
	s_bfe_u32 s5, s5, 0xb0005
	s_delay_alu instid0(SALU_CYCLE_1) | instskip(NEXT) | instid1(VALU_DEP_2)
	v_mad_u64_u32 v[3:4], null, s15, s5, v[2:3]
	v_cvt_u32_f32_e32 v1, v1
	s_delay_alu instid0(VALU_DEP_1) | instskip(NEXT) | instid1(VALU_DEP_1)
	v_mul_lo_u32 v5, s7, v1
	v_mul_hi_u32 v4, v1, v5
	s_delay_alu instid0(VALU_DEP_4) | instskip(NEXT) | instid1(VALU_DEP_1)
	v_sub_nc_u32_e32 v5, 0, v3
	v_max_i32_e32 v5, v3, v5
	s_delay_alu instid0(VALU_DEP_3) | instskip(NEXT) | instid1(VALU_DEP_1)
	v_add_nc_u32_e32 v1, v1, v4
	v_mul_hi_u32 v1, v5, v1
	s_delay_alu instid0(VALU_DEP_1) | instskip(NEXT) | instid1(VALU_DEP_1)
	v_mul_lo_u32 v4, v1, s6
	v_sub_nc_u32_e32 v4, v5, v4
	v_add_nc_u32_e32 v5, 1, v1
	s_delay_alu instid0(VALU_DEP_2) | instskip(SKIP_1) | instid1(VALU_DEP_2)
	v_subrev_nc_u32_e32 v6, s6, v4
	v_cmp_le_u32_e32 vcc_lo, s6, v4
	v_dual_cndmask_b32 v4, v4, v6 :: v_dual_cndmask_b32 v1, v1, v5
	v_xor_b32_e32 v5, s14, v3
	s_delay_alu instid0(VALU_DEP_2) | instskip(NEXT) | instid1(VALU_DEP_3)
	v_cmp_le_u32_e32 vcc_lo, s6, v4
	v_add_nc_u32_e32 v6, 1, v1
	s_delay_alu instid0(VALU_DEP_3) | instskip(NEXT) | instid1(VALU_DEP_2)
	v_ashrrev_i32_e32 v5, 31, v5
	v_cndmask_b32_e32 v1, v1, v6, vcc_lo
	s_delay_alu instid0(VALU_DEP_1) | instskip(NEXT) | instid1(VALU_DEP_1)
	v_xor_b32_e32 v1, v1, v5
	v_sub_nc_u32_e32 v1, v1, v5
	s_delay_alu instid0(VALU_DEP_1)
	v_cmp_gt_i32_e32 vcc_lo, s2, v1
	s_and_saveexec_b32 s2, vcc_lo
	s_cbranch_execz .LBB78_20
; %bb.1:
	v_mul_lo_u32 v4, v1, s14
	s_load_b64 s[12:13], s[0:1], 0x0
	v_and_b32_e32 v0, 31, v0
	v_lshlrev_b32_e32 v10, 8, v2
	v_lshlrev_b32_e32 v8, 7, v3
	s_lshl_b32 s20, s3, 2
	s_delay_alu instid0(VALU_DEP_3) | instskip(SKIP_2) | instid1(VALU_DEP_1)
	v_lshlrev_b32_e32 v7, 2, v0
	v_sub_nc_u32_e32 v4, v3, v4
	s_mul_i32 s15, s20, s5
	v_lshlrev_b32_e32 v5, 1, v4
	s_delay_alu instid0(VALU_DEP_1) | instskip(SKIP_1) | instid1(VALU_DEP_2)
	v_add_nc_u32_e32 v4, 2, v5
	v_sub_nc_u32_e32 v6, s4, v5
	v_cmp_lt_i32_e32 vcc_lo, s4, v4
	s_delay_alu instid0(VALU_DEP_2) | instskip(NEXT) | instid1(VALU_DEP_1)
	v_cndmask_b32_e32 v6, 2, v6, vcc_lo
	v_cmp_lt_i32_e32 vcc_lo, 0, v6
	s_and_saveexec_b32 s4, vcc_lo
	s_cbranch_execz .LBB78_4
; %bb.2:
	s_add_i32 s2, s18, s17
	s_lshl_b32 s5, s14, 1
	s_add_i32 s2, s2, s16
	s_mov_b32 s6, 0
	s_sub_i32 s2, s2, s5
	s_mov_b32 s5, 0
	v_mul_lo_u32 v3, s2, v1
	s_add_i32 s2, s15, 0
	s_delay_alu instid0(SALU_CYCLE_1) | instskip(NEXT) | instid1(VALU_DEP_2)
	v_add3_u32 v9, s2, v10, v7
	v_lshl_add_u32 v3, v3, 6, v8
	s_delay_alu instid0(VALU_DEP_1)
	v_lshl_or_b32 v3, v0, 1, v3
	.p2align	6
.LBB78_3:                               ; =>This Inner Loop Header: Depth=1
	s_delay_alu instid0(VALU_DEP_1) | instskip(SKIP_1) | instid1(VALU_DEP_1)
	v_ashrrev_i32_e32 v4, 31, v3
	s_add_i32 s6, s6, 1
	v_lshlrev_b64 v[11:12], 1, v[3:4]
	v_add_nc_u32_e32 v3, 64, v3
	s_waitcnt lgkmcnt(0)
	s_delay_alu instid0(VALU_DEP_2) | instskip(NEXT) | instid1(VALU_DEP_1)
	v_add_co_u32 v11, s2, s12, v11
	v_add_co_ci_u32_e64 v12, s2, s13, v12, s2
	v_cmp_ge_i32_e64 s2, s6, v6
	global_load_b32 v4, v[11:12], off
	s_or_b32 s5, s2, s5
	s_waitcnt vmcnt(0)
	ds_store_b32 v9, v4
	v_add_nc_u32_e32 v9, 0x80, v9
	s_and_not1_b32 exec_lo, exec_lo, s5
	s_cbranch_execnz .LBB78_3
.LBB78_4:
	s_or_b32 exec_lo, exec_lo, s4
	s_load_b256 s[4:11], s[0:1], 0x18
	v_mul_lo_u32 v2, v2, s3
	s_add_i32 s0, s20, 15
	s_mov_b32 s20, exec_lo
	s_ashr_i32 s1, s0, 31
	s_delay_alu instid0(SALU_CYCLE_1) | instskip(NEXT) | instid1(SALU_CYCLE_1)
	s_lshr_b32 s1, s1, 28
	s_add_i32 s0, s0, s1
	s_delay_alu instid0(VALU_DEP_1) | instskip(SKIP_1) | instid1(SALU_CYCLE_1)
	v_lshlrev_b32_e32 v9, 2, v2
	s_ashr_i32 s2, s0, 4
	v_cmpx_gt_i32_e64 s2, v0
	s_cbranch_execz .LBB78_7
; %bb.5:
	v_ashrrev_i32_e32 v2, 31, v1
	s_delay_alu instid0(VALU_DEP_1) | instskip(SKIP_1) | instid1(VALU_DEP_1)
	v_lshlrev_b64 v[2:3], 3, v[1:2]
	s_waitcnt lgkmcnt(0)
	v_add_co_u32 v2, s0, s10, v2
	s_delay_alu instid0(VALU_DEP_1)
	v_add_co_ci_u32_e64 v3, s0, s11, v3, s0
	s_ashr_i32 s0, s3, 31
	global_load_b64 v[2:3], v[2:3], off
	s_waitcnt vmcnt(0)
	v_mul_lo_u32 v11, v3, s3
	v_mul_lo_u32 v12, v2, s0
	v_mad_u64_u32 v[3:4], null, v2, s3, 0
	s_delay_alu instid0(VALU_DEP_1) | instskip(SKIP_1) | instid1(VALU_DEP_2)
	v_add3_u32 v4, v4, v12, v11
	v_mov_b32_e32 v11, v0
	v_lshlrev_b64 v[2:3], 2, v[3:4]
	v_lshlrev_b32_e32 v4, 4, v0
	s_delay_alu instid0(VALU_DEP_1) | instskip(NEXT) | instid1(VALU_DEP_1)
	v_add_co_u32 v2, s0, v2, v4
	v_add_co_ci_u32_e64 v3, s0, 0, v3, s0
	v_add3_u32 v4, v9, v4, 0
	s_delay_alu instid0(VALU_DEP_3) | instskip(NEXT) | instid1(VALU_DEP_1)
	v_add_co_u32 v2, s0, s8, v2
	v_add_co_ci_u32_e64 v3, s0, s9, v3, s0
	s_mov_b32 s8, 0
	.p2align	6
.LBB78_6:                               ; =>This Inner Loop Header: Depth=1
	global_load_b128 v[12:15], v[2:3], off
	v_add_nc_u32_e32 v11, 32, v11
	v_add_co_u32 v2, s0, 0x200, v2
	s_delay_alu instid0(VALU_DEP_1) | instskip(NEXT) | instid1(VALU_DEP_3)
	v_add_co_ci_u32_e64 v3, s0, 0, v3, s0
	v_cmp_le_i32_e64 s1, s2, v11
	s_delay_alu instid0(VALU_DEP_1)
	s_or_b32 s8, s1, s8
	s_waitcnt vmcnt(0)
	ds_store_b128 v4, v[12:15]
	v_add_nc_u32_e32 v4, 0x200, v4
	s_and_not1_b32 exec_lo, exec_lo, s8
	s_cbranch_execnz .LBB78_6
.LBB78_7:
	s_or_b32 exec_lo, exec_lo, s20
	s_delay_alu instid0(SALU_CYCLE_1)
	s_and_b32 exec_lo, exec_lo, vcc_lo
	s_cbranch_execz .LBB78_20
; %bb.8:
	s_waitcnt lgkmcnt(0)
	s_clause 0x1
	global_load_b32 v3, v7, s[4:5]
	global_load_b32 v4, v7, s[6:7]
	v_mbcnt_lo_u32_b32 v2, -1, 0
	s_lshr_b32 s0, s3, 31
	v_add3_u32 v9, 0, v9, v7
	s_add_i32 s0, s3, s0
	v_add_nc_u32_e32 v17, s15, v10
	v_xor_b32_e32 v11, 16, v2
	s_ashr_i32 s0, s0, 1
	v_xor_b32_e32 v12, 8, v2
	v_cmp_gt_i32_e32 vcc_lo, s0, v0
	v_lshl_add_u32 v10, s0, 2, v9
	v_cmp_gt_i32_e64 s0, 32, v11
	v_xor_b32_e32 v13, 4, v2
	v_xor_b32_e32 v14, 2, v2
	s_add_i32 s1, s18, s17
	s_lshl_b32 s2, s14, 1
	v_cndmask_b32_e64 v11, v2, v11, s0
	v_cmp_gt_i32_e64 s0, 32, v12
	s_add_i32 s1, s1, s16
	v_xor_b32_e32 v15, 1, v2
	s_sub_i32 s1, s1, s2
	v_add3_u32 v7, v17, v7, 0
	v_cndmask_b32_e64 v12, v2, v12, s0
	v_cmp_gt_i32_e64 s0, 32, v13
	v_mul_lo_u32 v1, s1, v1
	s_mov_b32 s2, 0
	s_mov_b32 s3, 0
	s_delay_alu instid0(VALU_DEP_2) | instskip(SKIP_1) | instid1(VALU_DEP_3)
	v_cndmask_b32_e64 v13, v2, v13, s0
	v_cmp_gt_i32_e64 s0, 32, v14
	v_lshl_add_u32 v1, v1, 6, v8
	v_lshlrev_b32_e32 v8, 2, v11
	s_delay_alu instid0(VALU_DEP_3)
	v_cndmask_b32_e64 v14, v2, v14, s0
	v_cmp_gt_i32_e64 s0, 32, v15
	v_lshlrev_b32_e32 v11, 2, v12
	v_lshlrev_b32_e32 v12, 2, v13
	v_lshl_or_b32 v0, v0, 1, v1
	v_lshlrev_b32_e32 v13, 2, v14
	v_cndmask_b32_e64 v2, v2, v15, s0
	s_delay_alu instid0(VALU_DEP_1)
	v_lshlrev_b32_e32 v14, 2, v2
	s_waitcnt vmcnt(1)
	v_lshrrev_b32_e32 v15, 16, v3
	s_waitcnt vmcnt(0)
	v_lshrrev_b32_e32 v16, 16, v4
	s_branch .LBB78_10
.LBB78_9:                               ;   in Loop: Header=BB78_10 Depth=1
	s_or_b32 exec_lo, exec_lo, s1
	v_ashrrev_i32_e32 v1, 31, v0
	v_lshrrev_b32_e32 v17, 16, v17
	s_add_i32 s3, s3, 1
	v_add_nc_u32_e32 v7, 0x80, v7
	v_cmp_ge_i32_e64 s0, s3, v6
	v_lshlrev_b64 v[1:2], 1, v[0:1]
	v_and_or_b32 v17, 0xffff0000, v18, v17
	v_add_nc_u32_e32 v0, 64, v0
	s_delay_alu instid0(VALU_DEP_4) | instskip(NEXT) | instid1(VALU_DEP_3)
	s_or_b32 s2, s0, s2
	v_add_co_u32 v1, s1, s12, v1
	s_delay_alu instid0(VALU_DEP_1)
	v_add_co_ci_u32_e64 v2, s1, s13, v2, s1
	global_store_b32 v[1:2], v17, off
	s_and_not1_b32 exec_lo, exec_lo, s2
	s_cbranch_execz .LBB78_20
.LBB78_10:                              ; =>This Inner Loop Header: Depth=1
	ds_load_b32 v1, v7
	s_waitcnt lgkmcnt(0)
	v_lshlrev_b32_e32 v2, 16, v1
	v_and_b32_e32 v17, 0xffff0000, v1
	s_delay_alu instid0(VALU_DEP_2) | instskip(NEXT) | instid1(VALU_DEP_1)
	v_mul_f32_e32 v1, v2, v2
	v_fmac_f32_e32 v1, v17, v17
	ds_bpermute_b32 v18, v8, v1
	s_waitcnt lgkmcnt(0)
	v_add_f32_e32 v1, v1, v18
	ds_bpermute_b32 v18, v11, v1
	s_waitcnt lgkmcnt(0)
	v_add_f32_e32 v1, v1, v18
	;; [unrolled: 3-line block ×5, first 2 shown]
	s_delay_alu instid0(VALU_DEP_1) | instskip(NEXT) | instid1(VALU_DEP_1)
	v_fma_f32 v1, 0x3c800000, v1, s19
	v_mul_f32_e32 v18, 0x4b800000, v1
	v_cmp_gt_f32_e64 s0, 0x800000, v1
	s_delay_alu instid0(VALU_DEP_1) | instskip(SKIP_1) | instid1(VALU_DEP_2)
	v_cndmask_b32_e64 v1, v1, v18, s0
	v_add_nc_u32_e32 v18, s3, v5
	v_rsq_f32_e32 v1, v1
	s_delay_alu instid0(VALU_DEP_1) | instskip(NEXT) | instid1(VALU_DEP_1)
	v_cmp_gt_i32_e64 s1, s16, v18
	v_cndmask_b32_e64 v18, v4, v3, s1
	v_cndmask_b32_e64 v20, v16, v15, s1
	s_waitcnt_depctr 0xfff
	v_dual_mul_f32 v19, 0x45800000, v1 :: v_dual_lshlrev_b32 v18, 16, v18
	s_delay_alu instid0(VALU_DEP_1) | instskip(NEXT) | instid1(VALU_DEP_1)
	v_cndmask_b32_e64 v1, v1, v19, s0
	v_dual_mul_f32 v18, v1, v18 :: v_dual_lshlrev_b32 v19, 16, v20
	s_delay_alu instid0(VALU_DEP_1) | instskip(NEXT) | instid1(VALU_DEP_1)
	v_mul_f32_e32 v19, v1, v19
	v_dual_mul_f32 v1, v18, v2 :: v_dual_mul_f32 v2, v19, v17
	s_and_saveexec_b32 s0, vcc_lo
	s_cbranch_execz .LBB78_12
; %bb.11:                               ;   in Loop: Header=BB78_10 Depth=1
	ds_load_b32 v17, v10
	ds_load_b32 v19, v9
	s_waitcnt lgkmcnt(1)
	v_mul_f32_e32 v18, v1, v17
	s_waitcnt lgkmcnt(0)
	s_delay_alu instid0(VALU_DEP_1) | instskip(SKIP_1) | instid1(VALU_DEP_1)
	v_fmac_f32_e32 v18, v2, v19
	v_mul_f32_e32 v20, v2, v17
	v_fma_f32 v17, v1, v19, -v20
	s_delay_alu instid0(VALU_DEP_1)
	v_dual_mov_b32 v1, v17 :: v_dual_mov_b32 v2, v18
.LBB78_12:                              ;   in Loop: Header=BB78_10 Depth=1
	s_or_b32 exec_lo, exec_lo, s0
	s_delay_alu instid0(VALU_DEP_1) | instskip(NEXT) | instid1(VALU_DEP_1)
	v_and_b32_e32 v17, 0x7f800000, v1
	v_cmp_ne_u32_e64 s0, 0x7f800000, v17
                                        ; implicit-def: $vgpr17
	s_delay_alu instid0(VALU_DEP_1) | instskip(NEXT) | instid1(SALU_CYCLE_1)
	s_and_saveexec_b32 s1, s0
	s_xor_b32 s0, exec_lo, s1
; %bb.13:                               ;   in Loop: Header=BB78_10 Depth=1
	v_bfe_u32 v17, v1, 16, 1
	s_delay_alu instid0(VALU_DEP_1)
	v_add3_u32 v17, v1, v17, 0x7fff
; %bb.14:                               ;   in Loop: Header=BB78_10 Depth=1
	s_and_not1_saveexec_b32 s1, s0
; %bb.15:                               ;   in Loop: Header=BB78_10 Depth=1
	v_and_b32_e32 v17, 0xffff, v1
	v_or_b32_e32 v18, 0x10000, v1
	s_delay_alu instid0(VALU_DEP_2) | instskip(NEXT) | instid1(VALU_DEP_1)
	v_cmp_eq_u32_e64 s0, 0, v17
	v_cndmask_b32_e64 v17, v18, v1, s0
; %bb.16:                               ;   in Loop: Header=BB78_10 Depth=1
	s_or_b32 exec_lo, exec_lo, s1
	v_and_b32_e32 v1, 0x7f800000, v2
                                        ; implicit-def: $vgpr18
	s_delay_alu instid0(VALU_DEP_1) | instskip(NEXT) | instid1(VALU_DEP_1)
	v_cmp_ne_u32_e64 s0, 0x7f800000, v1
	s_and_saveexec_b32 s1, s0
	s_delay_alu instid0(SALU_CYCLE_1)
	s_xor_b32 s0, exec_lo, s1
; %bb.17:                               ;   in Loop: Header=BB78_10 Depth=1
	v_bfe_u32 v1, v2, 16, 1
	s_delay_alu instid0(VALU_DEP_1)
	v_add3_u32 v18, v2, v1, 0x7fff
                                        ; implicit-def: $vgpr1_vgpr2
; %bb.18:                               ;   in Loop: Header=BB78_10 Depth=1
	s_and_not1_saveexec_b32 s1, s0
	s_cbranch_execz .LBB78_9
; %bb.19:                               ;   in Loop: Header=BB78_10 Depth=1
	v_and_b32_e32 v1, 0xffff, v2
	v_or_b32_e32 v18, 0x10000, v2
	s_delay_alu instid0(VALU_DEP_2) | instskip(NEXT) | instid1(VALU_DEP_1)
	v_cmp_eq_u32_e64 s0, 0, v1
	v_cndmask_b32_e64 v18, v18, v2, s0
	s_branch .LBB78_9
.LBB78_20:
	s_nop 0
	s_sendmsg sendmsg(MSG_DEALLOC_VGPRS)
	s_endpgm
	.section	.rodata,"a",@progbits
	.p2align	6, 0x0
	.amdhsa_kernel _ZN12tensorrt_llm7kernels32fusedQKNormRopeKernelNTokenHeadsIN3c108BFloat16EfLi64ELb1ELi2EEEvPviiifPKvS6_S6_PKlii
		.amdhsa_group_segment_fixed_size 0
		.amdhsa_private_segment_fixed_size 0
		.amdhsa_kernarg_size 320
		.amdhsa_user_sgpr_count 15
		.amdhsa_user_sgpr_dispatch_ptr 0
		.amdhsa_user_sgpr_queue_ptr 0
		.amdhsa_user_sgpr_kernarg_segment_ptr 1
		.amdhsa_user_sgpr_dispatch_id 0
		.amdhsa_user_sgpr_private_segment_size 0
		.amdhsa_wavefront_size32 1
		.amdhsa_uses_dynamic_stack 0
		.amdhsa_enable_private_segment 0
		.amdhsa_system_sgpr_workgroup_id_x 1
		.amdhsa_system_sgpr_workgroup_id_y 0
		.amdhsa_system_sgpr_workgroup_id_z 0
		.amdhsa_system_sgpr_workgroup_info 0
		.amdhsa_system_vgpr_workitem_id 0
		.amdhsa_next_free_vgpr 21
		.amdhsa_next_free_sgpr 21
		.amdhsa_reserve_vcc 1
		.amdhsa_float_round_mode_32 0
		.amdhsa_float_round_mode_16_64 0
		.amdhsa_float_denorm_mode_32 3
		.amdhsa_float_denorm_mode_16_64 3
		.amdhsa_dx10_clamp 1
		.amdhsa_ieee_mode 1
		.amdhsa_fp16_overflow 0
		.amdhsa_workgroup_processor_mode 1
		.amdhsa_memory_ordered 1
		.amdhsa_forward_progress 0
		.amdhsa_shared_vgpr_count 0
		.amdhsa_exception_fp_ieee_invalid_op 0
		.amdhsa_exception_fp_denorm_src 0
		.amdhsa_exception_fp_ieee_div_zero 0
		.amdhsa_exception_fp_ieee_overflow 0
		.amdhsa_exception_fp_ieee_underflow 0
		.amdhsa_exception_fp_ieee_inexact 0
		.amdhsa_exception_int_div_zero 0
	.end_amdhsa_kernel
	.section	.text._ZN12tensorrt_llm7kernels32fusedQKNormRopeKernelNTokenHeadsIN3c108BFloat16EfLi64ELb1ELi2EEEvPviiifPKvS6_S6_PKlii,"axG",@progbits,_ZN12tensorrt_llm7kernels32fusedQKNormRopeKernelNTokenHeadsIN3c108BFloat16EfLi64ELb1ELi2EEEvPviiifPKvS6_S6_PKlii,comdat
.Lfunc_end78:
	.size	_ZN12tensorrt_llm7kernels32fusedQKNormRopeKernelNTokenHeadsIN3c108BFloat16EfLi64ELb1ELi2EEEvPviiifPKvS6_S6_PKlii, .Lfunc_end78-_ZN12tensorrt_llm7kernels32fusedQKNormRopeKernelNTokenHeadsIN3c108BFloat16EfLi64ELb1ELi2EEEvPviiifPKvS6_S6_PKlii
                                        ; -- End function
	.section	.AMDGPU.csdata,"",@progbits
; Kernel info:
; codeLenInByte = 1768
; NumSgprs: 23
; NumVgprs: 21
; ScratchSize: 0
; MemoryBound: 0
; FloatMode: 240
; IeeeMode: 1
; LDSByteSize: 0 bytes/workgroup (compile time only)
; SGPRBlocks: 2
; VGPRBlocks: 2
; NumSGPRsForWavesPerEU: 23
; NumVGPRsForWavesPerEU: 21
; Occupancy: 16
; WaveLimiterHint : 0
; COMPUTE_PGM_RSRC2:SCRATCH_EN: 0
; COMPUTE_PGM_RSRC2:USER_SGPR: 15
; COMPUTE_PGM_RSRC2:TRAP_HANDLER: 0
; COMPUTE_PGM_RSRC2:TGID_X_EN: 1
; COMPUTE_PGM_RSRC2:TGID_Y_EN: 0
; COMPUTE_PGM_RSRC2:TGID_Z_EN: 0
; COMPUTE_PGM_RSRC2:TIDIG_COMP_CNT: 0
	.section	.text._ZN12tensorrt_llm7kernels32fusedQKNormRopeKernelNTokenHeadsIN3c108BFloat16EfLi64ELb0ELi2EEEvPviiifPKvS6_S6_PKlii,"axG",@progbits,_ZN12tensorrt_llm7kernels32fusedQKNormRopeKernelNTokenHeadsIN3c108BFloat16EfLi64ELb0ELi2EEEvPviiifPKvS6_S6_PKlii,comdat
	.protected	_ZN12tensorrt_llm7kernels32fusedQKNormRopeKernelNTokenHeadsIN3c108BFloat16EfLi64ELb0ELi2EEEvPviiifPKvS6_S6_PKlii ; -- Begin function _ZN12tensorrt_llm7kernels32fusedQKNormRopeKernelNTokenHeadsIN3c108BFloat16EfLi64ELb0ELi2EEEvPviiifPKvS6_S6_PKlii
	.globl	_ZN12tensorrt_llm7kernels32fusedQKNormRopeKernelNTokenHeadsIN3c108BFloat16EfLi64ELb0ELi2EEEvPviiifPKvS6_S6_PKlii
	.p2align	8
	.type	_ZN12tensorrt_llm7kernels32fusedQKNormRopeKernelNTokenHeadsIN3c108BFloat16EfLi64ELb0ELi2EEEvPviiifPKvS6_S6_PKlii,@function
_ZN12tensorrt_llm7kernels32fusedQKNormRopeKernelNTokenHeadsIN3c108BFloat16EfLi64ELb0ELi2EEEvPviiifPKvS6_S6_PKlii: ; @_ZN12tensorrt_llm7kernels32fusedQKNormRopeKernelNTokenHeadsIN3c108BFloat16EfLi64ELb0ELi2EEEvPviiifPKvS6_S6_PKlii
; %bb.0:
	s_clause 0x1
	s_load_b128 s[16:19], s[0:1], 0x8
	s_load_b64 s[2:3], s[0:1], 0x38
	v_lshrrev_b32_e32 v2, 5, v0
	s_waitcnt lgkmcnt(0)
	s_add_i32 s4, s17, s16
	s_delay_alu instid0(SALU_CYCLE_1) | instskip(NEXT) | instid1(SALU_CYCLE_1)
	s_add_i32 s5, s4, 1
	s_lshr_b32 s6, s5, 31
	s_delay_alu instid0(SALU_CYCLE_1) | instskip(NEXT) | instid1(SALU_CYCLE_1)
	s_add_i32 s5, s5, s6
	s_ashr_i32 s14, s5, 1
	s_load_b32 s5, s[0:1], 0x4c
	s_abs_i32 s6, s14
	s_delay_alu instid0(SALU_CYCLE_1) | instskip(SKIP_1) | instid1(VALU_DEP_1)
	v_cvt_f32_u32_e32 v1, s6
	s_sub_i32 s7, 0, s6
	v_rcp_iflag_f32_e32 v1, v1
	s_waitcnt_depctr 0xfff
	v_mul_f32_e32 v1, 0x4f7ffffe, v1
	s_waitcnt lgkmcnt(0)
	s_bfe_u32 s5, s5, 0xb0005
	s_delay_alu instid0(SALU_CYCLE_1) | instskip(NEXT) | instid1(VALU_DEP_2)
	v_mad_u64_u32 v[3:4], null, s15, s5, v[2:3]
	v_cvt_u32_f32_e32 v1, v1
	s_delay_alu instid0(VALU_DEP_1) | instskip(NEXT) | instid1(VALU_DEP_1)
	v_mul_lo_u32 v5, s7, v1
	v_mul_hi_u32 v4, v1, v5
	s_delay_alu instid0(VALU_DEP_4) | instskip(NEXT) | instid1(VALU_DEP_1)
	v_sub_nc_u32_e32 v5, 0, v3
	v_max_i32_e32 v5, v3, v5
	s_delay_alu instid0(VALU_DEP_3) | instskip(NEXT) | instid1(VALU_DEP_1)
	v_add_nc_u32_e32 v1, v1, v4
	v_mul_hi_u32 v1, v5, v1
	s_delay_alu instid0(VALU_DEP_1) | instskip(NEXT) | instid1(VALU_DEP_1)
	v_mul_lo_u32 v4, v1, s6
	v_sub_nc_u32_e32 v4, v5, v4
	v_add_nc_u32_e32 v5, 1, v1
	s_delay_alu instid0(VALU_DEP_2) | instskip(SKIP_1) | instid1(VALU_DEP_2)
	v_subrev_nc_u32_e32 v6, s6, v4
	v_cmp_le_u32_e32 vcc_lo, s6, v4
	v_dual_cndmask_b32 v4, v4, v6 :: v_dual_cndmask_b32 v1, v1, v5
	v_xor_b32_e32 v5, s14, v3
	s_delay_alu instid0(VALU_DEP_2) | instskip(NEXT) | instid1(VALU_DEP_3)
	v_cmp_le_u32_e32 vcc_lo, s6, v4
	v_add_nc_u32_e32 v6, 1, v1
	s_delay_alu instid0(VALU_DEP_3) | instskip(NEXT) | instid1(VALU_DEP_2)
	v_ashrrev_i32_e32 v5, 31, v5
	v_cndmask_b32_e32 v1, v1, v6, vcc_lo
	s_delay_alu instid0(VALU_DEP_1) | instskip(NEXT) | instid1(VALU_DEP_1)
	v_xor_b32_e32 v1, v1, v5
	v_sub_nc_u32_e32 v1, v1, v5
	s_delay_alu instid0(VALU_DEP_1)
	v_cmp_gt_i32_e32 vcc_lo, s2, v1
	s_and_saveexec_b32 s2, vcc_lo
	s_cbranch_execz .LBB79_20
; %bb.1:
	v_mul_lo_u32 v4, v1, s14
	s_load_b64 s[12:13], s[0:1], 0x0
	v_and_b32_e32 v0, 31, v0
	v_lshlrev_b32_e32 v9, 8, v2
	v_lshlrev_b32_e32 v8, 7, v3
	s_lshl_b32 s20, s3, 2
	s_delay_alu instid0(VALU_DEP_3) | instskip(SKIP_2) | instid1(VALU_DEP_1)
	v_lshlrev_b32_e32 v7, 2, v0
	v_sub_nc_u32_e32 v4, v3, v4
	s_mul_i32 s15, s20, s5
	v_lshlrev_b32_e32 v5, 1, v4
	s_delay_alu instid0(VALU_DEP_1) | instskip(SKIP_1) | instid1(VALU_DEP_2)
	v_add_nc_u32_e32 v4, 2, v5
	v_sub_nc_u32_e32 v6, s4, v5
	v_cmp_lt_i32_e32 vcc_lo, s4, v4
	s_delay_alu instid0(VALU_DEP_2) | instskip(NEXT) | instid1(VALU_DEP_1)
	v_cndmask_b32_e32 v6, 2, v6, vcc_lo
	v_cmp_lt_i32_e32 vcc_lo, 0, v6
	s_and_saveexec_b32 s4, vcc_lo
	s_cbranch_execz .LBB79_4
; %bb.2:
	s_add_i32 s2, s18, s17
	s_lshl_b32 s5, s14, 1
	s_add_i32 s2, s2, s16
	s_mov_b32 s6, 0
	s_sub_i32 s2, s2, s5
	s_mov_b32 s5, 0
	v_mul_lo_u32 v3, s2, v1
	s_add_i32 s2, s15, 0
	s_delay_alu instid0(SALU_CYCLE_1) | instskip(NEXT) | instid1(VALU_DEP_2)
	v_add3_u32 v10, s2, v9, v7
	v_lshl_add_u32 v3, v3, 6, v8
	s_delay_alu instid0(VALU_DEP_1)
	v_lshl_or_b32 v3, v0, 1, v3
	.p2align	6
.LBB79_3:                               ; =>This Inner Loop Header: Depth=1
	s_delay_alu instid0(VALU_DEP_1) | instskip(SKIP_1) | instid1(VALU_DEP_1)
	v_ashrrev_i32_e32 v4, 31, v3
	s_add_i32 s6, s6, 1
	v_lshlrev_b64 v[11:12], 1, v[3:4]
	v_add_nc_u32_e32 v3, 64, v3
	s_waitcnt lgkmcnt(0)
	s_delay_alu instid0(VALU_DEP_2) | instskip(NEXT) | instid1(VALU_DEP_1)
	v_add_co_u32 v11, s2, s12, v11
	v_add_co_ci_u32_e64 v12, s2, s13, v12, s2
	v_cmp_ge_i32_e64 s2, s6, v6
	global_load_b32 v4, v[11:12], off
	s_or_b32 s5, s2, s5
	s_waitcnt vmcnt(0)
	ds_store_b32 v10, v4
	v_add_nc_u32_e32 v10, 0x80, v10
	s_and_not1_b32 exec_lo, exec_lo, s5
	s_cbranch_execnz .LBB79_3
.LBB79_4:
	s_or_b32 exec_lo, exec_lo, s4
	s_load_b256 s[4:11], s[0:1], 0x18
	s_add_i32 s0, s20, 15
	v_mul_lo_u32 v10, v2, s3
	s_ashr_i32 s1, s0, 31
	s_mov_b32 s20, exec_lo
	s_lshr_b32 s1, s1, 28
	s_delay_alu instid0(SALU_CYCLE_1) | instskip(NEXT) | instid1(SALU_CYCLE_1)
	s_add_i32 s0, s0, s1
	s_ashr_i32 s2, s0, 4
	s_delay_alu instid0(SALU_CYCLE_1)
	v_cmpx_gt_i32_e64 s2, v0
	s_cbranch_execz .LBB79_7
; %bb.5:
	v_ashrrev_i32_e32 v2, 31, v1
	s_delay_alu instid0(VALU_DEP_1) | instskip(SKIP_1) | instid1(VALU_DEP_1)
	v_lshlrev_b64 v[2:3], 3, v[1:2]
	s_waitcnt lgkmcnt(0)
	v_add_co_u32 v2, s0, s10, v2
	s_delay_alu instid0(VALU_DEP_1)
	v_add_co_ci_u32_e64 v3, s0, s11, v3, s0
	s_ashr_i32 s0, s3, 31
	global_load_b64 v[2:3], v[2:3], off
	s_waitcnt vmcnt(0)
	v_mul_lo_u32 v11, v3, s3
	v_mul_lo_u32 v12, v2, s0
	v_mad_u64_u32 v[3:4], null, v2, s3, 0
	s_delay_alu instid0(VALU_DEP_1) | instskip(SKIP_1) | instid1(VALU_DEP_2)
	v_add3_u32 v4, v4, v12, v11
	v_lshlrev_b32_e32 v11, 2, v10
	v_lshlrev_b64 v[2:3], 2, v[3:4]
	v_lshlrev_b32_e32 v4, 4, v0
	s_delay_alu instid0(VALU_DEP_1) | instskip(NEXT) | instid1(VALU_DEP_1)
	v_add_co_u32 v2, s0, v2, v4
	v_add_co_ci_u32_e64 v3, s0, 0, v3, s0
	v_add3_u32 v4, v11, v4, 0
	v_mov_b32_e32 v11, v0
	s_delay_alu instid0(VALU_DEP_4) | instskip(NEXT) | instid1(VALU_DEP_1)
	v_add_co_u32 v2, s0, s8, v2
	v_add_co_ci_u32_e64 v3, s0, s9, v3, s0
	s_mov_b32 s8, 0
	.p2align	6
.LBB79_6:                               ; =>This Inner Loop Header: Depth=1
	global_load_b128 v[12:15], v[2:3], off
	v_add_nc_u32_e32 v11, 32, v11
	v_add_co_u32 v2, s0, 0x200, v2
	s_delay_alu instid0(VALU_DEP_1) | instskip(NEXT) | instid1(VALU_DEP_3)
	v_add_co_ci_u32_e64 v3, s0, 0, v3, s0
	v_cmp_le_i32_e64 s1, s2, v11
	s_delay_alu instid0(VALU_DEP_1)
	s_or_b32 s8, s1, s8
	s_waitcnt vmcnt(0)
	ds_store_b128 v4, v[12:15]
	v_add_nc_u32_e32 v4, 0x200, v4
	s_and_not1_b32 exec_lo, exec_lo, s8
	s_cbranch_execnz .LBB79_6
.LBB79_7:
	s_or_b32 exec_lo, exec_lo, s20
	s_delay_alu instid0(SALU_CYCLE_1)
	s_and_b32 exec_lo, exec_lo, vcc_lo
	s_cbranch_execz .LBB79_20
; %bb.8:
	s_waitcnt lgkmcnt(0)
	s_clause 0x1
	global_load_b32 v3, v7, s[4:5]
	global_load_b32 v4, v7, s[6:7]
	s_abs_i32 s2, s3
	v_or_b32_e32 v12, 2, v7
	v_cvt_f32_u32_e32 v2, s2
	s_sub_i32 s0, 0, s2
	v_lshl_add_u32 v16, v10, 2, 0
	v_mbcnt_lo_u32_b32 v10, -1, 0
	s_add_i32 s1, s18, s17
	v_rcp_iflag_f32_e32 v2, v2
	v_add_nc_u32_e32 v20, s15, v9
	s_lshl_b32 s4, s14, 1
	s_add_i32 s1, s1, s16
	v_xor_b32_e32 v13, 8, v10
	s_sub_i32 s1, s1, s4
	v_xor_b32_e32 v14, 4, v10
	v_mul_lo_u32 v1, s1, v1
	v_xor_b32_e32 v15, 2, v10
	v_xor_b32_e32 v17, 1, v10
	v_mul_f32_e32 v2, 0x4f7ffffe, v2
	s_mov_b32 s4, 0
	s_delay_alu instid0(VALU_DEP_4) | instskip(NEXT) | instid1(VALU_DEP_2)
	v_lshl_add_u32 v1, v1, 6, v8
	v_cvt_u32_f32_e32 v2, v2
	s_delay_alu instid0(VALU_DEP_1) | instskip(SKIP_1) | instid1(SALU_CYCLE_1)
	v_mul_lo_u32 v11, s0, v2
	s_lshr_b32 s0, s3, 31
	s_add_i32 s0, s3, s0
	s_mov_b32 s3, 0
	s_ashr_i32 s0, s0, 1
	s_delay_alu instid0(SALU_CYCLE_1) | instskip(NEXT) | instid1(VALU_DEP_2)
	v_lshl_add_u32 v18, s0, 2, v16
	v_mul_hi_u32 v11, v2, v11
	v_cmp_gt_i32_e32 vcc_lo, s0, v0
	s_lshr_b32 s0, s0, 1
	s_delay_alu instid0(SALU_CYCLE_1) | instskip(SKIP_4) | instid1(VALU_DEP_2)
	v_xor_b32_e32 v19, s0, v10
	v_cmp_gt_u32_e64 s0, s0, v0
	v_lshl_or_b32 v0, v0, 1, v1
	v_add_nc_u32_e32 v2, v2, v11
	v_xor_b32_e32 v11, 16, v10
	v_mul_hi_u32 v9, v7, v2
	v_mul_hi_u32 v2, v12, v2
	s_delay_alu instid0(VALU_DEP_3) | instskip(NEXT) | instid1(VALU_DEP_1)
	v_cmp_gt_i32_e64 s1, 32, v11
	v_cndmask_b32_e64 v11, v10, v11, s1
	s_delay_alu instid0(VALU_DEP_4) | instskip(NEXT) | instid1(VALU_DEP_4)
	v_mul_lo_u32 v9, v9, s2
	v_mul_lo_u32 v2, v2, s2
	v_cmp_gt_i32_e64 s1, 32, v13
	s_delay_alu instid0(VALU_DEP_4) | instskip(NEXT) | instid1(VALU_DEP_4)
	v_lshlrev_b32_e32 v8, 2, v11
	v_sub_nc_u32_e32 v9, v7, v9
	s_delay_alu instid0(VALU_DEP_4) | instskip(NEXT) | instid1(VALU_DEP_4)
	v_sub_nc_u32_e32 v2, v12, v2
	v_cndmask_b32_e64 v12, v10, v13, s1
	v_cmp_gt_i32_e64 s1, 32, v14
	v_add3_u32 v7, v20, v7, 0
	v_subrev_nc_u32_e32 v13, s2, v9
	v_subrev_nc_u32_e32 v21, s2, v2
	s_delay_alu instid0(VALU_DEP_4) | instskip(SKIP_1) | instid1(VALU_DEP_1)
	v_cndmask_b32_e64 v14, v10, v14, s1
	v_cmp_le_u32_e64 s1, s2, v9
	v_cndmask_b32_e64 v9, v9, v13, s1
	v_cmp_le_u32_e64 s1, s2, v2
	s_delay_alu instid0(VALU_DEP_1) | instskip(SKIP_1) | instid1(VALU_DEP_2)
	v_cndmask_b32_e64 v2, v2, v21, s1
	v_cmp_gt_i32_e64 s1, 32, v15
	v_subrev_nc_u32_e32 v21, s2, v2
	s_delay_alu instid0(VALU_DEP_2) | instskip(SKIP_1) | instid1(VALU_DEP_2)
	v_cndmask_b32_e64 v13, v10, v15, s1
	v_cmp_gt_i32_e64 s1, 32, v17
	v_lshlrev_b32_e32 v11, 2, v13
	s_delay_alu instid0(VALU_DEP_2) | instskip(SKIP_2) | instid1(VALU_DEP_2)
	v_cndmask_b32_e64 v15, v10, v17, s1
	v_cmp_gt_i32_e64 s1, 32, v19
	v_subrev_nc_u32_e32 v17, s2, v9
	v_cndmask_b32_e64 v19, v10, v19, s1
	v_cmp_le_u32_e64 s1, s2, v9
	v_lshlrev_b32_e32 v10, 2, v14
	s_delay_alu instid0(VALU_DEP_3) | instskip(NEXT) | instid1(VALU_DEP_3)
	v_lshlrev_b32_e32 v13, 2, v19
	v_cndmask_b32_e64 v9, v9, v17, s1
	v_cmp_le_u32_e64 s1, s2, v2
	s_delay_alu instid0(VALU_DEP_2) | instskip(NEXT) | instid1(VALU_DEP_2)
	v_lshlrev_b32_e32 v17, 1, v9
	v_cndmask_b32_e64 v2, v2, v21, s1
	v_lshlrev_b32_e32 v9, 2, v12
	v_lshlrev_b32_e32 v12, 2, v15
	s_delay_alu instid0(VALU_DEP_4) | instskip(NEXT) | instid1(VALU_DEP_4)
	v_and_b32_e32 v17, -4, v17
	v_lshlrev_b32_e32 v2, 1, v2
	s_delay_alu instid0(VALU_DEP_2) | instskip(NEXT) | instid1(VALU_DEP_2)
	v_add_nc_u32_e32 v14, v16, v17
	v_and_b32_e32 v2, -4, v2
	v_add_nc_u32_e32 v15, v18, v17
	s_delay_alu instid0(VALU_DEP_2)
	v_add_nc_u32_e32 v16, v16, v2
	v_add_nc_u32_e32 v17, v18, v2
	s_waitcnt vmcnt(1)
	v_lshrrev_b32_e32 v18, 16, v3
	s_waitcnt vmcnt(0)
	v_lshrrev_b32_e32 v19, 16, v4
	s_branch .LBB79_10
.LBB79_9:                               ;   in Loop: Header=BB79_10 Depth=1
	s_or_b32 exec_lo, exec_lo, s2
	v_ashrrev_i32_e32 v1, 31, v0
	v_lshrrev_b32_e32 v20, 16, v20
	s_add_i32 s4, s4, 1
	v_add_nc_u32_e32 v7, 0x80, v7
	v_cmp_ge_i32_e64 s1, s4, v6
	v_lshlrev_b64 v[1:2], 1, v[0:1]
	v_and_or_b32 v20, 0xffff0000, v21, v20
	v_add_nc_u32_e32 v0, 64, v0
	s_delay_alu instid0(VALU_DEP_4) | instskip(NEXT) | instid1(VALU_DEP_3)
	s_or_b32 s3, s1, s3
	v_add_co_u32 v1, s2, s12, v1
	s_delay_alu instid0(VALU_DEP_1)
	v_add_co_ci_u32_e64 v2, s2, s13, v2, s2
	global_store_b32 v[1:2], v20, off
	s_and_not1_b32 exec_lo, exec_lo, s3
	s_cbranch_execz .LBB79_20
.LBB79_10:                              ; =>This Inner Loop Header: Depth=1
	ds_load_b32 v1, v7
	s_waitcnt lgkmcnt(0)
	v_and_b32_e32 v20, 0xffff0000, v1
	v_lshlrev_b32_e32 v2, 16, v1
	s_delay_alu instid0(VALU_DEP_1) | instskip(NEXT) | instid1(VALU_DEP_1)
	v_mul_f32_e32 v1, v2, v2
	v_fmac_f32_e32 v1, v20, v20
	ds_bpermute_b32 v21, v8, v1
	s_waitcnt lgkmcnt(0)
	v_add_f32_e32 v1, v1, v21
	ds_bpermute_b32 v21, v9, v1
	s_waitcnt lgkmcnt(0)
	v_add_f32_e32 v1, v1, v21
	;; [unrolled: 3-line block ×5, first 2 shown]
	s_delay_alu instid0(VALU_DEP_1) | instskip(NEXT) | instid1(VALU_DEP_1)
	v_fma_f32 v1, 0x3c800000, v1, s19
	v_mul_f32_e32 v21, 0x4b800000, v1
	v_cmp_gt_f32_e64 s1, 0x800000, v1
	s_delay_alu instid0(VALU_DEP_1) | instskip(SKIP_1) | instid1(VALU_DEP_2)
	v_cndmask_b32_e64 v1, v1, v21, s1
	v_add_nc_u32_e32 v21, s4, v5
	v_rsq_f32_e32 v1, v1
	s_delay_alu instid0(VALU_DEP_1) | instskip(NEXT) | instid1(VALU_DEP_1)
	v_cmp_gt_i32_e64 s2, s16, v21
	v_cndmask_b32_e64 v21, v4, v3, s2
	v_cndmask_b32_e64 v23, v19, v18, s2
	s_waitcnt_depctr 0xfff
	v_mul_f32_e32 v22, 0x45800000, v1
	v_lshlrev_b32_e32 v21, 16, v21
	s_delay_alu instid0(VALU_DEP_2) | instskip(NEXT) | instid1(VALU_DEP_1)
	v_cndmask_b32_e64 v1, v1, v22, s1
	v_dual_mul_f32 v21, v1, v21 :: v_dual_lshlrev_b32 v22, 16, v23
	s_delay_alu instid0(VALU_DEP_1) | instskip(NEXT) | instid1(VALU_DEP_1)
	v_mul_f32_e32 v22, v1, v22
	v_dual_mul_f32 v1, v21, v2 :: v_dual_mul_f32 v2, v22, v20
	s_and_saveexec_b32 s1, vcc_lo
	s_cbranch_execz .LBB79_12
; %bb.11:                               ;   in Loop: Header=BB79_10 Depth=1
	ds_bpermute_b32 v20, v13, v1
	ds_bpermute_b32 v21, v13, v2
	; wave barrier
	ds_load_b32 v22, v15
	ds_load_b32 v23, v17
	;; [unrolled: 1-line block ×4, first 2 shown]
	; wave barrier
	s_waitcnt lgkmcnt(5)
	v_cndmask_b32_e64 v20, v20, -v20, s0
	s_waitcnt lgkmcnt(4)
	v_cndmask_b32_e64 v21, v21, -v21, s0
	s_waitcnt lgkmcnt(2)
	s_delay_alu instid0(VALU_DEP_1) | instskip(SKIP_1) | instid1(VALU_DEP_1)
	v_dual_mul_f32 v20, v20, v22 :: v_dual_mul_f32 v21, v21, v23
	s_waitcnt lgkmcnt(0)
	v_dual_fmac_f32 v20, v1, v24 :: v_dual_fmac_f32 v21, v2, v25
	s_delay_alu instid0(VALU_DEP_1)
	v_dual_mov_b32 v1, v20 :: v_dual_mov_b32 v2, v21
.LBB79_12:                              ;   in Loop: Header=BB79_10 Depth=1
	s_or_b32 exec_lo, exec_lo, s1
	s_delay_alu instid0(VALU_DEP_1) | instskip(NEXT) | instid1(VALU_DEP_1)
	v_and_b32_e32 v20, 0x7f800000, v1
	v_cmp_ne_u32_e64 s1, 0x7f800000, v20
                                        ; implicit-def: $vgpr20
	s_delay_alu instid0(VALU_DEP_1) | instskip(NEXT) | instid1(SALU_CYCLE_1)
	s_and_saveexec_b32 s2, s1
	s_xor_b32 s1, exec_lo, s2
; %bb.13:                               ;   in Loop: Header=BB79_10 Depth=1
	v_bfe_u32 v20, v1, 16, 1
	s_delay_alu instid0(VALU_DEP_1)
	v_add3_u32 v20, v1, v20, 0x7fff
; %bb.14:                               ;   in Loop: Header=BB79_10 Depth=1
	s_and_not1_saveexec_b32 s2, s1
; %bb.15:                               ;   in Loop: Header=BB79_10 Depth=1
	v_and_b32_e32 v20, 0xffff, v1
	v_or_b32_e32 v21, 0x10000, v1
	s_delay_alu instid0(VALU_DEP_2) | instskip(NEXT) | instid1(VALU_DEP_1)
	v_cmp_eq_u32_e64 s1, 0, v20
	v_cndmask_b32_e64 v20, v21, v1, s1
; %bb.16:                               ;   in Loop: Header=BB79_10 Depth=1
	s_or_b32 exec_lo, exec_lo, s2
	v_and_b32_e32 v1, 0x7f800000, v2
                                        ; implicit-def: $vgpr21
	s_delay_alu instid0(VALU_DEP_1) | instskip(NEXT) | instid1(VALU_DEP_1)
	v_cmp_ne_u32_e64 s1, 0x7f800000, v1
	s_and_saveexec_b32 s2, s1
	s_delay_alu instid0(SALU_CYCLE_1)
	s_xor_b32 s1, exec_lo, s2
; %bb.17:                               ;   in Loop: Header=BB79_10 Depth=1
	v_bfe_u32 v1, v2, 16, 1
	s_delay_alu instid0(VALU_DEP_1)
	v_add3_u32 v21, v2, v1, 0x7fff
                                        ; implicit-def: $vgpr1_vgpr2
; %bb.18:                               ;   in Loop: Header=BB79_10 Depth=1
	s_and_not1_saveexec_b32 s2, s1
	s_cbranch_execz .LBB79_9
; %bb.19:                               ;   in Loop: Header=BB79_10 Depth=1
	v_and_b32_e32 v1, 0xffff, v2
	v_or_b32_e32 v21, 0x10000, v2
	s_delay_alu instid0(VALU_DEP_2) | instskip(NEXT) | instid1(VALU_DEP_1)
	v_cmp_eq_u32_e64 s1, 0, v1
	v_cndmask_b32_e64 v21, v21, v2, s1
	s_branch .LBB79_9
.LBB79_20:
	s_nop 0
	s_sendmsg sendmsg(MSG_DEALLOC_VGPRS)
	s_endpgm
	.section	.rodata,"a",@progbits
	.p2align	6, 0x0
	.amdhsa_kernel _ZN12tensorrt_llm7kernels32fusedQKNormRopeKernelNTokenHeadsIN3c108BFloat16EfLi64ELb0ELi2EEEvPviiifPKvS6_S6_PKlii
		.amdhsa_group_segment_fixed_size 0
		.amdhsa_private_segment_fixed_size 0
		.amdhsa_kernarg_size 320
		.amdhsa_user_sgpr_count 15
		.amdhsa_user_sgpr_dispatch_ptr 0
		.amdhsa_user_sgpr_queue_ptr 0
		.amdhsa_user_sgpr_kernarg_segment_ptr 1
		.amdhsa_user_sgpr_dispatch_id 0
		.amdhsa_user_sgpr_private_segment_size 0
		.amdhsa_wavefront_size32 1
		.amdhsa_uses_dynamic_stack 0
		.amdhsa_enable_private_segment 0
		.amdhsa_system_sgpr_workgroup_id_x 1
		.amdhsa_system_sgpr_workgroup_id_y 0
		.amdhsa_system_sgpr_workgroup_id_z 0
		.amdhsa_system_sgpr_workgroup_info 0
		.amdhsa_system_vgpr_workitem_id 0
		.amdhsa_next_free_vgpr 26
		.amdhsa_next_free_sgpr 21
		.amdhsa_reserve_vcc 1
		.amdhsa_float_round_mode_32 0
		.amdhsa_float_round_mode_16_64 0
		.amdhsa_float_denorm_mode_32 3
		.amdhsa_float_denorm_mode_16_64 3
		.amdhsa_dx10_clamp 1
		.amdhsa_ieee_mode 1
		.amdhsa_fp16_overflow 0
		.amdhsa_workgroup_processor_mode 1
		.amdhsa_memory_ordered 1
		.amdhsa_forward_progress 0
		.amdhsa_shared_vgpr_count 0
		.amdhsa_exception_fp_ieee_invalid_op 0
		.amdhsa_exception_fp_denorm_src 0
		.amdhsa_exception_fp_ieee_div_zero 0
		.amdhsa_exception_fp_ieee_overflow 0
		.amdhsa_exception_fp_ieee_underflow 0
		.amdhsa_exception_fp_ieee_inexact 0
		.amdhsa_exception_int_div_zero 0
	.end_amdhsa_kernel
	.section	.text._ZN12tensorrt_llm7kernels32fusedQKNormRopeKernelNTokenHeadsIN3c108BFloat16EfLi64ELb0ELi2EEEvPviiifPKvS6_S6_PKlii,"axG",@progbits,_ZN12tensorrt_llm7kernels32fusedQKNormRopeKernelNTokenHeadsIN3c108BFloat16EfLi64ELb0ELi2EEEvPviiifPKvS6_S6_PKlii,comdat
.Lfunc_end79:
	.size	_ZN12tensorrt_llm7kernels32fusedQKNormRopeKernelNTokenHeadsIN3c108BFloat16EfLi64ELb0ELi2EEEvPviiifPKvS6_S6_PKlii, .Lfunc_end79-_ZN12tensorrt_llm7kernels32fusedQKNormRopeKernelNTokenHeadsIN3c108BFloat16EfLi64ELb0ELi2EEEvPviiifPKvS6_S6_PKlii
                                        ; -- End function
	.section	.AMDGPU.csdata,"",@progbits
; Kernel info:
; codeLenInByte = 2116
; NumSgprs: 23
; NumVgprs: 26
; ScratchSize: 0
; MemoryBound: 0
; FloatMode: 240
; IeeeMode: 1
; LDSByteSize: 0 bytes/workgroup (compile time only)
; SGPRBlocks: 2
; VGPRBlocks: 3
; NumSGPRsForWavesPerEU: 23
; NumVGPRsForWavesPerEU: 26
; Occupancy: 16
; WaveLimiterHint : 0
; COMPUTE_PGM_RSRC2:SCRATCH_EN: 0
; COMPUTE_PGM_RSRC2:USER_SGPR: 15
; COMPUTE_PGM_RSRC2:TRAP_HANDLER: 0
; COMPUTE_PGM_RSRC2:TGID_X_EN: 1
; COMPUTE_PGM_RSRC2:TGID_Y_EN: 0
; COMPUTE_PGM_RSRC2:TGID_Z_EN: 0
; COMPUTE_PGM_RSRC2:TIDIG_COMP_CNT: 0
	.section	.text._ZN12tensorrt_llm7kernels32fusedQKNormRopeKernelNTokenHeadsIN3c108BFloat16EfLi128ELb1ELi2EEEvPviiifPKvS6_S6_PKlii,"axG",@progbits,_ZN12tensorrt_llm7kernels32fusedQKNormRopeKernelNTokenHeadsIN3c108BFloat16EfLi128ELb1ELi2EEEvPviiifPKvS6_S6_PKlii,comdat
	.protected	_ZN12tensorrt_llm7kernels32fusedQKNormRopeKernelNTokenHeadsIN3c108BFloat16EfLi128ELb1ELi2EEEvPviiifPKvS6_S6_PKlii ; -- Begin function _ZN12tensorrt_llm7kernels32fusedQKNormRopeKernelNTokenHeadsIN3c108BFloat16EfLi128ELb1ELi2EEEvPviiifPKvS6_S6_PKlii
	.globl	_ZN12tensorrt_llm7kernels32fusedQKNormRopeKernelNTokenHeadsIN3c108BFloat16EfLi128ELb1ELi2EEEvPviiifPKvS6_S6_PKlii
	.p2align	8
	.type	_ZN12tensorrt_llm7kernels32fusedQKNormRopeKernelNTokenHeadsIN3c108BFloat16EfLi128ELb1ELi2EEEvPviiifPKvS6_S6_PKlii,@function
_ZN12tensorrt_llm7kernels32fusedQKNormRopeKernelNTokenHeadsIN3c108BFloat16EfLi128ELb1ELi2EEEvPviiifPKvS6_S6_PKlii: ; @_ZN12tensorrt_llm7kernels32fusedQKNormRopeKernelNTokenHeadsIN3c108BFloat16EfLi128ELb1ELi2EEEvPviiifPKvS6_S6_PKlii
; %bb.0:
	s_clause 0x1
	s_load_b128 s[16:19], s[0:1], 0x8
	s_load_b64 s[2:3], s[0:1], 0x38
	v_lshrrev_b32_e32 v2, 5, v0
	s_waitcnt lgkmcnt(0)
	s_add_i32 s4, s17, s16
	s_delay_alu instid0(SALU_CYCLE_1) | instskip(NEXT) | instid1(SALU_CYCLE_1)
	s_add_i32 s5, s4, 1
	s_lshr_b32 s6, s5, 31
	s_delay_alu instid0(SALU_CYCLE_1) | instskip(NEXT) | instid1(SALU_CYCLE_1)
	s_add_i32 s5, s5, s6
	s_ashr_i32 s14, s5, 1
	s_load_b32 s5, s[0:1], 0x4c
	s_abs_i32 s6, s14
	s_delay_alu instid0(SALU_CYCLE_1) | instskip(SKIP_1) | instid1(VALU_DEP_1)
	v_cvt_f32_u32_e32 v1, s6
	s_sub_i32 s7, 0, s6
	v_rcp_iflag_f32_e32 v1, v1
	s_waitcnt_depctr 0xfff
	v_mul_f32_e32 v1, 0x4f7ffffe, v1
	s_waitcnt lgkmcnt(0)
	s_bfe_u32 s5, s5, 0xb0005
	s_delay_alu instid0(SALU_CYCLE_1) | instskip(NEXT) | instid1(VALU_DEP_2)
	v_mad_u64_u32 v[3:4], null, s15, s5, v[2:3]
	v_cvt_u32_f32_e32 v1, v1
	s_delay_alu instid0(VALU_DEP_1) | instskip(NEXT) | instid1(VALU_DEP_1)
	v_mul_lo_u32 v5, s7, v1
	v_mul_hi_u32 v4, v1, v5
	s_delay_alu instid0(VALU_DEP_4) | instskip(NEXT) | instid1(VALU_DEP_1)
	v_sub_nc_u32_e32 v5, 0, v3
	v_max_i32_e32 v5, v3, v5
	s_delay_alu instid0(VALU_DEP_3) | instskip(NEXT) | instid1(VALU_DEP_1)
	v_add_nc_u32_e32 v1, v1, v4
	v_mul_hi_u32 v1, v5, v1
	s_delay_alu instid0(VALU_DEP_1) | instskip(NEXT) | instid1(VALU_DEP_1)
	v_mul_lo_u32 v4, v1, s6
	v_sub_nc_u32_e32 v4, v5, v4
	v_add_nc_u32_e32 v5, 1, v1
	s_delay_alu instid0(VALU_DEP_2) | instskip(SKIP_1) | instid1(VALU_DEP_2)
	v_subrev_nc_u32_e32 v6, s6, v4
	v_cmp_le_u32_e32 vcc_lo, s6, v4
	v_dual_cndmask_b32 v4, v4, v6 :: v_dual_cndmask_b32 v1, v1, v5
	v_xor_b32_e32 v5, s14, v3
	s_delay_alu instid0(VALU_DEP_2) | instskip(NEXT) | instid1(VALU_DEP_3)
	v_cmp_le_u32_e32 vcc_lo, s6, v4
	v_add_nc_u32_e32 v6, 1, v1
	s_delay_alu instid0(VALU_DEP_3) | instskip(NEXT) | instid1(VALU_DEP_2)
	v_ashrrev_i32_e32 v5, 31, v5
	v_cndmask_b32_e32 v1, v1, v6, vcc_lo
	s_delay_alu instid0(VALU_DEP_1) | instskip(NEXT) | instid1(VALU_DEP_1)
	v_xor_b32_e32 v1, v1, v5
	v_sub_nc_u32_e32 v1, v1, v5
	s_delay_alu instid0(VALU_DEP_1)
	v_cmp_gt_i32_e32 vcc_lo, s2, v1
	s_and_saveexec_b32 s2, vcc_lo
	s_cbranch_execz .LBB80_28
; %bb.1:
	v_mul_lo_u32 v4, v1, s14
	s_load_b64 s[12:13], s[0:1], 0x0
	v_and_b32_e32 v0, 31, v0
	v_lshlrev_b32_e32 v13, 9, v2
	v_lshlrev_b32_e32 v8, 8, v3
	s_lshl_b32 s20, s3, 2
	s_delay_alu instid0(VALU_DEP_3) | instskip(SKIP_2) | instid1(VALU_DEP_1)
	v_lshlrev_b32_e32 v9, 3, v0
	v_sub_nc_u32_e32 v4, v3, v4
	s_mul_i32 s15, s20, s5
	v_lshlrev_b32_e32 v10, 1, v4
	s_delay_alu instid0(VALU_DEP_1) | instskip(SKIP_1) | instid1(VALU_DEP_2)
	v_add_nc_u32_e32 v4, 2, v10
	v_sub_nc_u32_e32 v5, s4, v10
	v_cmp_lt_i32_e32 vcc_lo, s4, v4
	s_delay_alu instid0(VALU_DEP_2) | instskip(NEXT) | instid1(VALU_DEP_1)
	v_cndmask_b32_e32 v11, 2, v5, vcc_lo
	v_cmp_lt_i32_e32 vcc_lo, 0, v11
	s_and_saveexec_b32 s4, vcc_lo
	s_cbranch_execz .LBB80_4
; %bb.2:
	s_add_i32 s2, s18, s17
	s_lshl_b32 s5, s14, 1
	s_add_i32 s2, s2, s16
	s_mov_b32 s6, 0
	s_sub_i32 s2, s2, s5
	s_mov_b32 s5, 0
	v_mul_lo_u32 v3, s2, v1
	s_add_i32 s2, s15, 0
	s_delay_alu instid0(SALU_CYCLE_1) | instskip(NEXT) | instid1(VALU_DEP_2)
	v_add3_u32 v5, s2, v13, v9
	v_lshl_add_u32 v3, v3, 7, v8
	s_delay_alu instid0(VALU_DEP_1)
	v_lshl_or_b32 v3, v0, 2, v3
	.p2align	6
.LBB80_3:                               ; =>This Inner Loop Header: Depth=1
	s_delay_alu instid0(VALU_DEP_1) | instskip(SKIP_1) | instid1(VALU_DEP_1)
	v_ashrrev_i32_e32 v4, 31, v3
	s_add_i32 s6, s6, 1
	v_lshlrev_b64 v[6:7], 1, v[3:4]
	v_add_nc_u32_e32 v3, 0x80, v3
	s_waitcnt lgkmcnt(0)
	s_delay_alu instid0(VALU_DEP_2) | instskip(NEXT) | instid1(VALU_DEP_1)
	v_add_co_u32 v6, s2, s12, v6
	v_add_co_ci_u32_e64 v7, s2, s13, v7, s2
	v_cmp_ge_i32_e64 s2, s6, v11
	global_load_b64 v[6:7], v[6:7], off
	s_or_b32 s5, s2, s5
	s_waitcnt vmcnt(0)
	ds_store_b64 v5, v[6:7]
	v_add_nc_u32_e32 v5, 0x100, v5
	s_and_not1_b32 exec_lo, exec_lo, s5
	s_cbranch_execnz .LBB80_3
.LBB80_4:
	s_or_b32 exec_lo, exec_lo, s4
	s_load_b256 s[4:11], s[0:1], 0x18
	v_mul_lo_u32 v2, v2, s3
	s_add_i32 s0, s20, 15
	s_mov_b32 s20, exec_lo
	s_ashr_i32 s1, s0, 31
	s_delay_alu instid0(SALU_CYCLE_1) | instskip(NEXT) | instid1(SALU_CYCLE_1)
	s_lshr_b32 s1, s1, 28
	s_add_i32 s0, s0, s1
	s_delay_alu instid0(VALU_DEP_1) | instskip(SKIP_1) | instid1(SALU_CYCLE_1)
	v_lshlrev_b32_e32 v12, 2, v2
	s_ashr_i32 s2, s0, 4
	v_cmpx_gt_i32_e64 s2, v0
	s_cbranch_execz .LBB80_7
; %bb.5:
	v_ashrrev_i32_e32 v2, 31, v1
	s_delay_alu instid0(VALU_DEP_1) | instskip(SKIP_1) | instid1(VALU_DEP_1)
	v_lshlrev_b64 v[2:3], 3, v[1:2]
	s_waitcnt lgkmcnt(0)
	v_add_co_u32 v2, s0, s10, v2
	s_delay_alu instid0(VALU_DEP_1)
	v_add_co_ci_u32_e64 v3, s0, s11, v3, s0
	s_ashr_i32 s0, s3, 31
	global_load_b64 v[2:3], v[2:3], off
	s_waitcnt vmcnt(0)
	v_mul_lo_u32 v5, v3, s3
	v_mul_lo_u32 v6, v2, s0
	v_mad_u64_u32 v[3:4], null, v2, s3, 0
	s_delay_alu instid0(VALU_DEP_1) | instskip(SKIP_1) | instid1(VALU_DEP_2)
	v_add3_u32 v4, v4, v6, v5
	v_mov_b32_e32 v5, v0
	v_lshlrev_b64 v[2:3], 2, v[3:4]
	v_lshlrev_b32_e32 v4, 4, v0
	s_delay_alu instid0(VALU_DEP_1) | instskip(NEXT) | instid1(VALU_DEP_1)
	v_add_co_u32 v2, s0, v2, v4
	v_add_co_ci_u32_e64 v3, s0, 0, v3, s0
	v_add3_u32 v4, v12, v4, 0
	s_delay_alu instid0(VALU_DEP_3) | instskip(NEXT) | instid1(VALU_DEP_1)
	v_add_co_u32 v2, s0, s8, v2
	v_add_co_ci_u32_e64 v3, s0, s9, v3, s0
	s_mov_b32 s8, 0
	.p2align	6
.LBB80_6:                               ; =>This Inner Loop Header: Depth=1
	global_load_b128 v[14:17], v[2:3], off
	v_add_nc_u32_e32 v5, 32, v5
	v_add_co_u32 v2, s0, 0x200, v2
	s_delay_alu instid0(VALU_DEP_1) | instskip(NEXT) | instid1(VALU_DEP_3)
	v_add_co_ci_u32_e64 v3, s0, 0, v3, s0
	v_cmp_le_i32_e64 s1, s2, v5
	s_delay_alu instid0(VALU_DEP_1)
	s_or_b32 s8, s1, s8
	s_waitcnt vmcnt(0)
	ds_store_b128 v4, v[14:17]
	v_add_nc_u32_e32 v4, 0x200, v4
	s_and_not1_b32 exec_lo, exec_lo, s8
	s_cbranch_execnz .LBB80_6
.LBB80_7:
	s_or_b32 exec_lo, exec_lo, s20
	s_delay_alu instid0(SALU_CYCLE_1)
	s_and_b32 exec_lo, exec_lo, vcc_lo
	s_cbranch_execz .LBB80_28
; %bb.8:
	s_waitcnt lgkmcnt(0)
	s_clause 0x1
	global_load_b64 v[4:5], v9, s[4:5]
	global_load_b64 v[6:7], v9, s[6:7]
	v_mbcnt_lo_u32_b32 v2, -1, 0
	s_lshr_b32 s0, s3, 31
	v_add3_u32 v12, 0, v12, v9
	s_add_i32 s0, s3, s0
	v_add_nc_u32_e32 v3, s15, v13
	v_xor_b32_e32 v14, 16, v2
	s_lshl_b32 s0, s0, 1
	v_xor_b32_e32 v15, 8, v2
	s_and_b32 s0, s0, -4
	v_xor_b32_e32 v16, 4, v2
	v_add_nc_u32_e32 v13, s0, v12
	v_cmp_gt_i32_e64 s0, 32, v14
	v_xor_b32_e32 v17, 2, v2
	s_add_i32 s2, s18, s17
	s_lshl_b32 s4, s14, 1
	s_add_i32 s2, s2, s16
	v_cndmask_b32_e64 v14, v2, v14, s0
	v_cmp_gt_i32_e64 s0, 32, v15
	s_sub_i32 s2, s2, s4
	v_xor_b32_e32 v18, 1, v2
	v_mul_lo_u32 v1, s2, v1
	s_ashr_i32 s1, s3, 31
	v_cndmask_b32_e64 v15, v2, v15, s0
	v_cmp_gt_i32_e64 s0, 32, v16
	s_lshr_b32 s1, s1, 30
	v_lshlrev_b32_e32 v14, 2, v14
	s_add_i32 s1, s3, s1
	v_lshlrev_b32_e32 v15, 2, v15
	v_cndmask_b32_e64 v16, v2, v16, s0
	v_cmp_gt_i32_e64 s0, 32, v17
	v_lshl_add_u32 v1, v1, 7, v8
	s_ashr_i32 s1, s1, 2
	v_add3_u32 v23, v3, v9, 0
	v_cmp_gt_i32_e32 vcc_lo, s1, v0
	v_cndmask_b32_e64 v17, v2, v17, s0
	v_cmp_gt_i32_e64 s0, 32, v18
	v_lshlrev_b32_e32 v16, 2, v16
	v_lshl_or_b32 v8, v0, 2, v1
	s_mov_b32 s2, 0
	v_lshlrev_b32_e32 v17, 2, v17
	v_cndmask_b32_e64 v2, v2, v18, s0
	s_mov_b32 s3, 0
	s_delay_alu instid0(VALU_DEP_1)
	v_lshlrev_b32_e32 v18, 2, v2
	s_waitcnt vmcnt(1)
	v_lshrrev_b32_e32 v19, 16, v4
	v_lshrrev_b32_e32 v20, 16, v5
	s_waitcnt vmcnt(0)
	v_lshrrev_b32_e32 v21, 16, v6
	v_lshrrev_b32_e32 v22, 16, v7
	s_branch .LBB80_10
.LBB80_9:                               ;   in Loop: Header=BB80_10 Depth=1
	s_or_b32 exec_lo, exec_lo, s1
	v_ashrrev_i32_e32 v9, 31, v8
	v_lshrrev_b32_e32 v2, 16, v26
	v_and_b32_e32 v3, 0xffff0000, v27
	s_add_i32 s3, s3, 1
	v_add_nc_u32_e32 v23, 0x100, v23
	v_lshlrev_b64 v[0:1], 1, v[8:9]
	v_lshrrev_b32_e32 v9, 16, v24
	v_cmp_ge_i32_e64 s0, s3, v11
	v_or_b32_e32 v2, v3, v2
	v_add_nc_u32_e32 v8, 0x80, v8
	v_add_co_u32 v26, s1, s12, v0
	s_delay_alu instid0(VALU_DEP_1)
	v_add_co_ci_u32_e64 v27, s1, s13, v1, s1
	v_and_or_b32 v1, 0xffff0000, v25, v9
	s_or_b32 s2, s0, s2
	global_store_b64 v[26:27], v[1:2], off
	s_and_not1_b32 exec_lo, exec_lo, s2
	s_cbranch_execz .LBB80_28
.LBB80_10:                              ; =>This Inner Loop Header: Depth=1
	ds_load_b64 v[0:1], v23
	s_waitcnt lgkmcnt(0)
	v_lshlrev_b32_e32 v3, 16, v0
	v_and_b32_e32 v2, 0xffff0000, v0
	v_alignbit_b32 v0, v1, v0, 16
	v_and_b32_e32 v25, 0xffff0000, v1
	s_delay_alu instid0(VALU_DEP_2) | instskip(NEXT) | instid1(VALU_DEP_1)
	v_dual_mul_f32 v9, v2, v2 :: v_dual_and_b32 v24, 0xffff0000, v0
	v_fmac_f32_e32 v9, v3, v3
	s_delay_alu instid0(VALU_DEP_1) | instskip(NEXT) | instid1(VALU_DEP_1)
	v_fmac_f32_e32 v9, v24, v24
	v_fmac_f32_e32 v9, v25, v25
	ds_bpermute_b32 v0, v14, v9
	s_waitcnt lgkmcnt(0)
	v_add_f32_e32 v0, v9, v0
	ds_bpermute_b32 v1, v15, v0
	s_waitcnt lgkmcnt(0)
	v_add_f32_e32 v0, v0, v1
	;; [unrolled: 3-line block ×5, first 2 shown]
	s_delay_alu instid0(VALU_DEP_1) | instskip(NEXT) | instid1(VALU_DEP_1)
	v_fma_f32 v0, 0x3c000000, v0, s19
	v_mul_f32_e32 v1, 0x4b800000, v0
	v_cmp_gt_f32_e64 s0, 0x800000, v0
	s_delay_alu instid0(VALU_DEP_1) | instskip(SKIP_1) | instid1(VALU_DEP_2)
	v_cndmask_b32_e64 v0, v0, v1, s0
	v_add_nc_u32_e32 v1, s3, v10
	v_rsq_f32_e32 v0, v0
	s_delay_alu instid0(VALU_DEP_1) | instskip(NEXT) | instid1(VALU_DEP_1)
	v_cmp_gt_i32_e64 s1, s16, v1
	v_cndmask_b32_e64 v26, v21, v19, s1
	v_cndmask_b32_e64 v27, v7, v5, s1
	;; [unrolled: 1-line block ×4, first 2 shown]
	s_waitcnt_depctr 0xfff
	v_mul_f32_e32 v9, 0x45800000, v0
	s_delay_alu instid0(VALU_DEP_1) | instskip(SKIP_3) | instid1(VALU_DEP_3)
	v_cndmask_b32_e64 v0, v0, v9, s0
	v_lshlrev_b32_e32 v9, 16, v26
	v_lshlrev_b32_e32 v26, 16, v27
	;; [unrolled: 1-line block ×3, first 2 shown]
	v_mul_f32_e32 v9, v0, v9
	s_delay_alu instid0(VALU_DEP_3) | instskip(NEXT) | instid1(VALU_DEP_3)
	v_dual_mul_f32 v26, v0, v26 :: v_dual_lshlrev_b32 v1, 16, v1
	v_mul_f32_e32 v27, v0, v27
	s_delay_alu instid0(VALU_DEP_2) | instskip(NEXT) | instid1(VALU_DEP_1)
	v_mul_f32_e32 v1, v0, v1
	v_mul_f32_e32 v0, v1, v3
	s_delay_alu instid0(VALU_DEP_4) | instskip(NEXT) | instid1(VALU_DEP_4)
	v_dual_mul_f32 v1, v9, v2 :: v_dual_mul_f32 v2, v26, v24
	v_mul_f32_e32 v3, v27, v25
	s_and_saveexec_b32 s0, vcc_lo
	s_cbranch_execz .LBB80_12
; %bb.11:                               ;   in Loop: Header=BB80_10 Depth=1
	ds_load_2addr_b32 v[25:26], v13 offset1:1
	ds_load_2addr_b32 v[28:29], v12 offset1:1
	s_waitcnt lgkmcnt(1)
	v_dual_mul_f32 v9, v1, v25 :: v_dual_mul_f32 v30, v3, v26
	v_mul_f32_e32 v25, v0, v25
	v_mul_f32_e32 v27, v2, v26
	s_waitcnt lgkmcnt(0)
	s_delay_alu instid0(VALU_DEP_3) | instskip(SKIP_3) | instid1(VALU_DEP_4)
	v_fma_f32 v24, v0, v28, -v9
	v_fma_f32 v26, v2, v29, -v30
	v_fmac_f32_e32 v25, v1, v28
	v_fmac_f32_e32 v27, v3, v29
	v_mov_b32_e32 v0, v24
	s_delay_alu instid0(VALU_DEP_3) | instskip(NEXT) | instid1(VALU_DEP_3)
	v_dual_mov_b32 v2, v26 :: v_dual_mov_b32 v1, v25
	v_mov_b32_e32 v3, v27
.LBB80_12:                              ;   in Loop: Header=BB80_10 Depth=1
	s_or_b32 exec_lo, exec_lo, s0
	s_delay_alu instid0(VALU_DEP_3) | instskip(NEXT) | instid1(VALU_DEP_1)
	v_and_b32_e32 v9, 0x7f800000, v0
                                        ; implicit-def: $vgpr24
	v_cmp_ne_u32_e64 s0, 0x7f800000, v9
	s_delay_alu instid0(VALU_DEP_1) | instskip(NEXT) | instid1(SALU_CYCLE_1)
	s_and_saveexec_b32 s1, s0
	s_xor_b32 s0, exec_lo, s1
; %bb.13:                               ;   in Loop: Header=BB80_10 Depth=1
	v_bfe_u32 v9, v0, 16, 1
	s_delay_alu instid0(VALU_DEP_1)
	v_add3_u32 v24, v0, v9, 0x7fff
; %bb.14:                               ;   in Loop: Header=BB80_10 Depth=1
	s_and_not1_saveexec_b32 s1, s0
; %bb.15:                               ;   in Loop: Header=BB80_10 Depth=1
	v_and_b32_e32 v9, 0xffff, v0
	v_or_b32_e32 v24, 0x10000, v0
	s_delay_alu instid0(VALU_DEP_2) | instskip(NEXT) | instid1(VALU_DEP_1)
	v_cmp_eq_u32_e64 s0, 0, v9
	v_cndmask_b32_e64 v24, v24, v0, s0
; %bb.16:                               ;   in Loop: Header=BB80_10 Depth=1
	s_or_b32 exec_lo, exec_lo, s1
	v_and_b32_e32 v0, 0x7f800000, v1
                                        ; implicit-def: $vgpr25
	s_delay_alu instid0(VALU_DEP_1) | instskip(NEXT) | instid1(VALU_DEP_1)
	v_cmp_ne_u32_e64 s0, 0x7f800000, v0
	s_and_saveexec_b32 s1, s0
	s_delay_alu instid0(SALU_CYCLE_1)
	s_xor_b32 s0, exec_lo, s1
; %bb.17:                               ;   in Loop: Header=BB80_10 Depth=1
	v_bfe_u32 v0, v1, 16, 1
	s_delay_alu instid0(VALU_DEP_1)
	v_add3_u32 v25, v1, v0, 0x7fff
; %bb.18:                               ;   in Loop: Header=BB80_10 Depth=1
	s_and_not1_saveexec_b32 s1, s0
; %bb.19:                               ;   in Loop: Header=BB80_10 Depth=1
	v_and_b32_e32 v0, 0xffff, v1
	v_or_b32_e32 v9, 0x10000, v1
	s_delay_alu instid0(VALU_DEP_2) | instskip(NEXT) | instid1(VALU_DEP_1)
	v_cmp_eq_u32_e64 s0, 0, v0
	v_cndmask_b32_e64 v25, v9, v1, s0
; %bb.20:                               ;   in Loop: Header=BB80_10 Depth=1
	s_or_b32 exec_lo, exec_lo, s1
	v_and_b32_e32 v0, 0x7f800000, v2
                                        ; implicit-def: $vgpr26
	s_delay_alu instid0(VALU_DEP_1) | instskip(NEXT) | instid1(VALU_DEP_1)
	v_cmp_ne_u32_e64 s0, 0x7f800000, v0
	s_and_saveexec_b32 s1, s0
	s_delay_alu instid0(SALU_CYCLE_1)
	s_xor_b32 s0, exec_lo, s1
; %bb.21:                               ;   in Loop: Header=BB80_10 Depth=1
	v_bfe_u32 v0, v2, 16, 1
	s_delay_alu instid0(VALU_DEP_1)
	v_add3_u32 v26, v2, v0, 0x7fff
; %bb.22:                               ;   in Loop: Header=BB80_10 Depth=1
	s_and_not1_saveexec_b32 s1, s0
; %bb.23:                               ;   in Loop: Header=BB80_10 Depth=1
	v_and_b32_e32 v0, 0xffff, v2
	v_or_b32_e32 v1, 0x10000, v2
	s_delay_alu instid0(VALU_DEP_2) | instskip(NEXT) | instid1(VALU_DEP_1)
	v_cmp_eq_u32_e64 s0, 0, v0
	v_cndmask_b32_e64 v26, v1, v2, s0
; %bb.24:                               ;   in Loop: Header=BB80_10 Depth=1
	s_or_b32 exec_lo, exec_lo, s1
	v_and_b32_e32 v0, 0x7f800000, v3
                                        ; implicit-def: $vgpr27
	s_delay_alu instid0(VALU_DEP_1) | instskip(NEXT) | instid1(VALU_DEP_1)
	v_cmp_ne_u32_e64 s0, 0x7f800000, v0
	s_and_saveexec_b32 s1, s0
	s_delay_alu instid0(SALU_CYCLE_1)
	s_xor_b32 s0, exec_lo, s1
; %bb.25:                               ;   in Loop: Header=BB80_10 Depth=1
	v_bfe_u32 v0, v3, 16, 1
	s_delay_alu instid0(VALU_DEP_1)
	v_add3_u32 v27, v3, v0, 0x7fff
                                        ; implicit-def: $vgpr0_vgpr1_vgpr2_vgpr3
; %bb.26:                               ;   in Loop: Header=BB80_10 Depth=1
	s_and_not1_saveexec_b32 s1, s0
	s_cbranch_execz .LBB80_9
; %bb.27:                               ;   in Loop: Header=BB80_10 Depth=1
	v_and_b32_e32 v0, 0xffff, v3
	v_or_b32_e32 v1, 0x10000, v3
	s_delay_alu instid0(VALU_DEP_2) | instskip(NEXT) | instid1(VALU_DEP_1)
	v_cmp_eq_u32_e64 s0, 0, v0
	v_cndmask_b32_e64 v27, v1, v3, s0
	s_branch .LBB80_9
.LBB80_28:
	s_nop 0
	s_sendmsg sendmsg(MSG_DEALLOC_VGPRS)
	s_endpgm
	.section	.rodata,"a",@progbits
	.p2align	6, 0x0
	.amdhsa_kernel _ZN12tensorrt_llm7kernels32fusedQKNormRopeKernelNTokenHeadsIN3c108BFloat16EfLi128ELb1ELi2EEEvPviiifPKvS6_S6_PKlii
		.amdhsa_group_segment_fixed_size 0
		.amdhsa_private_segment_fixed_size 0
		.amdhsa_kernarg_size 320
		.amdhsa_user_sgpr_count 15
		.amdhsa_user_sgpr_dispatch_ptr 0
		.amdhsa_user_sgpr_queue_ptr 0
		.amdhsa_user_sgpr_kernarg_segment_ptr 1
		.amdhsa_user_sgpr_dispatch_id 0
		.amdhsa_user_sgpr_private_segment_size 0
		.amdhsa_wavefront_size32 1
		.amdhsa_uses_dynamic_stack 0
		.amdhsa_enable_private_segment 0
		.amdhsa_system_sgpr_workgroup_id_x 1
		.amdhsa_system_sgpr_workgroup_id_y 0
		.amdhsa_system_sgpr_workgroup_id_z 0
		.amdhsa_system_sgpr_workgroup_info 0
		.amdhsa_system_vgpr_workitem_id 0
		.amdhsa_next_free_vgpr 31
		.amdhsa_next_free_sgpr 21
		.amdhsa_reserve_vcc 1
		.amdhsa_float_round_mode_32 0
		.amdhsa_float_round_mode_16_64 0
		.amdhsa_float_denorm_mode_32 3
		.amdhsa_float_denorm_mode_16_64 3
		.amdhsa_dx10_clamp 1
		.amdhsa_ieee_mode 1
		.amdhsa_fp16_overflow 0
		.amdhsa_workgroup_processor_mode 1
		.amdhsa_memory_ordered 1
		.amdhsa_forward_progress 0
		.amdhsa_shared_vgpr_count 0
		.amdhsa_exception_fp_ieee_invalid_op 0
		.amdhsa_exception_fp_denorm_src 0
		.amdhsa_exception_fp_ieee_div_zero 0
		.amdhsa_exception_fp_ieee_overflow 0
		.amdhsa_exception_fp_ieee_underflow 0
		.amdhsa_exception_fp_ieee_inexact 0
		.amdhsa_exception_int_div_zero 0
	.end_amdhsa_kernel
	.section	.text._ZN12tensorrt_llm7kernels32fusedQKNormRopeKernelNTokenHeadsIN3c108BFloat16EfLi128ELb1ELi2EEEvPviiifPKvS6_S6_PKlii,"axG",@progbits,_ZN12tensorrt_llm7kernels32fusedQKNormRopeKernelNTokenHeadsIN3c108BFloat16EfLi128ELb1ELi2EEEvPviiifPKvS6_S6_PKlii,comdat
.Lfunc_end80:
	.size	_ZN12tensorrt_llm7kernels32fusedQKNormRopeKernelNTokenHeadsIN3c108BFloat16EfLi128ELb1ELi2EEEvPviiifPKvS6_S6_PKlii, .Lfunc_end80-_ZN12tensorrt_llm7kernels32fusedQKNormRopeKernelNTokenHeadsIN3c108BFloat16EfLi128ELb1ELi2EEEvPviiifPKvS6_S6_PKlii
                                        ; -- End function
	.section	.AMDGPU.csdata,"",@progbits
; Kernel info:
; codeLenInByte = 2124
; NumSgprs: 23
; NumVgprs: 31
; ScratchSize: 0
; MemoryBound: 0
; FloatMode: 240
; IeeeMode: 1
; LDSByteSize: 0 bytes/workgroup (compile time only)
; SGPRBlocks: 2
; VGPRBlocks: 3
; NumSGPRsForWavesPerEU: 23
; NumVGPRsForWavesPerEU: 31
; Occupancy: 16
; WaveLimiterHint : 0
; COMPUTE_PGM_RSRC2:SCRATCH_EN: 0
; COMPUTE_PGM_RSRC2:USER_SGPR: 15
; COMPUTE_PGM_RSRC2:TRAP_HANDLER: 0
; COMPUTE_PGM_RSRC2:TGID_X_EN: 1
; COMPUTE_PGM_RSRC2:TGID_Y_EN: 0
; COMPUTE_PGM_RSRC2:TGID_Z_EN: 0
; COMPUTE_PGM_RSRC2:TIDIG_COMP_CNT: 0
	.section	.text._ZN12tensorrt_llm7kernels32fusedQKNormRopeKernelNTokenHeadsIN3c108BFloat16EfLi128ELb0ELi2EEEvPviiifPKvS6_S6_PKlii,"axG",@progbits,_ZN12tensorrt_llm7kernels32fusedQKNormRopeKernelNTokenHeadsIN3c108BFloat16EfLi128ELb0ELi2EEEvPviiifPKvS6_S6_PKlii,comdat
	.protected	_ZN12tensorrt_llm7kernels32fusedQKNormRopeKernelNTokenHeadsIN3c108BFloat16EfLi128ELb0ELi2EEEvPviiifPKvS6_S6_PKlii ; -- Begin function _ZN12tensorrt_llm7kernels32fusedQKNormRopeKernelNTokenHeadsIN3c108BFloat16EfLi128ELb0ELi2EEEvPviiifPKvS6_S6_PKlii
	.globl	_ZN12tensorrt_llm7kernels32fusedQKNormRopeKernelNTokenHeadsIN3c108BFloat16EfLi128ELb0ELi2EEEvPviiifPKvS6_S6_PKlii
	.p2align	8
	.type	_ZN12tensorrt_llm7kernels32fusedQKNormRopeKernelNTokenHeadsIN3c108BFloat16EfLi128ELb0ELi2EEEvPviiifPKvS6_S6_PKlii,@function
_ZN12tensorrt_llm7kernels32fusedQKNormRopeKernelNTokenHeadsIN3c108BFloat16EfLi128ELb0ELi2EEEvPviiifPKvS6_S6_PKlii: ; @_ZN12tensorrt_llm7kernels32fusedQKNormRopeKernelNTokenHeadsIN3c108BFloat16EfLi128ELb0ELi2EEEvPviiifPKvS6_S6_PKlii
; %bb.0:
	s_clause 0x1
	s_load_b128 s[16:19], s[0:1], 0x8
	s_load_b64 s[2:3], s[0:1], 0x38
	v_lshrrev_b32_e32 v2, 5, v0
	s_waitcnt lgkmcnt(0)
	s_add_i32 s4, s17, s16
	s_delay_alu instid0(SALU_CYCLE_1) | instskip(NEXT) | instid1(SALU_CYCLE_1)
	s_add_i32 s5, s4, 1
	s_lshr_b32 s6, s5, 31
	s_delay_alu instid0(SALU_CYCLE_1) | instskip(NEXT) | instid1(SALU_CYCLE_1)
	s_add_i32 s5, s5, s6
	s_ashr_i32 s14, s5, 1
	s_load_b32 s5, s[0:1], 0x4c
	s_abs_i32 s6, s14
	s_delay_alu instid0(SALU_CYCLE_1) | instskip(SKIP_1) | instid1(VALU_DEP_1)
	v_cvt_f32_u32_e32 v1, s6
	s_sub_i32 s7, 0, s6
	v_rcp_iflag_f32_e32 v1, v1
	s_waitcnt_depctr 0xfff
	v_mul_f32_e32 v1, 0x4f7ffffe, v1
	s_waitcnt lgkmcnt(0)
	s_bfe_u32 s5, s5, 0xb0005
	s_delay_alu instid0(SALU_CYCLE_1) | instskip(NEXT) | instid1(VALU_DEP_2)
	v_mad_u64_u32 v[3:4], null, s15, s5, v[2:3]
	v_cvt_u32_f32_e32 v1, v1
	s_delay_alu instid0(VALU_DEP_1) | instskip(NEXT) | instid1(VALU_DEP_1)
	v_mul_lo_u32 v5, s7, v1
	v_mul_hi_u32 v4, v1, v5
	s_delay_alu instid0(VALU_DEP_4) | instskip(NEXT) | instid1(VALU_DEP_1)
	v_sub_nc_u32_e32 v5, 0, v3
	v_max_i32_e32 v5, v3, v5
	s_delay_alu instid0(VALU_DEP_3) | instskip(NEXT) | instid1(VALU_DEP_1)
	v_add_nc_u32_e32 v1, v1, v4
	v_mul_hi_u32 v1, v5, v1
	s_delay_alu instid0(VALU_DEP_1) | instskip(NEXT) | instid1(VALU_DEP_1)
	v_mul_lo_u32 v4, v1, s6
	v_sub_nc_u32_e32 v4, v5, v4
	v_add_nc_u32_e32 v5, 1, v1
	s_delay_alu instid0(VALU_DEP_2) | instskip(SKIP_1) | instid1(VALU_DEP_2)
	v_subrev_nc_u32_e32 v6, s6, v4
	v_cmp_le_u32_e32 vcc_lo, s6, v4
	v_dual_cndmask_b32 v4, v4, v6 :: v_dual_cndmask_b32 v1, v1, v5
	v_xor_b32_e32 v5, s14, v3
	s_delay_alu instid0(VALU_DEP_2) | instskip(NEXT) | instid1(VALU_DEP_3)
	v_cmp_le_u32_e32 vcc_lo, s6, v4
	v_add_nc_u32_e32 v6, 1, v1
	s_delay_alu instid0(VALU_DEP_3) | instskip(NEXT) | instid1(VALU_DEP_2)
	v_ashrrev_i32_e32 v5, 31, v5
	v_cndmask_b32_e32 v1, v1, v6, vcc_lo
	s_delay_alu instid0(VALU_DEP_1) | instskip(NEXT) | instid1(VALU_DEP_1)
	v_xor_b32_e32 v1, v1, v5
	v_sub_nc_u32_e32 v1, v1, v5
	s_delay_alu instid0(VALU_DEP_1)
	v_cmp_gt_i32_e32 vcc_lo, s2, v1
	s_and_saveexec_b32 s2, vcc_lo
	s_cbranch_execz .LBB81_28
; %bb.1:
	v_mul_lo_u32 v4, v1, s14
	s_load_b64 s[12:13], s[0:1], 0x0
	v_and_b32_e32 v8, 31, v0
	v_lshlrev_b32_e32 v12, 9, v2
	v_lshlrev_b32_e32 v9, 8, v3
	s_lshl_b32 s20, s3, 2
	s_delay_alu instid0(VALU_DEP_3) | instskip(SKIP_2) | instid1(VALU_DEP_1)
	v_lshlrev_b32_e32 v0, 3, v8
	v_sub_nc_u32_e32 v4, v3, v4
	s_mul_i32 s15, s20, s5
	v_lshlrev_b32_e32 v10, 1, v4
	s_delay_alu instid0(VALU_DEP_1) | instskip(SKIP_1) | instid1(VALU_DEP_2)
	v_add_nc_u32_e32 v4, 2, v10
	v_sub_nc_u32_e32 v5, s4, v10
	v_cmp_lt_i32_e32 vcc_lo, s4, v4
	s_delay_alu instid0(VALU_DEP_2) | instskip(NEXT) | instid1(VALU_DEP_1)
	v_cndmask_b32_e32 v11, 2, v5, vcc_lo
	v_cmp_lt_i32_e32 vcc_lo, 0, v11
	s_and_saveexec_b32 s4, vcc_lo
	s_cbranch_execz .LBB81_4
; %bb.2:
	s_add_i32 s2, s18, s17
	s_lshl_b32 s5, s14, 1
	s_add_i32 s2, s2, s16
	s_mov_b32 s6, 0
	s_sub_i32 s2, s2, s5
	s_mov_b32 s5, 0
	v_mul_lo_u32 v3, s2, v1
	s_add_i32 s2, s15, 0
	s_delay_alu instid0(SALU_CYCLE_1) | instskip(NEXT) | instid1(VALU_DEP_2)
	v_add3_u32 v5, s2, v12, v0
	v_lshl_add_u32 v3, v3, 7, v9
	s_delay_alu instid0(VALU_DEP_1)
	v_lshl_or_b32 v3, v8, 2, v3
	.p2align	6
.LBB81_3:                               ; =>This Inner Loop Header: Depth=1
	s_delay_alu instid0(VALU_DEP_1) | instskip(SKIP_1) | instid1(VALU_DEP_1)
	v_ashrrev_i32_e32 v4, 31, v3
	s_add_i32 s6, s6, 1
	v_lshlrev_b64 v[6:7], 1, v[3:4]
	v_add_nc_u32_e32 v3, 0x80, v3
	s_waitcnt lgkmcnt(0)
	s_delay_alu instid0(VALU_DEP_2) | instskip(NEXT) | instid1(VALU_DEP_1)
	v_add_co_u32 v6, s2, s12, v6
	v_add_co_ci_u32_e64 v7, s2, s13, v7, s2
	v_cmp_ge_i32_e64 s2, s6, v11
	global_load_b64 v[6:7], v[6:7], off
	s_or_b32 s5, s2, s5
	s_waitcnt vmcnt(0)
	ds_store_b64 v5, v[6:7]
	v_add_nc_u32_e32 v5, 0x100, v5
	s_and_not1_b32 exec_lo, exec_lo, s5
	s_cbranch_execnz .LBB81_3
.LBB81_4:
	s_or_b32 exec_lo, exec_lo, s4
	s_load_b256 s[4:11], s[0:1], 0x18
	s_add_i32 s0, s20, 15
	v_mul_lo_u32 v13, v2, s3
	s_ashr_i32 s1, s0, 31
	s_mov_b32 s20, exec_lo
	s_lshr_b32 s1, s1, 28
	s_delay_alu instid0(SALU_CYCLE_1) | instskip(NEXT) | instid1(SALU_CYCLE_1)
	s_add_i32 s0, s0, s1
	s_ashr_i32 s2, s0, 4
	s_delay_alu instid0(SALU_CYCLE_1)
	v_cmpx_gt_i32_e64 s2, v8
	s_cbranch_execz .LBB81_7
; %bb.5:
	v_ashrrev_i32_e32 v2, 31, v1
	s_delay_alu instid0(VALU_DEP_1) | instskip(SKIP_1) | instid1(VALU_DEP_1)
	v_lshlrev_b64 v[2:3], 3, v[1:2]
	s_waitcnt lgkmcnt(0)
	v_add_co_u32 v2, s0, s10, v2
	s_delay_alu instid0(VALU_DEP_1)
	v_add_co_ci_u32_e64 v3, s0, s11, v3, s0
	s_ashr_i32 s0, s3, 31
	global_load_b64 v[2:3], v[2:3], off
	s_waitcnt vmcnt(0)
	v_mul_lo_u32 v5, v3, s3
	v_mul_lo_u32 v6, v2, s0
	v_mad_u64_u32 v[3:4], null, v2, s3, 0
	s_delay_alu instid0(VALU_DEP_1) | instskip(SKIP_1) | instid1(VALU_DEP_2)
	v_add3_u32 v4, v4, v6, v5
	v_lshlrev_b32_e32 v5, 2, v13
	v_lshlrev_b64 v[2:3], 2, v[3:4]
	v_lshlrev_b32_e32 v4, 4, v8
	s_delay_alu instid0(VALU_DEP_1) | instskip(NEXT) | instid1(VALU_DEP_1)
	v_add_co_u32 v2, s0, v2, v4
	v_add_co_ci_u32_e64 v3, s0, 0, v3, s0
	v_add3_u32 v4, v5, v4, 0
	v_mov_b32_e32 v5, v8
	s_delay_alu instid0(VALU_DEP_4) | instskip(NEXT) | instid1(VALU_DEP_1)
	v_add_co_u32 v2, s0, s8, v2
	v_add_co_ci_u32_e64 v3, s0, s9, v3, s0
	s_mov_b32 s8, 0
	.p2align	6
.LBB81_6:                               ; =>This Inner Loop Header: Depth=1
	global_load_b128 v[14:17], v[2:3], off
	v_add_nc_u32_e32 v5, 32, v5
	v_add_co_u32 v2, s0, 0x200, v2
	s_delay_alu instid0(VALU_DEP_1) | instskip(NEXT) | instid1(VALU_DEP_3)
	v_add_co_ci_u32_e64 v3, s0, 0, v3, s0
	v_cmp_le_i32_e64 s1, s2, v5
	s_delay_alu instid0(VALU_DEP_1)
	s_or_b32 s8, s1, s8
	s_waitcnt vmcnt(0)
	ds_store_b128 v4, v[14:17]
	v_add_nc_u32_e32 v4, 0x200, v4
	s_and_not1_b32 exec_lo, exec_lo, s8
	s_cbranch_execnz .LBB81_6
.LBB81_7:
	s_or_b32 exec_lo, exec_lo, s20
	s_delay_alu instid0(SALU_CYCLE_1)
	s_and_b32 exec_lo, exec_lo, vcc_lo
	s_cbranch_execz .LBB81_28
; %bb.8:
	s_waitcnt lgkmcnt(0)
	s_clause 0x1
	global_load_b64 v[4:5], v0, s[4:5]
	global_load_b64 v[6:7], v0, s[6:7]
	s_abs_i32 s2, s3
	v_lshl_add_u32 v2, v13, 2, 0
	v_cvt_f32_u32_e32 v3, s2
	v_mbcnt_lo_u32_b32 v13, -1, 0
	s_lshr_b32 s0, s3, 31
	s_ashr_i32 s1, s3, 31
	s_add_i32 s0, s3, s0
	v_rcp_iflag_f32_e32 v3, v3
	v_add_nc_u32_e32 v30, s15, v12
	s_lshr_b32 s6, s1, 30
	s_lshr_b32 s1, s1, 29
	v_xor_b32_e32 v12, 16, v13
	s_lshl_b32 s0, s0, 1
	s_add_i32 s1, s3, s1
	s_sub_i32 s7, 0, s2
	s_and_b32 s0, s0, -4
	s_ashr_i32 s1, s1, 3
	s_waitcnt_depctr 0xfff
	v_mul_f32_e32 v3, 0x4f7ffffe, v3
	v_xor_b32_e32 v14, 8, v13
	v_add_nc_u32_e32 v25, s0, v2
	v_xor_b32_e32 v22, s1, v13
	v_cmp_gt_i32_e64 s0, s1, v8
	v_cvt_u32_f32_e32 v3, v3
	v_cmp_gt_i32_e64 s1, 32, v12
	v_xor_b32_e32 v18, 4, v13
	v_xor_b32_e32 v20, 2, v13
	v_or_b32_e32 v15, 2, v0
	v_mul_lo_u32 v19, s7, v3
	v_cndmask_b32_e64 v12, v13, v12, s1
	v_cmp_gt_i32_e64 s1, 32, v14
	v_or_b32_e32 v16, 4, v0
	v_or_b32_e32 v17, 6, v0
	s_add_i32 s4, s18, s17
	s_lshl_b32 s5, s14, 1
	v_cndmask_b32_e64 v14, v13, v14, s1
	v_mul_hi_u32 v19, v3, v19
	v_cmp_gt_i32_e64 s1, 32, v18
	s_add_i32 s4, s4, s16
	s_add_i32 s6, s3, s6
	s_sub_i32 s3, s4, s5
	v_xor_b32_e32 v21, 1, v13
	v_cndmask_b32_e64 v18, v13, v18, s1
	v_cmp_gt_i32_e64 s1, 32, v20
	v_add_nc_u32_e32 v3, v3, v19
	v_mul_lo_u32 v1, s3, v1
	s_ashr_i32 s4, s6, 2
	v_lshlrev_b32_e32 v12, 2, v12
	v_cndmask_b32_e64 v19, v13, v20, s1
	v_mul_hi_u32 v20, v0, v3
	v_mul_hi_u32 v23, v15, v3
	v_mul_hi_u32 v24, v16, v3
	v_mul_hi_u32 v3, v17, v3
	v_cmp_gt_i32_e64 s1, 32, v21
	v_lshl_add_u32 v1, v1, 7, v9
	v_cmp_gt_i32_e32 vcc_lo, s4, v8
	v_add3_u32 v30, v30, v0, 0
	v_mul_lo_u32 v20, v20, s2
	v_mul_lo_u32 v23, v23, s2
	v_cndmask_b32_e64 v21, v13, v21, s1
	v_mul_lo_u32 v3, v3, s2
	v_cmp_gt_i32_e64 s1, 32, v22
	v_mul_lo_u32 v24, v24, s2
	v_lshl_or_b32 v8, v8, 2, v1
	s_mov_b32 s3, 0
	v_sub_nc_u32_e32 v9, v0, v20
	v_cndmask_b32_e64 v22, v13, v22, s1
	v_lshlrev_b32_e32 v13, 2, v14
	v_lshlrev_b32_e32 v14, 2, v18
	v_sub_nc_u32_e32 v18, v15, v23
	v_sub_nc_u32_e32 v3, v17, v3
	v_subrev_nc_u32_e32 v17, s2, v9
	v_cmp_le_u32_e64 s1, s2, v9
	v_sub_nc_u32_e32 v16, v16, v24
	v_lshlrev_b32_e32 v15, 2, v19
	v_subrev_nc_u32_e32 v19, s2, v18
	v_subrev_nc_u32_e32 v23, s2, v3
	v_cndmask_b32_e64 v9, v9, v17, s1
	v_cmp_le_u32_e64 s1, s2, v18
	v_subrev_nc_u32_e32 v20, s2, v16
	s_mov_b32 s4, 0
	s_delay_alu instid0(VALU_DEP_2) | instskip(SKIP_2) | instid1(VALU_DEP_2)
	v_cndmask_b32_e64 v17, v18, v19, s1
	v_cmp_le_u32_e64 s1, s2, v16
	v_subrev_nc_u32_e32 v19, s2, v9
	v_cndmask_b32_e64 v18, v16, v20, s1
	v_cmp_le_u32_e64 s1, s2, v3
	v_subrev_nc_u32_e32 v20, s2, v17
	v_lshlrev_b32_e32 v16, 2, v21
	s_delay_alu instid0(VALU_DEP_4) | instskip(NEXT) | instid1(VALU_DEP_4)
	v_subrev_nc_u32_e32 v21, s2, v18
	v_cndmask_b32_e64 v3, v3, v23, s1
	v_cmp_le_u32_e64 s1, s2, v9
	s_delay_alu instid0(VALU_DEP_2) | instskip(NEXT) | instid1(VALU_DEP_2)
	v_subrev_nc_u32_e32 v23, s2, v3
	v_cndmask_b32_e64 v9, v9, v19, s1
	v_cmp_le_u32_e64 s1, s2, v17
	s_delay_alu instid0(VALU_DEP_2) | instskip(NEXT) | instid1(VALU_DEP_2)
	v_lshlrev_b32_e32 v9, 1, v9
	v_cndmask_b32_e64 v19, v17, v20, s1
	v_cmp_le_u32_e64 s1, s2, v18
	v_lshlrev_b32_e32 v17, 2, v22
	s_delay_alu instid0(VALU_DEP_4) | instskip(NEXT) | instid1(VALU_DEP_4)
	v_and_b32_e32 v9, -4, v9
	v_lshlrev_b32_e32 v19, 1, v19
	s_delay_alu instid0(VALU_DEP_4) | instskip(SKIP_1) | instid1(VALU_DEP_3)
	v_cndmask_b32_e64 v18, v18, v21, s1
	v_cmp_le_u32_e64 s1, s2, v3
	v_and_b32_e32 v1, -4, v19
	s_delay_alu instid0(VALU_DEP_3) | instskip(NEXT) | instid1(VALU_DEP_3)
	v_lshlrev_b32_e32 v18, 1, v18
	v_cndmask_b32_e64 v3, v3, v23, s1
	v_add_nc_u32_e32 v19, v25, v9
	s_delay_alu instid0(VALU_DEP_4) | instskip(NEXT) | instid1(VALU_DEP_4)
	v_add_nc_u32_e32 v20, v2, v1
	v_and_b32_e32 v23, -4, v18
	s_delay_alu instid0(VALU_DEP_4) | instskip(SKIP_2) | instid1(VALU_DEP_4)
	v_lshlrev_b32_e32 v3, 1, v3
	v_add_nc_u32_e32 v18, v2, v9
	v_add_nc_u32_e32 v21, v25, v1
	;; [unrolled: 1-line block ×3, first 2 shown]
	s_delay_alu instid0(VALU_DEP_4) | instskip(SKIP_1) | instid1(VALU_DEP_2)
	v_and_b32_e32 v3, -4, v3
	v_add_nc_u32_e32 v23, v25, v23
	v_add_nc_u32_e32 v24, v2, v3
	;; [unrolled: 1-line block ×3, first 2 shown]
	s_waitcnt vmcnt(1)
	v_lshrrev_b32_e32 v26, 16, v4
	v_lshrrev_b32_e32 v27, 16, v5
	s_waitcnt vmcnt(0)
	v_lshrrev_b32_e32 v28, 16, v6
	v_lshrrev_b32_e32 v29, 16, v7
	s_branch .LBB81_10
.LBB81_9:                               ;   in Loop: Header=BB81_10 Depth=1
	s_or_b32 exec_lo, exec_lo, s2
	v_ashrrev_i32_e32 v9, 31, v8
	v_lshrrev_b32_e32 v2, 16, v33
	v_and_b32_e32 v3, 0xffff0000, v34
	s_add_i32 s4, s4, 1
	v_add_nc_u32_e32 v30, 0x100, v30
	v_lshlrev_b64 v[0:1], 1, v[8:9]
	v_lshrrev_b32_e32 v9, 16, v31
	v_cmp_ge_i32_e64 s1, s4, v11
	v_or_b32_e32 v2, v3, v2
	v_add_nc_u32_e32 v8, 0x80, v8
	v_add_co_u32 v33, s2, s12, v0
	s_delay_alu instid0(VALU_DEP_1)
	v_add_co_ci_u32_e64 v34, s2, s13, v1, s2
	v_and_or_b32 v1, 0xffff0000, v32, v9
	s_or_b32 s3, s1, s3
	global_store_b64 v[33:34], v[1:2], off
	s_and_not1_b32 exec_lo, exec_lo, s3
	s_cbranch_execz .LBB81_28
.LBB81_10:                              ; =>This Inner Loop Header: Depth=1
	ds_load_b64 v[0:1], v30
	s_waitcnt lgkmcnt(0)
	v_lshlrev_b32_e32 v3, 16, v0
	v_and_b32_e32 v2, 0xffff0000, v0
	v_alignbit_b32 v0, v1, v0, 16
	s_delay_alu instid0(VALU_DEP_2) | instskip(NEXT) | instid1(VALU_DEP_2)
	v_dual_mul_f32 v9, v2, v2 :: v_dual_and_b32 v32, 0xffff0000, v1
	v_and_b32_e32 v31, 0xffff0000, v0
	s_delay_alu instid0(VALU_DEP_2) | instskip(NEXT) | instid1(VALU_DEP_1)
	v_fmac_f32_e32 v9, v3, v3
	v_fmac_f32_e32 v9, v31, v31
	s_delay_alu instid0(VALU_DEP_1)
	v_fmac_f32_e32 v9, v32, v32
	ds_bpermute_b32 v0, v12, v9
	s_waitcnt lgkmcnt(0)
	v_add_f32_e32 v0, v9, v0
	ds_bpermute_b32 v1, v13, v0
	s_waitcnt lgkmcnt(0)
	v_add_f32_e32 v0, v0, v1
	;; [unrolled: 3-line block ×5, first 2 shown]
	s_delay_alu instid0(VALU_DEP_1) | instskip(NEXT) | instid1(VALU_DEP_1)
	v_fma_f32 v0, 0x3c000000, v0, s19
	v_mul_f32_e32 v1, 0x4b800000, v0
	v_cmp_gt_f32_e64 s1, 0x800000, v0
	s_delay_alu instid0(VALU_DEP_1) | instskip(SKIP_1) | instid1(VALU_DEP_2)
	v_cndmask_b32_e64 v0, v0, v1, s1
	v_add_nc_u32_e32 v1, s4, v10
	v_rsq_f32_e32 v0, v0
	s_delay_alu instid0(VALU_DEP_1) | instskip(NEXT) | instid1(VALU_DEP_1)
	v_cmp_gt_i32_e64 s2, s16, v1
	v_cndmask_b32_e64 v33, v28, v26, s2
	v_cndmask_b32_e64 v34, v7, v5, s2
	;; [unrolled: 1-line block ×4, first 2 shown]
	s_waitcnt_depctr 0xfff
	v_mul_f32_e32 v9, 0x45800000, v0
	s_delay_alu instid0(VALU_DEP_1) | instskip(SKIP_2) | instid1(VALU_DEP_2)
	v_cndmask_b32_e64 v0, v0, v9, s1
	v_lshlrev_b32_e32 v9, 16, v33
	v_lshlrev_b32_e32 v33, 16, v34
	v_dual_mul_f32 v9, v0, v9 :: v_dual_lshlrev_b32 v34, 16, v35
	s_delay_alu instid0(VALU_DEP_2) | instskip(NEXT) | instid1(VALU_DEP_2)
	v_mul_f32_e32 v33, v0, v33
	v_dual_mul_f32 v34, v0, v34 :: v_dual_lshlrev_b32 v1, 16, v1
	s_delay_alu instid0(VALU_DEP_1) | instskip(NEXT) | instid1(VALU_DEP_1)
	v_mul_f32_e32 v1, v0, v1
	v_mul_f32_e32 v0, v1, v3
	;; [unrolled: 1-line block ×3, first 2 shown]
	s_delay_alu instid0(VALU_DEP_4)
	v_dual_mul_f32 v2, v33, v31 :: v_dual_mul_f32 v3, v34, v32
	s_and_saveexec_b32 s1, vcc_lo
	s_cbranch_execz .LBB81_12
; %bb.11:                               ;   in Loop: Header=BB81_10 Depth=1
	ds_bpermute_b32 v9, v17, v0
	ds_bpermute_b32 v31, v17, v1
	;; [unrolled: 1-line block ×4, first 2 shown]
	; wave barrier
	ds_load_b32 v34, v19
	ds_load_b32 v35, v21
	;; [unrolled: 1-line block ×8, first 2 shown]
	; wave barrier
	s_waitcnt lgkmcnt(11)
	v_cndmask_b32_e64 v9, v9, -v9, s0
	s_waitcnt lgkmcnt(10)
	v_cndmask_b32_e64 v42, v31, -v31, s0
	;; [unrolled: 2-line block ×4, first 2 shown]
	s_waitcnt lgkmcnt(6)
	v_dual_mul_f32 v31, v9, v34 :: v_dual_mul_f32 v32, v42, v35
	s_waitcnt lgkmcnt(4)
	s_delay_alu instid0(VALU_DEP_2) | instskip(SKIP_1) | instid1(VALU_DEP_2)
	v_dual_mul_f32 v33, v43, v36 :: v_dual_mul_f32 v34, v44, v37
	s_waitcnt lgkmcnt(2)
	v_dual_fmac_f32 v31, v0, v38 :: v_dual_fmac_f32 v32, v1, v39
	s_waitcnt lgkmcnt(0)
	s_delay_alu instid0(VALU_DEP_2) | instskip(NEXT) | instid1(VALU_DEP_2)
	v_dual_fmac_f32 v33, v2, v40 :: v_dual_fmac_f32 v34, v3, v41
	v_dual_mov_b32 v0, v31 :: v_dual_mov_b32 v1, v32
	s_delay_alu instid0(VALU_DEP_2)
	v_dual_mov_b32 v2, v33 :: v_dual_mov_b32 v3, v34
.LBB81_12:                              ;   in Loop: Header=BB81_10 Depth=1
	s_or_b32 exec_lo, exec_lo, s1
	s_delay_alu instid0(VALU_DEP_2) | instskip(NEXT) | instid1(VALU_DEP_1)
	v_and_b32_e32 v9, 0x7f800000, v0
                                        ; implicit-def: $vgpr31
	v_cmp_ne_u32_e64 s1, 0x7f800000, v9
	s_delay_alu instid0(VALU_DEP_1) | instskip(NEXT) | instid1(SALU_CYCLE_1)
	s_and_saveexec_b32 s2, s1
	s_xor_b32 s1, exec_lo, s2
; %bb.13:                               ;   in Loop: Header=BB81_10 Depth=1
	v_bfe_u32 v9, v0, 16, 1
	s_delay_alu instid0(VALU_DEP_1)
	v_add3_u32 v31, v0, v9, 0x7fff
; %bb.14:                               ;   in Loop: Header=BB81_10 Depth=1
	s_and_not1_saveexec_b32 s2, s1
; %bb.15:                               ;   in Loop: Header=BB81_10 Depth=1
	v_and_b32_e32 v9, 0xffff, v0
	v_or_b32_e32 v31, 0x10000, v0
	s_delay_alu instid0(VALU_DEP_2) | instskip(NEXT) | instid1(VALU_DEP_1)
	v_cmp_eq_u32_e64 s1, 0, v9
	v_cndmask_b32_e64 v31, v31, v0, s1
; %bb.16:                               ;   in Loop: Header=BB81_10 Depth=1
	s_or_b32 exec_lo, exec_lo, s2
	v_and_b32_e32 v0, 0x7f800000, v1
                                        ; implicit-def: $vgpr32
	s_delay_alu instid0(VALU_DEP_1) | instskip(NEXT) | instid1(VALU_DEP_1)
	v_cmp_ne_u32_e64 s1, 0x7f800000, v0
	s_and_saveexec_b32 s2, s1
	s_delay_alu instid0(SALU_CYCLE_1)
	s_xor_b32 s1, exec_lo, s2
; %bb.17:                               ;   in Loop: Header=BB81_10 Depth=1
	v_bfe_u32 v0, v1, 16, 1
	s_delay_alu instid0(VALU_DEP_1)
	v_add3_u32 v32, v1, v0, 0x7fff
; %bb.18:                               ;   in Loop: Header=BB81_10 Depth=1
	s_and_not1_saveexec_b32 s2, s1
; %bb.19:                               ;   in Loop: Header=BB81_10 Depth=1
	v_and_b32_e32 v0, 0xffff, v1
	v_or_b32_e32 v9, 0x10000, v1
	s_delay_alu instid0(VALU_DEP_2) | instskip(NEXT) | instid1(VALU_DEP_1)
	v_cmp_eq_u32_e64 s1, 0, v0
	v_cndmask_b32_e64 v32, v9, v1, s1
; %bb.20:                               ;   in Loop: Header=BB81_10 Depth=1
	s_or_b32 exec_lo, exec_lo, s2
	v_and_b32_e32 v0, 0x7f800000, v2
                                        ; implicit-def: $vgpr33
	s_delay_alu instid0(VALU_DEP_1) | instskip(NEXT) | instid1(VALU_DEP_1)
	v_cmp_ne_u32_e64 s1, 0x7f800000, v0
	s_and_saveexec_b32 s2, s1
	s_delay_alu instid0(SALU_CYCLE_1)
	s_xor_b32 s1, exec_lo, s2
; %bb.21:                               ;   in Loop: Header=BB81_10 Depth=1
	v_bfe_u32 v0, v2, 16, 1
	s_delay_alu instid0(VALU_DEP_1)
	v_add3_u32 v33, v2, v0, 0x7fff
; %bb.22:                               ;   in Loop: Header=BB81_10 Depth=1
	s_and_not1_saveexec_b32 s2, s1
; %bb.23:                               ;   in Loop: Header=BB81_10 Depth=1
	v_and_b32_e32 v0, 0xffff, v2
	v_or_b32_e32 v1, 0x10000, v2
	s_delay_alu instid0(VALU_DEP_2) | instskip(NEXT) | instid1(VALU_DEP_1)
	v_cmp_eq_u32_e64 s1, 0, v0
	v_cndmask_b32_e64 v33, v1, v2, s1
; %bb.24:                               ;   in Loop: Header=BB81_10 Depth=1
	s_or_b32 exec_lo, exec_lo, s2
	v_and_b32_e32 v0, 0x7f800000, v3
                                        ; implicit-def: $vgpr34
	s_delay_alu instid0(VALU_DEP_1) | instskip(NEXT) | instid1(VALU_DEP_1)
	v_cmp_ne_u32_e64 s1, 0x7f800000, v0
	s_and_saveexec_b32 s2, s1
	s_delay_alu instid0(SALU_CYCLE_1)
	s_xor_b32 s1, exec_lo, s2
; %bb.25:                               ;   in Loop: Header=BB81_10 Depth=1
	v_bfe_u32 v0, v3, 16, 1
	s_delay_alu instid0(VALU_DEP_1)
	v_add3_u32 v34, v3, v0, 0x7fff
                                        ; implicit-def: $vgpr0_vgpr1_vgpr2_vgpr3
; %bb.26:                               ;   in Loop: Header=BB81_10 Depth=1
	s_and_not1_saveexec_b32 s2, s1
	s_cbranch_execz .LBB81_9
; %bb.27:                               ;   in Loop: Header=BB81_10 Depth=1
	v_and_b32_e32 v0, 0xffff, v3
	v_or_b32_e32 v1, 0x10000, v3
	s_delay_alu instid0(VALU_DEP_2) | instskip(NEXT) | instid1(VALU_DEP_1)
	v_cmp_eq_u32_e64 s1, 0, v0
	v_cndmask_b32_e64 v34, v1, v3, s1
	s_branch .LBB81_9
.LBB81_28:
	s_nop 0
	s_sendmsg sendmsg(MSG_DEALLOC_VGPRS)
	s_endpgm
	.section	.rodata,"a",@progbits
	.p2align	6, 0x0
	.amdhsa_kernel _ZN12tensorrt_llm7kernels32fusedQKNormRopeKernelNTokenHeadsIN3c108BFloat16EfLi128ELb0ELi2EEEvPviiifPKvS6_S6_PKlii
		.amdhsa_group_segment_fixed_size 0
		.amdhsa_private_segment_fixed_size 0
		.amdhsa_kernarg_size 320
		.amdhsa_user_sgpr_count 15
		.amdhsa_user_sgpr_dispatch_ptr 0
		.amdhsa_user_sgpr_queue_ptr 0
		.amdhsa_user_sgpr_kernarg_segment_ptr 1
		.amdhsa_user_sgpr_dispatch_id 0
		.amdhsa_user_sgpr_private_segment_size 0
		.amdhsa_wavefront_size32 1
		.amdhsa_uses_dynamic_stack 0
		.amdhsa_enable_private_segment 0
		.amdhsa_system_sgpr_workgroup_id_x 1
		.amdhsa_system_sgpr_workgroup_id_y 0
		.amdhsa_system_sgpr_workgroup_id_z 0
		.amdhsa_system_sgpr_workgroup_info 0
		.amdhsa_system_vgpr_workitem_id 0
		.amdhsa_next_free_vgpr 45
		.amdhsa_next_free_sgpr 21
		.amdhsa_reserve_vcc 1
		.amdhsa_float_round_mode_32 0
		.amdhsa_float_round_mode_16_64 0
		.amdhsa_float_denorm_mode_32 3
		.amdhsa_float_denorm_mode_16_64 3
		.amdhsa_dx10_clamp 1
		.amdhsa_ieee_mode 1
		.amdhsa_fp16_overflow 0
		.amdhsa_workgroup_processor_mode 1
		.amdhsa_memory_ordered 1
		.amdhsa_forward_progress 0
		.amdhsa_shared_vgpr_count 0
		.amdhsa_exception_fp_ieee_invalid_op 0
		.amdhsa_exception_fp_denorm_src 0
		.amdhsa_exception_fp_ieee_div_zero 0
		.amdhsa_exception_fp_ieee_overflow 0
		.amdhsa_exception_fp_ieee_underflow 0
		.amdhsa_exception_fp_ieee_inexact 0
		.amdhsa_exception_int_div_zero 0
	.end_amdhsa_kernel
	.section	.text._ZN12tensorrt_llm7kernels32fusedQKNormRopeKernelNTokenHeadsIN3c108BFloat16EfLi128ELb0ELi2EEEvPviiifPKvS6_S6_PKlii,"axG",@progbits,_ZN12tensorrt_llm7kernels32fusedQKNormRopeKernelNTokenHeadsIN3c108BFloat16EfLi128ELb0ELi2EEEvPviiifPKvS6_S6_PKlii,comdat
.Lfunc_end81:
	.size	_ZN12tensorrt_llm7kernels32fusedQKNormRopeKernelNTokenHeadsIN3c108BFloat16EfLi128ELb0ELi2EEEvPviiifPKvS6_S6_PKlii, .Lfunc_end81-_ZN12tensorrt_llm7kernels32fusedQKNormRopeKernelNTokenHeadsIN3c108BFloat16EfLi128ELb0ELi2EEEvPviiifPKvS6_S6_PKlii
                                        ; -- End function
	.section	.AMDGPU.csdata,"",@progbits
; Kernel info:
; codeLenInByte = 2708
; NumSgprs: 23
; NumVgprs: 45
; ScratchSize: 0
; MemoryBound: 0
; FloatMode: 240
; IeeeMode: 1
; LDSByteSize: 0 bytes/workgroup (compile time only)
; SGPRBlocks: 2
; VGPRBlocks: 5
; NumSGPRsForWavesPerEU: 23
; NumVGPRsForWavesPerEU: 45
; Occupancy: 16
; WaveLimiterHint : 0
; COMPUTE_PGM_RSRC2:SCRATCH_EN: 0
; COMPUTE_PGM_RSRC2:USER_SGPR: 15
; COMPUTE_PGM_RSRC2:TRAP_HANDLER: 0
; COMPUTE_PGM_RSRC2:TGID_X_EN: 1
; COMPUTE_PGM_RSRC2:TGID_Y_EN: 0
; COMPUTE_PGM_RSRC2:TGID_Z_EN: 0
; COMPUTE_PGM_RSRC2:TIDIG_COMP_CNT: 0
	.section	.text._ZN12tensorrt_llm7kernels32fusedQKNormRopeKernelNTokenHeadsIN3c108BFloat16EfLi256ELb1ELi2EEEvPviiifPKvS6_S6_PKlii,"axG",@progbits,_ZN12tensorrt_llm7kernels32fusedQKNormRopeKernelNTokenHeadsIN3c108BFloat16EfLi256ELb1ELi2EEEvPviiifPKvS6_S6_PKlii,comdat
	.protected	_ZN12tensorrt_llm7kernels32fusedQKNormRopeKernelNTokenHeadsIN3c108BFloat16EfLi256ELb1ELi2EEEvPviiifPKvS6_S6_PKlii ; -- Begin function _ZN12tensorrt_llm7kernels32fusedQKNormRopeKernelNTokenHeadsIN3c108BFloat16EfLi256ELb1ELi2EEEvPviiifPKvS6_S6_PKlii
	.globl	_ZN12tensorrt_llm7kernels32fusedQKNormRopeKernelNTokenHeadsIN3c108BFloat16EfLi256ELb1ELi2EEEvPviiifPKvS6_S6_PKlii
	.p2align	8
	.type	_ZN12tensorrt_llm7kernels32fusedQKNormRopeKernelNTokenHeadsIN3c108BFloat16EfLi256ELb1ELi2EEEvPviiifPKvS6_S6_PKlii,@function
_ZN12tensorrt_llm7kernels32fusedQKNormRopeKernelNTokenHeadsIN3c108BFloat16EfLi256ELb1ELi2EEEvPviiifPKvS6_S6_PKlii: ; @_ZN12tensorrt_llm7kernels32fusedQKNormRopeKernelNTokenHeadsIN3c108BFloat16EfLi256ELb1ELi2EEEvPviiifPKvS6_S6_PKlii
; %bb.0:
	s_clause 0x1
	s_load_b128 s[16:19], s[0:1], 0x8
	s_load_b64 s[2:3], s[0:1], 0x38
	v_lshrrev_b32_e32 v2, 5, v0
	s_waitcnt lgkmcnt(0)
	s_add_i32 s4, s17, s16
	s_delay_alu instid0(SALU_CYCLE_1) | instskip(NEXT) | instid1(SALU_CYCLE_1)
	s_add_i32 s5, s4, 1
	s_lshr_b32 s6, s5, 31
	s_delay_alu instid0(SALU_CYCLE_1) | instskip(NEXT) | instid1(SALU_CYCLE_1)
	s_add_i32 s5, s5, s6
	s_ashr_i32 s14, s5, 1
	s_load_b32 s5, s[0:1], 0x4c
	s_abs_i32 s6, s14
	s_delay_alu instid0(SALU_CYCLE_1) | instskip(SKIP_1) | instid1(VALU_DEP_1)
	v_cvt_f32_u32_e32 v1, s6
	s_sub_i32 s7, 0, s6
	v_rcp_iflag_f32_e32 v1, v1
	s_waitcnt_depctr 0xfff
	v_mul_f32_e32 v1, 0x4f7ffffe, v1
	s_waitcnt lgkmcnt(0)
	s_bfe_u32 s5, s5, 0xb0005
	s_delay_alu instid0(SALU_CYCLE_1) | instskip(NEXT) | instid1(VALU_DEP_2)
	v_mad_u64_u32 v[3:4], null, s15, s5, v[2:3]
	v_cvt_u32_f32_e32 v1, v1
	s_delay_alu instid0(VALU_DEP_1) | instskip(NEXT) | instid1(VALU_DEP_1)
	v_mul_lo_u32 v5, s7, v1
	v_mul_hi_u32 v4, v1, v5
	s_delay_alu instid0(VALU_DEP_4) | instskip(NEXT) | instid1(VALU_DEP_1)
	v_sub_nc_u32_e32 v5, 0, v3
	v_max_i32_e32 v5, v3, v5
	s_delay_alu instid0(VALU_DEP_3) | instskip(NEXT) | instid1(VALU_DEP_1)
	v_add_nc_u32_e32 v1, v1, v4
	v_mul_hi_u32 v1, v5, v1
	s_delay_alu instid0(VALU_DEP_1) | instskip(NEXT) | instid1(VALU_DEP_1)
	v_mul_lo_u32 v4, v1, s6
	v_sub_nc_u32_e32 v4, v5, v4
	v_add_nc_u32_e32 v5, 1, v1
	s_delay_alu instid0(VALU_DEP_2) | instskip(SKIP_1) | instid1(VALU_DEP_2)
	v_subrev_nc_u32_e32 v6, s6, v4
	v_cmp_le_u32_e32 vcc_lo, s6, v4
	v_dual_cndmask_b32 v4, v4, v6 :: v_dual_cndmask_b32 v1, v1, v5
	v_xor_b32_e32 v5, s14, v3
	s_delay_alu instid0(VALU_DEP_2) | instskip(NEXT) | instid1(VALU_DEP_3)
	v_cmp_le_u32_e32 vcc_lo, s6, v4
	v_add_nc_u32_e32 v6, 1, v1
	s_delay_alu instid0(VALU_DEP_3) | instskip(NEXT) | instid1(VALU_DEP_2)
	v_ashrrev_i32_e32 v5, 31, v5
	v_cndmask_b32_e32 v1, v1, v6, vcc_lo
	s_delay_alu instid0(VALU_DEP_1) | instskip(NEXT) | instid1(VALU_DEP_1)
	v_xor_b32_e32 v1, v1, v5
	v_sub_nc_u32_e32 v1, v1, v5
	s_delay_alu instid0(VALU_DEP_1)
	v_cmp_gt_i32_e32 vcc_lo, s2, v1
	s_and_saveexec_b32 s2, vcc_lo
	s_cbranch_execz .LBB82_44
; %bb.1:
	v_mul_lo_u32 v4, v1, s14
	s_load_b64 s[12:13], s[0:1], 0x0
	v_and_b32_e32 v6, 31, v0
	v_lshlrev_b32_e32 v16, 10, v2
	v_lshlrev_b32_e32 v7, 9, v3
	s_lshl_b32 s20, s3, 2
	s_delay_alu instid0(SALU_CYCLE_1) | instskip(NEXT) | instid1(VALU_DEP_4)
	s_mul_i32 s15, s20, s5
	v_sub_nc_u32_e32 v4, v3, v4
	s_delay_alu instid0(VALU_DEP_1) | instskip(NEXT) | instid1(VALU_DEP_1)
	v_lshlrev_b32_e32 v18, 1, v4
	v_add_nc_u32_e32 v4, 2, v18
	v_sub_nc_u32_e32 v5, s4, v18
	s_delay_alu instid0(VALU_DEP_2) | instskip(NEXT) | instid1(VALU_DEP_2)
	v_cmp_lt_i32_e32 vcc_lo, s4, v4
	v_cndmask_b32_e32 v19, 2, v5, vcc_lo
	v_lshlrev_b32_e32 v5, 4, v6
	s_delay_alu instid0(VALU_DEP_2)
	v_cmp_lt_i32_e32 vcc_lo, 0, v19
	s_and_saveexec_b32 s4, vcc_lo
	s_cbranch_execz .LBB82_4
; %bb.2:
	s_add_i32 s2, s18, s17
	s_lshl_b32 s5, s14, 1
	s_add_i32 s2, s2, s16
	s_mov_b32 s6, 0
	s_sub_i32 s2, s2, s5
	s_mov_b32 s5, 0
	v_mul_lo_u32 v3, s2, v1
	s_add_i32 s2, s15, 0
	s_delay_alu instid0(SALU_CYCLE_1) | instskip(NEXT) | instid1(VALU_DEP_2)
	v_add3_u32 v8, s2, v16, v5
	v_lshl_add_u32 v3, v3, 8, v7
	s_delay_alu instid0(VALU_DEP_1)
	v_lshl_or_b32 v3, v6, 3, v3
	.p2align	6
.LBB82_3:                               ; =>This Inner Loop Header: Depth=1
	s_delay_alu instid0(VALU_DEP_1) | instskip(SKIP_1) | instid1(VALU_DEP_1)
	v_ashrrev_i32_e32 v4, 31, v3
	s_add_i32 s6, s6, 1
	v_lshlrev_b64 v[9:10], 1, v[3:4]
	v_add_nc_u32_e32 v3, 0x100, v3
	s_waitcnt lgkmcnt(0)
	s_delay_alu instid0(VALU_DEP_2) | instskip(NEXT) | instid1(VALU_DEP_1)
	v_add_co_u32 v9, s2, s12, v9
	v_add_co_ci_u32_e64 v10, s2, s13, v10, s2
	v_cmp_ge_i32_e64 s2, s6, v19
	global_load_b128 v[9:12], v[9:10], off
	s_or_b32 s5, s2, s5
	s_waitcnt vmcnt(0)
	ds_store_b128 v8, v[9:12]
	v_add_nc_u32_e32 v8, 0x200, v8
	s_and_not1_b32 exec_lo, exec_lo, s5
	s_cbranch_execnz .LBB82_3
.LBB82_4:
	s_or_b32 exec_lo, exec_lo, s4
	s_load_b256 s[4:11], s[0:1], 0x18
	v_mul_lo_u32 v2, v2, s3
	s_add_i32 s0, s20, 15
	s_mov_b32 s20, exec_lo
	s_ashr_i32 s1, s0, 31
	s_delay_alu instid0(SALU_CYCLE_1) | instskip(NEXT) | instid1(SALU_CYCLE_1)
	s_lshr_b32 s1, s1, 28
	s_add_i32 s0, s0, s1
	s_delay_alu instid0(VALU_DEP_1) | instskip(SKIP_1) | instid1(SALU_CYCLE_1)
	v_lshlrev_b32_e32 v4, 2, v2
	s_ashr_i32 s2, s0, 4
	v_cmpx_gt_i32_e64 s2, v6
	s_cbranch_execz .LBB82_7
; %bb.5:
	v_ashrrev_i32_e32 v2, 31, v1
	v_and_b32_e32 v0, 31, v0
	s_delay_alu instid0(VALU_DEP_2) | instskip(NEXT) | instid1(VALU_DEP_2)
	v_lshlrev_b64 v[2:3], 3, v[1:2]
	v_lshlrev_b32_e32 v0, 4, v0
	s_waitcnt lgkmcnt(0)
	s_delay_alu instid0(VALU_DEP_2) | instskip(NEXT) | instid1(VALU_DEP_1)
	v_add_co_u32 v2, s0, s10, v2
	v_add_co_ci_u32_e64 v3, s0, s11, v3, s0
	s_ashr_i32 s0, s3, 31
	global_load_b64 v[2:3], v[2:3], off
	s_waitcnt vmcnt(0)
	v_mul_lo_u32 v3, v3, s3
	v_mul_lo_u32 v10, v2, s0
	v_mad_u64_u32 v[8:9], null, v2, s3, 0
	s_delay_alu instid0(VALU_DEP_1) | instskip(NEXT) | instid1(VALU_DEP_1)
	v_add3_u32 v9, v9, v10, v3
	v_lshlrev_b64 v[2:3], 2, v[8:9]
	v_mov_b32_e32 v8, v6
	s_delay_alu instid0(VALU_DEP_2) | instskip(NEXT) | instid1(VALU_DEP_1)
	v_add_co_u32 v2, s0, v2, v0
	v_add_co_ci_u32_e64 v3, s0, 0, v3, s0
	v_add3_u32 v0, v4, v5, 0
	s_delay_alu instid0(VALU_DEP_3) | instskip(NEXT) | instid1(VALU_DEP_1)
	v_add_co_u32 v2, s0, s8, v2
	v_add_co_ci_u32_e64 v3, s0, s9, v3, s0
	s_mov_b32 s8, 0
	.p2align	6
.LBB82_6:                               ; =>This Inner Loop Header: Depth=1
	global_load_b128 v[9:12], v[2:3], off
	v_add_nc_u32_e32 v8, 32, v8
	v_add_co_u32 v2, s0, 0x200, v2
	s_delay_alu instid0(VALU_DEP_1) | instskip(NEXT) | instid1(VALU_DEP_3)
	v_add_co_ci_u32_e64 v3, s0, 0, v3, s0
	v_cmp_le_i32_e64 s1, s2, v8
	s_delay_alu instid0(VALU_DEP_1)
	s_or_b32 s8, s1, s8
	s_waitcnt vmcnt(0)
	ds_store_b128 v0, v[9:12]
	v_add_nc_u32_e32 v0, 0x200, v0
	s_and_not1_b32 exec_lo, exec_lo, s8
	s_cbranch_execnz .LBB82_6
.LBB82_7:
	s_or_b32 exec_lo, exec_lo, s20
	s_delay_alu instid0(SALU_CYCLE_1)
	s_and_b32 exec_lo, exec_lo, vcc_lo
	s_cbranch_execz .LBB82_44
; %bb.8:
	s_waitcnt lgkmcnt(0)
	s_clause 0x1
	global_load_b128 v[8:11], v5, s[4:5]
	global_load_b128 v[12:15], v5, s[6:7]
	v_mbcnt_lo_u32_b32 v0, -1, 0
	s_lshr_b32 s0, s3, 31
	v_add3_u32 v20, 0, v4, v5
	s_add_i32 s0, s3, s0
	v_add_nc_u32_e32 v2, s15, v16
	v_xor_b32_e32 v3, 16, v0
	s_lshl_b32 s0, s0, 1
	v_xor_b32_e32 v4, 8, v0
	s_and_b32 s0, s0, -4
	v_xor_b32_e32 v16, 4, v0
	v_add_nc_u32_e32 v21, s0, v20
	v_cmp_gt_i32_e64 s0, 32, v3
	v_xor_b32_e32 v17, 2, v0
	s_add_i32 s2, s18, s17
	s_lshl_b32 s4, s14, 1
	s_add_i32 s2, s2, s16
	v_cndmask_b32_e64 v3, v0, v3, s0
	v_cmp_gt_i32_e64 s0, 32, v4
	s_sub_i32 s2, s2, s4
	v_xor_b32_e32 v22, 1, v0
	v_mul_lo_u32 v1, s2, v1
	s_ashr_i32 s1, s3, 31
	v_cndmask_b32_e64 v4, v0, v4, s0
	v_cmp_gt_i32_e64 s0, 32, v16
	s_lshr_b32 s1, s1, 29
	v_add3_u32 v35, v2, v5, 0
	s_add_i32 s1, s3, s1
	v_lshlrev_b32_e32 v23, 2, v4
	v_cndmask_b32_e64 v16, v0, v16, s0
	v_cmp_gt_i32_e64 s0, 32, v17
	v_lshl_add_u32 v1, v1, 8, v7
	s_ashr_i32 s1, s1, 3
	s_mov_b32 s2, 0
	v_cmp_gt_i32_e32 vcc_lo, s1, v6
	v_cndmask_b32_e64 v17, v0, v17, s0
	v_cmp_gt_i32_e64 s0, 32, v22
	v_lshlrev_b32_e32 v24, 2, v16
	v_lshl_or_b32 v16, v6, 3, v1
	s_mov_b32 s3, 0
	v_lshlrev_b32_e32 v25, 2, v17
	v_cndmask_b32_e64 v0, v0, v22, s0
	v_lshlrev_b32_e32 v22, 2, v3
	s_delay_alu instid0(VALU_DEP_2)
	v_lshlrev_b32_e32 v26, 2, v0
	s_waitcnt vmcnt(1)
	v_lshrrev_b32_e32 v27, 16, v8
	v_lshrrev_b32_e32 v28, 16, v9
	;; [unrolled: 1-line block ×4, first 2 shown]
	s_waitcnt vmcnt(0)
	v_lshrrev_b32_e32 v31, 16, v12
	v_lshrrev_b32_e32 v32, 16, v13
	;; [unrolled: 1-line block ×4, first 2 shown]
	s_branch .LBB82_10
.LBB82_9:                               ;   in Loop: Header=BB82_10 Depth=1
	s_or_b32 exec_lo, exec_lo, s1
	v_ashrrev_i32_e32 v17, 31, v16
	s_add_i32 s3, s3, 1
	v_perm_b32 v3, v43, v42, 0x7060302
	v_cmp_ge_i32_e64 s0, s3, v19
	v_perm_b32 v2, v41, v40, 0x7060302
	v_lshlrev_b64 v[4:5], 1, v[16:17]
	v_perm_b32 v1, v39, v38, 0x7060302
	v_perm_b32 v0, v37, v36, 0x7060302
	v_add_nc_u32_e32 v16, 0x100, v16
	v_add_nc_u32_e32 v35, 0x200, v35
	s_or_b32 s2, s0, s2
	v_add_co_u32 v4, s1, s12, v4
	s_delay_alu instid0(VALU_DEP_1)
	v_add_co_ci_u32_e64 v5, s1, s13, v5, s1
	global_store_b128 v[4:5], v[0:3], off
	s_and_not1_b32 exec_lo, exec_lo, s2
	s_cbranch_execz .LBB82_44
.LBB82_10:                              ; =>This Inner Loop Header: Depth=1
	ds_load_b128 v[0:3], v35
	s_waitcnt lgkmcnt(0)
	v_lshlrev_b32_e32 v6, 16, v1
	v_and_b32_e32 v4, 0xffff0000, v0
	v_and_b32_e32 v7, 0xffff0000, v1
	v_lshlrev_b32_e32 v0, 16, v0
	v_lshlrev_b32_e32 v17, 16, v2
	s_delay_alu instid0(VALU_DEP_4) | instskip(SKIP_3) | instid1(VALU_DEP_4)
	v_dual_mul_f32 v5, v4, v4 :: v_dual_and_b32 v36, 0xffff0000, v2
	v_lshlrev_b32_e32 v37, 16, v3
	v_and_b32_e32 v38, 0xffff0000, v3
	v_add_nc_u32_e32 v3, s3, v18
	v_fmac_f32_e32 v5, v0, v0
	s_delay_alu instid0(VALU_DEP_2) | instskip(NEXT) | instid1(VALU_DEP_2)
	v_cmp_gt_i32_e64 s1, s16, v3
	v_fmac_f32_e32 v5, v6, v6
	s_delay_alu instid0(VALU_DEP_2) | instskip(SKIP_1) | instid1(VALU_DEP_3)
	v_cndmask_b32_e64 v40, v14, v10, s1
	v_cndmask_b32_e64 v42, v15, v11, s1
	v_fmac_f32_e32 v5, v7, v7
	v_cndmask_b32_e64 v3, v31, v27, s1
	v_cndmask_b32_e64 v39, v32, v28, s1
	;; [unrolled: 1-line block ×4, first 2 shown]
	v_dual_fmac_f32 v5, v17, v17 :: v_dual_lshlrev_b32 v40, 16, v40
	s_delay_alu instid0(VALU_DEP_4) | instskip(NEXT) | instid1(VALU_DEP_4)
	v_lshlrev_b32_e32 v39, 16, v39
	v_lshlrev_b32_e32 v41, 16, v41
	s_delay_alu instid0(VALU_DEP_3) | instskip(NEXT) | instid1(VALU_DEP_1)
	v_dual_fmac_f32 v5, v36, v36 :: v_dual_lshlrev_b32 v42, 16, v42
	v_fmac_f32_e32 v5, v37, v37
	s_delay_alu instid0(VALU_DEP_1)
	v_fmac_f32_e32 v5, v38, v38
	ds_bpermute_b32 v1, v22, v5
	s_waitcnt lgkmcnt(0)
	v_add_f32_e32 v1, v5, v1
	v_cndmask_b32_e64 v5, v13, v9, s1
	ds_bpermute_b32 v2, v23, v1
	v_lshlrev_b32_e32 v5, 16, v5
	s_waitcnt lgkmcnt(0)
	v_add_f32_e32 v1, v1, v2
	ds_bpermute_b32 v2, v24, v1
	s_waitcnt lgkmcnt(0)
	v_add_f32_e32 v1, v1, v2
	ds_bpermute_b32 v2, v25, v1
	;; [unrolled: 3-line block ×3, first 2 shown]
	s_waitcnt lgkmcnt(0)
	v_add_f32_e32 v1, v1, v2
	s_delay_alu instid0(VALU_DEP_1) | instskip(NEXT) | instid1(VALU_DEP_1)
	v_fma_f32 v1, 0x3b800000, v1, s19
	v_mul_f32_e32 v2, 0x4b800000, v1
	v_cmp_gt_f32_e64 s0, 0x800000, v1
	s_delay_alu instid0(VALU_DEP_1) | instskip(SKIP_1) | instid1(VALU_DEP_2)
	v_cndmask_b32_e64 v1, v1, v2, s0
	v_cndmask_b32_e64 v2, v12, v8, s1
	v_rsq_f32_e32 v1, v1
	s_waitcnt_depctr 0xfff
	v_dual_mul_f32 v43, 0x45800000, v1 :: v_dual_lshlrev_b32 v2, 16, v2
	s_delay_alu instid0(VALU_DEP_1) | instskip(NEXT) | instid1(VALU_DEP_1)
	v_cndmask_b32_e64 v1, v1, v43, s0
	v_dual_mul_f32 v42, v1, v42 :: v_dual_lshlrev_b32 v43, 16, v44
	s_delay_alu instid0(VALU_DEP_3)
	v_mul_f32_e32 v2, v1, v2
	v_mul_f32_e32 v5, v1, v5
	v_lshlrev_b32_e32 v3, 16, v3
	v_mul_f32_e32 v39, v1, v39
	v_mul_f32_e32 v40, v1, v40
	;; [unrolled: 1-line block ×3, first 2 shown]
	v_dual_mul_f32 v43, v1, v43 :: v_dual_mul_f32 v0, v2, v0
	v_mul_f32_e32 v2, v5, v6
	v_mul_f32_e32 v3, v1, v3
	s_delay_alu instid0(VALU_DEP_4) | instskip(NEXT) | instid1(VALU_DEP_2)
	v_dual_mul_f32 v5, v41, v36 :: v_dual_mul_f32 v6, v42, v37
	v_mul_f32_e32 v1, v3, v4
	v_dual_mul_f32 v3, v39, v7 :: v_dual_mul_f32 v4, v40, v17
	v_mul_f32_e32 v7, v43, v38
	s_and_saveexec_b32 s0, vcc_lo
	s_cbranch_execz .LBB82_12
; %bb.11:                               ;   in Loop: Header=BB82_10 Depth=1
	ds_load_2addr_b32 v[37:38], v21 offset1:1
	ds_load_2addr_b32 v[41:42], v21 offset0:2 offset1:3
	ds_load_2addr_b32 v[44:45], v20 offset1:1
	ds_load_2addr_b32 v[46:47], v20 offset0:2 offset1:3
	s_waitcnt lgkmcnt(3)
	v_dual_mul_f32 v17, v1, v37 :: v_dual_mul_f32 v40, v3, v38
	v_mul_f32_e32 v37, v0, v37
	s_waitcnt lgkmcnt(2)
	v_dual_mul_f32 v39, v2, v38 :: v_dual_mul_f32 v48, v5, v41
	v_mul_f32_e32 v41, v4, v41
	v_mul_f32_e32 v43, v6, v42
	s_waitcnt lgkmcnt(1)
	v_fma_f32 v36, v0, v44, -v17
	v_fmac_f32_e32 v37, v1, v44
	v_fma_f32 v38, v2, v45, -v40
	v_fmac_f32_e32 v39, v3, v45
	s_waitcnt lgkmcnt(0)
	v_fma_f32 v40, v4, v46, -v48
	v_fmac_f32_e32 v41, v5, v46
	v_fmac_f32_e32 v43, v7, v47
	v_mul_f32_e32 v49, v7, v42
	s_delay_alu instid0(VALU_DEP_1) | instskip(SKIP_3) | instid1(VALU_DEP_4)
	v_fma_f32 v42, v6, v47, -v49
	v_dual_mov_b32 v0, v36 :: v_dual_mov_b32 v1, v37
	v_dual_mov_b32 v2, v38 :: v_dual_mov_b32 v3, v39
	;; [unrolled: 1-line block ×4, first 2 shown]
.LBB82_12:                              ;   in Loop: Header=BB82_10 Depth=1
	s_or_b32 exec_lo, exec_lo, s0
	v_and_b32_e32 v17, 0x7f800000, v0
                                        ; implicit-def: $vgpr36
	s_delay_alu instid0(VALU_DEP_1) | instskip(NEXT) | instid1(VALU_DEP_1)
	v_cmp_ne_u32_e64 s0, 0x7f800000, v17
	s_and_saveexec_b32 s1, s0
	s_delay_alu instid0(SALU_CYCLE_1)
	s_xor_b32 s0, exec_lo, s1
; %bb.13:                               ;   in Loop: Header=BB82_10 Depth=1
	v_bfe_u32 v17, v0, 16, 1
	s_delay_alu instid0(VALU_DEP_1)
	v_add3_u32 v36, v0, v17, 0x7fff
; %bb.14:                               ;   in Loop: Header=BB82_10 Depth=1
	s_and_not1_saveexec_b32 s1, s0
; %bb.15:                               ;   in Loop: Header=BB82_10 Depth=1
	v_and_b32_e32 v17, 0xffff, v0
	v_or_b32_e32 v36, 0x10000, v0
	s_delay_alu instid0(VALU_DEP_2) | instskip(NEXT) | instid1(VALU_DEP_1)
	v_cmp_eq_u32_e64 s0, 0, v17
	v_cndmask_b32_e64 v36, v36, v0, s0
; %bb.16:                               ;   in Loop: Header=BB82_10 Depth=1
	s_or_b32 exec_lo, exec_lo, s1
	v_and_b32_e32 v0, 0x7f800000, v1
                                        ; implicit-def: $vgpr37
	s_delay_alu instid0(VALU_DEP_1) | instskip(NEXT) | instid1(VALU_DEP_1)
	v_cmp_ne_u32_e64 s0, 0x7f800000, v0
	s_and_saveexec_b32 s1, s0
	s_delay_alu instid0(SALU_CYCLE_1)
	s_xor_b32 s0, exec_lo, s1
; %bb.17:                               ;   in Loop: Header=BB82_10 Depth=1
	v_bfe_u32 v0, v1, 16, 1
	s_delay_alu instid0(VALU_DEP_1)
	v_add3_u32 v37, v1, v0, 0x7fff
; %bb.18:                               ;   in Loop: Header=BB82_10 Depth=1
	s_and_not1_saveexec_b32 s1, s0
; %bb.19:                               ;   in Loop: Header=BB82_10 Depth=1
	v_and_b32_e32 v0, 0xffff, v1
	v_or_b32_e32 v17, 0x10000, v1
	s_delay_alu instid0(VALU_DEP_2) | instskip(NEXT) | instid1(VALU_DEP_1)
	v_cmp_eq_u32_e64 s0, 0, v0
	v_cndmask_b32_e64 v37, v17, v1, s0
; %bb.20:                               ;   in Loop: Header=BB82_10 Depth=1
	s_or_b32 exec_lo, exec_lo, s1
	v_and_b32_e32 v0, 0x7f800000, v2
                                        ; implicit-def: $vgpr38
	s_delay_alu instid0(VALU_DEP_1) | instskip(NEXT) | instid1(VALU_DEP_1)
	v_cmp_ne_u32_e64 s0, 0x7f800000, v0
	s_and_saveexec_b32 s1, s0
	s_delay_alu instid0(SALU_CYCLE_1)
	s_xor_b32 s0, exec_lo, s1
; %bb.21:                               ;   in Loop: Header=BB82_10 Depth=1
	v_bfe_u32 v0, v2, 16, 1
	s_delay_alu instid0(VALU_DEP_1)
	v_add3_u32 v38, v2, v0, 0x7fff
; %bb.22:                               ;   in Loop: Header=BB82_10 Depth=1
	s_and_not1_saveexec_b32 s1, s0
; %bb.23:                               ;   in Loop: Header=BB82_10 Depth=1
	v_and_b32_e32 v0, 0xffff, v2
	v_or_b32_e32 v1, 0x10000, v2
	s_delay_alu instid0(VALU_DEP_2) | instskip(NEXT) | instid1(VALU_DEP_1)
	v_cmp_eq_u32_e64 s0, 0, v0
	v_cndmask_b32_e64 v38, v1, v2, s0
; %bb.24:                               ;   in Loop: Header=BB82_10 Depth=1
	s_or_b32 exec_lo, exec_lo, s1
	v_and_b32_e32 v0, 0x7f800000, v3
                                        ; implicit-def: $vgpr39
	s_delay_alu instid0(VALU_DEP_1) | instskip(NEXT) | instid1(VALU_DEP_1)
	v_cmp_ne_u32_e64 s0, 0x7f800000, v0
	s_and_saveexec_b32 s1, s0
	s_delay_alu instid0(SALU_CYCLE_1)
	s_xor_b32 s0, exec_lo, s1
; %bb.25:                               ;   in Loop: Header=BB82_10 Depth=1
	v_bfe_u32 v0, v3, 16, 1
	s_delay_alu instid0(VALU_DEP_1)
	v_add3_u32 v39, v3, v0, 0x7fff
; %bb.26:                               ;   in Loop: Header=BB82_10 Depth=1
	s_and_not1_saveexec_b32 s1, s0
; %bb.27:                               ;   in Loop: Header=BB82_10 Depth=1
	v_and_b32_e32 v0, 0xffff, v3
	v_or_b32_e32 v1, 0x10000, v3
	s_delay_alu instid0(VALU_DEP_2) | instskip(NEXT) | instid1(VALU_DEP_1)
	v_cmp_eq_u32_e64 s0, 0, v0
	v_cndmask_b32_e64 v39, v1, v3, s0
; %bb.28:                               ;   in Loop: Header=BB82_10 Depth=1
	s_or_b32 exec_lo, exec_lo, s1
	v_and_b32_e32 v0, 0x7f800000, v4
                                        ; implicit-def: $vgpr40
	s_delay_alu instid0(VALU_DEP_1) | instskip(NEXT) | instid1(VALU_DEP_1)
	v_cmp_ne_u32_e64 s0, 0x7f800000, v0
	s_and_saveexec_b32 s1, s0
	s_delay_alu instid0(SALU_CYCLE_1)
	s_xor_b32 s0, exec_lo, s1
; %bb.29:                               ;   in Loop: Header=BB82_10 Depth=1
	v_bfe_u32 v0, v4, 16, 1
	s_delay_alu instid0(VALU_DEP_1)
	v_add3_u32 v40, v4, v0, 0x7fff
; %bb.30:                               ;   in Loop: Header=BB82_10 Depth=1
	s_and_not1_saveexec_b32 s1, s0
; %bb.31:                               ;   in Loop: Header=BB82_10 Depth=1
	v_and_b32_e32 v0, 0xffff, v4
	v_or_b32_e32 v1, 0x10000, v4
	s_delay_alu instid0(VALU_DEP_2) | instskip(NEXT) | instid1(VALU_DEP_1)
	v_cmp_eq_u32_e64 s0, 0, v0
	v_cndmask_b32_e64 v40, v1, v4, s0
; %bb.32:                               ;   in Loop: Header=BB82_10 Depth=1
	s_or_b32 exec_lo, exec_lo, s1
	v_and_b32_e32 v0, 0x7f800000, v5
                                        ; implicit-def: $vgpr41
	s_delay_alu instid0(VALU_DEP_1) | instskip(NEXT) | instid1(VALU_DEP_1)
	v_cmp_ne_u32_e64 s0, 0x7f800000, v0
	s_and_saveexec_b32 s1, s0
	s_delay_alu instid0(SALU_CYCLE_1)
	s_xor_b32 s0, exec_lo, s1
; %bb.33:                               ;   in Loop: Header=BB82_10 Depth=1
	v_bfe_u32 v0, v5, 16, 1
	s_delay_alu instid0(VALU_DEP_1)
	v_add3_u32 v41, v5, v0, 0x7fff
; %bb.34:                               ;   in Loop: Header=BB82_10 Depth=1
	s_and_not1_saveexec_b32 s1, s0
; %bb.35:                               ;   in Loop: Header=BB82_10 Depth=1
	v_and_b32_e32 v0, 0xffff, v5
	v_or_b32_e32 v1, 0x10000, v5
	s_delay_alu instid0(VALU_DEP_2) | instskip(NEXT) | instid1(VALU_DEP_1)
	v_cmp_eq_u32_e64 s0, 0, v0
	v_cndmask_b32_e64 v41, v1, v5, s0
; %bb.36:                               ;   in Loop: Header=BB82_10 Depth=1
	s_or_b32 exec_lo, exec_lo, s1
	v_and_b32_e32 v0, 0x7f800000, v6
                                        ; implicit-def: $vgpr42
	s_delay_alu instid0(VALU_DEP_1) | instskip(NEXT) | instid1(VALU_DEP_1)
	v_cmp_ne_u32_e64 s0, 0x7f800000, v0
	s_and_saveexec_b32 s1, s0
	s_delay_alu instid0(SALU_CYCLE_1)
	s_xor_b32 s0, exec_lo, s1
; %bb.37:                               ;   in Loop: Header=BB82_10 Depth=1
	v_bfe_u32 v0, v6, 16, 1
	s_delay_alu instid0(VALU_DEP_1)
	v_add3_u32 v42, v6, v0, 0x7fff
; %bb.38:                               ;   in Loop: Header=BB82_10 Depth=1
	s_and_not1_saveexec_b32 s1, s0
; %bb.39:                               ;   in Loop: Header=BB82_10 Depth=1
	v_and_b32_e32 v0, 0xffff, v6
	v_or_b32_e32 v1, 0x10000, v6
	s_delay_alu instid0(VALU_DEP_2) | instskip(NEXT) | instid1(VALU_DEP_1)
	v_cmp_eq_u32_e64 s0, 0, v0
	v_cndmask_b32_e64 v42, v1, v6, s0
; %bb.40:                               ;   in Loop: Header=BB82_10 Depth=1
	s_or_b32 exec_lo, exec_lo, s1
	v_and_b32_e32 v0, 0x7f800000, v7
                                        ; implicit-def: $vgpr43
	s_delay_alu instid0(VALU_DEP_1) | instskip(NEXT) | instid1(VALU_DEP_1)
	v_cmp_ne_u32_e64 s0, 0x7f800000, v0
	s_and_saveexec_b32 s1, s0
	s_delay_alu instid0(SALU_CYCLE_1)
	s_xor_b32 s0, exec_lo, s1
; %bb.41:                               ;   in Loop: Header=BB82_10 Depth=1
	v_bfe_u32 v0, v7, 16, 1
	s_delay_alu instid0(VALU_DEP_1)
	v_add3_u32 v43, v7, v0, 0x7fff
                                        ; implicit-def: $vgpr0_vgpr1_vgpr2_vgpr3_vgpr4_vgpr5_vgpr6_vgpr7
; %bb.42:                               ;   in Loop: Header=BB82_10 Depth=1
	s_and_not1_saveexec_b32 s1, s0
	s_cbranch_execz .LBB82_9
; %bb.43:                               ;   in Loop: Header=BB82_10 Depth=1
	v_and_b32_e32 v0, 0xffff, v7
	v_or_b32_e32 v1, 0x10000, v7
	s_delay_alu instid0(VALU_DEP_2) | instskip(NEXT) | instid1(VALU_DEP_1)
	v_cmp_eq_u32_e64 s0, 0, v0
	v_cndmask_b32_e64 v43, v1, v7, s0
	s_branch .LBB82_9
.LBB82_44:
	s_nop 0
	s_sendmsg sendmsg(MSG_DEALLOC_VGPRS)
	s_endpgm
	.section	.rodata,"a",@progbits
	.p2align	6, 0x0
	.amdhsa_kernel _ZN12tensorrt_llm7kernels32fusedQKNormRopeKernelNTokenHeadsIN3c108BFloat16EfLi256ELb1ELi2EEEvPviiifPKvS6_S6_PKlii
		.amdhsa_group_segment_fixed_size 0
		.amdhsa_private_segment_fixed_size 0
		.amdhsa_kernarg_size 320
		.amdhsa_user_sgpr_count 15
		.amdhsa_user_sgpr_dispatch_ptr 0
		.amdhsa_user_sgpr_queue_ptr 0
		.amdhsa_user_sgpr_kernarg_segment_ptr 1
		.amdhsa_user_sgpr_dispatch_id 0
		.amdhsa_user_sgpr_private_segment_size 0
		.amdhsa_wavefront_size32 1
		.amdhsa_uses_dynamic_stack 0
		.amdhsa_enable_private_segment 0
		.amdhsa_system_sgpr_workgroup_id_x 1
		.amdhsa_system_sgpr_workgroup_id_y 0
		.amdhsa_system_sgpr_workgroup_id_z 0
		.amdhsa_system_sgpr_workgroup_info 0
		.amdhsa_system_vgpr_workitem_id 0
		.amdhsa_next_free_vgpr 50
		.amdhsa_next_free_sgpr 21
		.amdhsa_reserve_vcc 1
		.amdhsa_float_round_mode_32 0
		.amdhsa_float_round_mode_16_64 0
		.amdhsa_float_denorm_mode_32 3
		.amdhsa_float_denorm_mode_16_64 3
		.amdhsa_dx10_clamp 1
		.amdhsa_ieee_mode 1
		.amdhsa_fp16_overflow 0
		.amdhsa_workgroup_processor_mode 1
		.amdhsa_memory_ordered 1
		.amdhsa_forward_progress 0
		.amdhsa_shared_vgpr_count 0
		.amdhsa_exception_fp_ieee_invalid_op 0
		.amdhsa_exception_fp_denorm_src 0
		.amdhsa_exception_fp_ieee_div_zero 0
		.amdhsa_exception_fp_ieee_overflow 0
		.amdhsa_exception_fp_ieee_underflow 0
		.amdhsa_exception_fp_ieee_inexact 0
		.amdhsa_exception_int_div_zero 0
	.end_amdhsa_kernel
	.section	.text._ZN12tensorrt_llm7kernels32fusedQKNormRopeKernelNTokenHeadsIN3c108BFloat16EfLi256ELb1ELi2EEEvPviiifPKvS6_S6_PKlii,"axG",@progbits,_ZN12tensorrt_llm7kernels32fusedQKNormRopeKernelNTokenHeadsIN3c108BFloat16EfLi256ELb1ELi2EEEvPviiifPKvS6_S6_PKlii,comdat
.Lfunc_end82:
	.size	_ZN12tensorrt_llm7kernels32fusedQKNormRopeKernelNTokenHeadsIN3c108BFloat16EfLi256ELb1ELi2EEEvPviiifPKvS6_S6_PKlii, .Lfunc_end82-_ZN12tensorrt_llm7kernels32fusedQKNormRopeKernelNTokenHeadsIN3c108BFloat16EfLi256ELb1ELi2EEEvPviiifPKvS6_S6_PKlii
                                        ; -- End function
	.section	.AMDGPU.csdata,"",@progbits
; Kernel info:
; codeLenInByte = 2772
; NumSgprs: 23
; NumVgprs: 50
; ScratchSize: 0
; MemoryBound: 0
; FloatMode: 240
; IeeeMode: 1
; LDSByteSize: 0 bytes/workgroup (compile time only)
; SGPRBlocks: 2
; VGPRBlocks: 6
; NumSGPRsForWavesPerEU: 23
; NumVGPRsForWavesPerEU: 50
; Occupancy: 16
; WaveLimiterHint : 0
; COMPUTE_PGM_RSRC2:SCRATCH_EN: 0
; COMPUTE_PGM_RSRC2:USER_SGPR: 15
; COMPUTE_PGM_RSRC2:TRAP_HANDLER: 0
; COMPUTE_PGM_RSRC2:TGID_X_EN: 1
; COMPUTE_PGM_RSRC2:TGID_Y_EN: 0
; COMPUTE_PGM_RSRC2:TGID_Z_EN: 0
; COMPUTE_PGM_RSRC2:TIDIG_COMP_CNT: 0
	.section	.text._ZN12tensorrt_llm7kernels32fusedQKNormRopeKernelNTokenHeadsIN3c108BFloat16EfLi256ELb0ELi2EEEvPviiifPKvS6_S6_PKlii,"axG",@progbits,_ZN12tensorrt_llm7kernels32fusedQKNormRopeKernelNTokenHeadsIN3c108BFloat16EfLi256ELb0ELi2EEEvPviiifPKvS6_S6_PKlii,comdat
	.protected	_ZN12tensorrt_llm7kernels32fusedQKNormRopeKernelNTokenHeadsIN3c108BFloat16EfLi256ELb0ELi2EEEvPviiifPKvS6_S6_PKlii ; -- Begin function _ZN12tensorrt_llm7kernels32fusedQKNormRopeKernelNTokenHeadsIN3c108BFloat16EfLi256ELb0ELi2EEEvPviiifPKvS6_S6_PKlii
	.globl	_ZN12tensorrt_llm7kernels32fusedQKNormRopeKernelNTokenHeadsIN3c108BFloat16EfLi256ELb0ELi2EEEvPviiifPKvS6_S6_PKlii
	.p2align	8
	.type	_ZN12tensorrt_llm7kernels32fusedQKNormRopeKernelNTokenHeadsIN3c108BFloat16EfLi256ELb0ELi2EEEvPviiifPKvS6_S6_PKlii,@function
_ZN12tensorrt_llm7kernels32fusedQKNormRopeKernelNTokenHeadsIN3c108BFloat16EfLi256ELb0ELi2EEEvPviiifPKvS6_S6_PKlii: ; @_ZN12tensorrt_llm7kernels32fusedQKNormRopeKernelNTokenHeadsIN3c108BFloat16EfLi256ELb0ELi2EEEvPviiifPKvS6_S6_PKlii
; %bb.0:
	s_clause 0x1
	s_load_b128 s[16:19], s[0:1], 0x8
	s_load_b64 s[2:3], s[0:1], 0x38
	v_lshrrev_b32_e32 v2, 5, v0
	s_waitcnt lgkmcnt(0)
	s_add_i32 s4, s17, s16
	s_delay_alu instid0(SALU_CYCLE_1) | instskip(NEXT) | instid1(SALU_CYCLE_1)
	s_add_i32 s5, s4, 1
	s_lshr_b32 s6, s5, 31
	s_delay_alu instid0(SALU_CYCLE_1) | instskip(NEXT) | instid1(SALU_CYCLE_1)
	s_add_i32 s5, s5, s6
	s_ashr_i32 s14, s5, 1
	s_load_b32 s5, s[0:1], 0x4c
	s_abs_i32 s6, s14
	s_delay_alu instid0(SALU_CYCLE_1) | instskip(SKIP_1) | instid1(VALU_DEP_1)
	v_cvt_f32_u32_e32 v1, s6
	s_sub_i32 s7, 0, s6
	v_rcp_iflag_f32_e32 v1, v1
	s_waitcnt_depctr 0xfff
	v_mul_f32_e32 v1, 0x4f7ffffe, v1
	s_waitcnt lgkmcnt(0)
	s_bfe_u32 s5, s5, 0xb0005
	s_delay_alu instid0(SALU_CYCLE_1) | instskip(NEXT) | instid1(VALU_DEP_2)
	v_mad_u64_u32 v[3:4], null, s15, s5, v[2:3]
	v_cvt_u32_f32_e32 v1, v1
	s_delay_alu instid0(VALU_DEP_1) | instskip(NEXT) | instid1(VALU_DEP_1)
	v_mul_lo_u32 v5, s7, v1
	v_mul_hi_u32 v4, v1, v5
	s_delay_alu instid0(VALU_DEP_4) | instskip(NEXT) | instid1(VALU_DEP_1)
	v_sub_nc_u32_e32 v5, 0, v3
	v_max_i32_e32 v5, v3, v5
	s_delay_alu instid0(VALU_DEP_3) | instskip(NEXT) | instid1(VALU_DEP_1)
	v_add_nc_u32_e32 v1, v1, v4
	v_mul_hi_u32 v1, v5, v1
	s_delay_alu instid0(VALU_DEP_1) | instskip(NEXT) | instid1(VALU_DEP_1)
	v_mul_lo_u32 v4, v1, s6
	v_sub_nc_u32_e32 v4, v5, v4
	v_add_nc_u32_e32 v5, 1, v1
	s_delay_alu instid0(VALU_DEP_2) | instskip(SKIP_1) | instid1(VALU_DEP_2)
	v_subrev_nc_u32_e32 v6, s6, v4
	v_cmp_le_u32_e32 vcc_lo, s6, v4
	v_dual_cndmask_b32 v4, v4, v6 :: v_dual_cndmask_b32 v1, v1, v5
	v_xor_b32_e32 v5, s14, v3
	s_delay_alu instid0(VALU_DEP_2) | instskip(NEXT) | instid1(VALU_DEP_3)
	v_cmp_le_u32_e32 vcc_lo, s6, v4
	v_add_nc_u32_e32 v6, 1, v1
	s_delay_alu instid0(VALU_DEP_3) | instskip(NEXT) | instid1(VALU_DEP_2)
	v_ashrrev_i32_e32 v5, 31, v5
	v_cndmask_b32_e32 v1, v1, v6, vcc_lo
	s_delay_alu instid0(VALU_DEP_1) | instskip(NEXT) | instid1(VALU_DEP_1)
	v_xor_b32_e32 v1, v1, v5
	v_sub_nc_u32_e32 v1, v1, v5
	s_delay_alu instid0(VALU_DEP_1)
	v_cmp_gt_i32_e32 vcc_lo, s2, v1
	s_and_saveexec_b32 s2, vcc_lo
	s_cbranch_execz .LBB83_44
; %bb.1:
	v_mul_lo_u32 v4, v1, s14
	s_load_b64 s[12:13], s[0:1], 0x0
	v_and_b32_e32 v6, 31, v0
	v_lshlrev_b32_e32 v16, 10, v2
	v_lshlrev_b32_e32 v7, 9, v3
	s_lshl_b32 s20, s3, 2
	s_delay_alu instid0(SALU_CYCLE_1) | instskip(NEXT) | instid1(VALU_DEP_4)
	s_mul_i32 s15, s20, s5
	v_sub_nc_u32_e32 v4, v3, v4
	s_delay_alu instid0(VALU_DEP_1) | instskip(NEXT) | instid1(VALU_DEP_1)
	v_lshlrev_b32_e32 v18, 1, v4
	v_add_nc_u32_e32 v4, 2, v18
	v_sub_nc_u32_e32 v5, s4, v18
	s_delay_alu instid0(VALU_DEP_2) | instskip(NEXT) | instid1(VALU_DEP_2)
	v_cmp_lt_i32_e32 vcc_lo, s4, v4
	v_cndmask_b32_e32 v19, 2, v5, vcc_lo
	v_lshlrev_b32_e32 v5, 4, v6
	s_delay_alu instid0(VALU_DEP_2)
	v_cmp_lt_i32_e32 vcc_lo, 0, v19
	s_and_saveexec_b32 s4, vcc_lo
	s_cbranch_execz .LBB83_4
; %bb.2:
	s_add_i32 s2, s18, s17
	s_lshl_b32 s5, s14, 1
	s_add_i32 s2, s2, s16
	s_mov_b32 s6, 0
	s_sub_i32 s2, s2, s5
	s_mov_b32 s5, 0
	v_mul_lo_u32 v3, s2, v1
	s_add_i32 s2, s15, 0
	s_delay_alu instid0(SALU_CYCLE_1) | instskip(NEXT) | instid1(VALU_DEP_2)
	v_add3_u32 v8, s2, v16, v5
	v_lshl_add_u32 v3, v3, 8, v7
	s_delay_alu instid0(VALU_DEP_1)
	v_lshl_or_b32 v3, v6, 3, v3
	.p2align	6
.LBB83_3:                               ; =>This Inner Loop Header: Depth=1
	s_delay_alu instid0(VALU_DEP_1) | instskip(SKIP_1) | instid1(VALU_DEP_1)
	v_ashrrev_i32_e32 v4, 31, v3
	s_add_i32 s6, s6, 1
	v_lshlrev_b64 v[9:10], 1, v[3:4]
	v_add_nc_u32_e32 v3, 0x100, v3
	s_waitcnt lgkmcnt(0)
	s_delay_alu instid0(VALU_DEP_2) | instskip(NEXT) | instid1(VALU_DEP_1)
	v_add_co_u32 v9, s2, s12, v9
	v_add_co_ci_u32_e64 v10, s2, s13, v10, s2
	v_cmp_ge_i32_e64 s2, s6, v19
	global_load_b128 v[9:12], v[9:10], off
	s_or_b32 s5, s2, s5
	s_waitcnt vmcnt(0)
	ds_store_b128 v8, v[9:12]
	v_add_nc_u32_e32 v8, 0x200, v8
	s_and_not1_b32 exec_lo, exec_lo, s5
	s_cbranch_execnz .LBB83_3
.LBB83_4:
	s_or_b32 exec_lo, exec_lo, s4
	s_load_b256 s[4:11], s[0:1], 0x18
	s_add_i32 s0, s20, 15
	v_mul_lo_u32 v4, v2, s3
	s_ashr_i32 s1, s0, 31
	s_mov_b32 s20, exec_lo
	s_lshr_b32 s1, s1, 28
	s_delay_alu instid0(SALU_CYCLE_1) | instskip(NEXT) | instid1(SALU_CYCLE_1)
	s_add_i32 s0, s0, s1
	s_ashr_i32 s2, s0, 4
	s_delay_alu instid0(SALU_CYCLE_1)
	v_cmpx_gt_i32_e64 s2, v6
	s_cbranch_execz .LBB83_7
; %bb.5:
	v_ashrrev_i32_e32 v2, 31, v1
	v_and_b32_e32 v0, 31, v0
	s_delay_alu instid0(VALU_DEP_2) | instskip(NEXT) | instid1(VALU_DEP_2)
	v_lshlrev_b64 v[2:3], 3, v[1:2]
	v_lshlrev_b32_e32 v0, 4, v0
	s_waitcnt lgkmcnt(0)
	s_delay_alu instid0(VALU_DEP_2) | instskip(NEXT) | instid1(VALU_DEP_1)
	v_add_co_u32 v2, s0, s10, v2
	v_add_co_ci_u32_e64 v3, s0, s11, v3, s0
	s_ashr_i32 s0, s3, 31
	global_load_b64 v[2:3], v[2:3], off
	s_waitcnt vmcnt(0)
	v_mul_lo_u32 v3, v3, s3
	v_mul_lo_u32 v10, v2, s0
	v_mad_u64_u32 v[8:9], null, v2, s3, 0
	s_delay_alu instid0(VALU_DEP_1) | instskip(NEXT) | instid1(VALU_DEP_1)
	v_add3_u32 v9, v9, v10, v3
	v_lshlrev_b64 v[2:3], 2, v[8:9]
	v_lshlrev_b32_e32 v8, 2, v4
	s_delay_alu instid0(VALU_DEP_2) | instskip(NEXT) | instid1(VALU_DEP_1)
	v_add_co_u32 v2, s0, v2, v0
	v_add_co_ci_u32_e64 v3, s0, 0, v3, s0
	s_delay_alu instid0(VALU_DEP_3) | instskip(NEXT) | instid1(VALU_DEP_3)
	v_add3_u32 v0, v8, v5, 0
	v_add_co_u32 v2, s0, s8, v2
	s_delay_alu instid0(VALU_DEP_1)
	v_add_co_ci_u32_e64 v3, s0, s9, v3, s0
	v_mov_b32_e32 v8, v6
	s_mov_b32 s8, 0
	.p2align	6
.LBB83_6:                               ; =>This Inner Loop Header: Depth=1
	global_load_b128 v[9:12], v[2:3], off
	v_add_nc_u32_e32 v8, 32, v8
	v_add_co_u32 v2, s0, 0x200, v2
	s_delay_alu instid0(VALU_DEP_1) | instskip(NEXT) | instid1(VALU_DEP_3)
	v_add_co_ci_u32_e64 v3, s0, 0, v3, s0
	v_cmp_le_i32_e64 s1, s2, v8
	s_delay_alu instid0(VALU_DEP_1)
	s_or_b32 s8, s1, s8
	s_waitcnt vmcnt(0)
	ds_store_b128 v0, v[9:12]
	v_add_nc_u32_e32 v0, 0x200, v0
	s_and_not1_b32 exec_lo, exec_lo, s8
	s_cbranch_execnz .LBB83_6
.LBB83_7:
	s_or_b32 exec_lo, exec_lo, s20
	s_delay_alu instid0(SALU_CYCLE_1)
	s_and_b32 exec_lo, exec_lo, vcc_lo
	s_cbranch_execz .LBB83_44
; %bb.8:
	s_waitcnt lgkmcnt(0)
	s_clause 0x1
	global_load_b128 v[8:11], v5, s[4:5]
	global_load_b128 v[12:15], v5, s[6:7]
	v_mbcnt_lo_u32_b32 v2, -1, 0
	s_lshr_b32 s0, s3, 31
	s_ashr_i32 s1, s3, 31
	s_abs_i32 s2, s3
	s_add_i32 s0, s3, s0
	s_lshr_b32 s6, s1, 29
	s_lshr_b32 s1, s1, 28
	v_lshl_add_u32 v0, v4, 2, 0
	v_add_nc_u32_e32 v50, s15, v16
	v_cvt_f32_u32_e32 v16, s2
	v_xor_b32_e32 v20, 16, v2
	s_lshl_b32 s0, s0, 1
	s_add_i32 s1, s3, s1
	s_and_b32 s0, s0, -4
	s_ashr_i32 s1, s1, 4
	v_rcp_iflag_f32_e32 v16, v16
	v_xor_b32_e32 v21, 8, v2
	v_add_nc_u32_e32 v41, s0, v0
	v_xor_b32_e32 v25, s1, v2
	v_cmp_gt_i32_e64 s0, s1, v6
	v_cmp_gt_i32_e64 s1, 32, v20
	v_xor_b32_e32 v22, 4, v2
	s_sub_i32 s7, 0, s2
	v_xor_b32_e32 v23, 2, v2
	s_add_i32 s4, s18, s17
	v_cndmask_b32_e64 v20, v2, v20, s1
	v_cmp_gt_i32_e64 s1, 32, v21
	s_lshl_b32 s5, s14, 1
	s_add_i32 s4, s4, s16
	s_add_i32 s6, s3, s6
	s_sub_i32 s3, s4, s5
	v_cndmask_b32_e64 v21, v2, v21, s1
	v_mul_f32_e32 v16, 0x4f7ffffe, v16
	v_cmp_gt_i32_e64 s1, 32, v22
	v_xor_b32_e32 v24, 1, v2
	v_mul_lo_u32 v1, s3, v1
	v_lshlrev_b32_e32 v21, 2, v21
	v_cvt_u32_f32_e32 v16, v16
	v_cndmask_b32_e64 v22, v2, v22, s1
	v_cmp_gt_i32_e64 s1, 32, v23
	v_or_b32_e32 v3, 2, v5
	v_or_b32_e32 v4, 4, v5
	v_mul_lo_u32 v30, s7, v16
	v_lshl_add_u32 v1, v1, 8, v7
	v_cndmask_b32_e64 v23, v2, v23, s1
	v_cmp_gt_i32_e64 s1, 32, v24
	v_or_b32_e32 v17, 6, v5
	v_or_b32_e32 v27, 10, v5
	s_ashr_i32 s4, s6, 3
	v_or_b32_e32 v26, 8, v5
	v_mul_hi_u32 v30, v16, v30
	v_cndmask_b32_e64 v24, v2, v24, s1
	v_cmp_gt_i32_e64 s1, 32, v25
	v_or_b32_e32 v28, 12, v5
	v_cmp_gt_i32_e32 vcc_lo, s4, v6
	v_or_b32_e32 v29, 14, v5
	v_lshlrev_b32_e32 v20, 2, v20
	v_cndmask_b32_e64 v2, v2, v25, s1
	v_add_nc_u32_e32 v7, v16, v30
	v_lshl_or_b32 v16, v6, 3, v1
	v_lshlrev_b32_e32 v22, 2, v22
	v_lshlrev_b32_e32 v23, 2, v23
	;; [unrolled: 1-line block ×3, first 2 shown]
	v_mul_hi_u32 v1, v5, v7
	v_mul_hi_u32 v2, v3, v7
	;; [unrolled: 1-line block ×8, first 2 shown]
	v_mul_lo_u32 v1, v1, s2
	v_mul_lo_u32 v2, v2, s2
	;; [unrolled: 1-line block ×8, first 2 shown]
	v_sub_nc_u32_e32 v1, v5, v1
	v_sub_nc_u32_e32 v2, v3, v2
	;; [unrolled: 1-line block ×5, first 2 shown]
	v_subrev_nc_u32_e32 v27, s2, v1
	v_cmp_le_u32_e64 s1, s2, v1
	v_sub_nc_u32_e32 v6, v26, v31
	v_sub_nc_u32_e32 v26, v28, v33
	v_subrev_nc_u32_e32 v28, s2, v2
	v_sub_nc_u32_e32 v7, v29, v7
	v_cndmask_b32_e64 v1, v1, v27, s1
	v_cmp_le_u32_e64 s1, s2, v2
	v_subrev_nc_u32_e32 v29, s2, v3
	v_subrev_nc_u32_e32 v30, s2, v4
	;; [unrolled: 1-line block ×4, first 2 shown]
	v_cndmask_b32_e64 v2, v2, v28, s1
	v_cmp_le_u32_e64 s1, s2, v3
	v_subrev_nc_u32_e32 v33, s2, v26
	v_subrev_nc_u32_e32 v34, s2, v7
	;; [unrolled: 1-line block ×4, first 2 shown]
	v_cndmask_b32_e64 v3, v3, v29, s1
	v_cmp_le_u32_e64 s1, s2, v4
	v_lshlrev_b32_e32 v24, 2, v24
	v_add3_u32 v50, v50, v5, 0
	s_mov_b32 s3, 0
	v_subrev_nc_u32_e32 v29, s2, v3
	v_cndmask_b32_e64 v4, v4, v30, s1
	v_cmp_le_u32_e64 s1, s2, v6
	s_mov_b32 s4, 0
	s_delay_alu instid0(VALU_DEP_2) | instskip(NEXT) | instid1(VALU_DEP_2)
	v_subrev_nc_u32_e32 v30, s2, v4
	v_cndmask_b32_e64 v6, v6, v31, s1
	v_cmp_le_u32_e64 s1, s2, v17
	s_delay_alu instid0(VALU_DEP_2) | instskip(NEXT) | instid1(VALU_DEP_2)
	v_subrev_nc_u32_e32 v31, s2, v6
	v_cndmask_b32_e64 v17, v17, v32, s1
	v_cmp_le_u32_e64 s1, s2, v26
	;; [unrolled: 4-line block ×5, first 2 shown]
	s_delay_alu instid0(VALU_DEP_2) | instskip(NEXT) | instid1(VALU_DEP_2)
	v_lshlrev_b32_e32 v1, 1, v1
	v_cndmask_b32_e64 v2, v2, v28, s1
	v_cmp_le_u32_e64 s1, s2, v3
	s_delay_alu instid0(VALU_DEP_3) | instskip(NEXT) | instid1(VALU_DEP_3)
	v_and_b32_e32 v1, -4, v1
	v_lshlrev_b32_e32 v2, 1, v2
	s_delay_alu instid0(VALU_DEP_3) | instskip(SKIP_1) | instid1(VALU_DEP_4)
	v_cndmask_b32_e64 v3, v3, v29, s1
	v_cmp_le_u32_e64 s1, s2, v4
	v_add_nc_u32_e32 v27, v41, v1
	s_delay_alu instid0(VALU_DEP_4) | instskip(NEXT) | instid1(VALU_DEP_4)
	v_and_b32_e32 v2, -4, v2
	v_lshlrev_b32_e32 v3, 1, v3
	s_delay_alu instid0(VALU_DEP_4) | instskip(SKIP_1) | instid1(VALU_DEP_4)
	v_cndmask_b32_e64 v4, v4, v30, s1
	v_cmp_le_u32_e64 s1, s2, v6
	v_add_nc_u32_e32 v28, v0, v2
	s_delay_alu instid0(VALU_DEP_4) | instskip(NEXT) | instid1(VALU_DEP_4)
	v_and_b32_e32 v3, -4, v3
	v_lshlrev_b32_e32 v4, 1, v4
	s_delay_alu instid0(VALU_DEP_4)
	v_cndmask_b32_e64 v6, v6, v31, s1
	v_cmp_le_u32_e64 s1, s2, v17
	v_add_nc_u32_e32 v29, v41, v2
	v_add_nc_u32_e32 v30, v0, v3
	v_and_b32_e32 v4, -4, v4
	v_lshlrev_b32_e32 v6, 1, v6
	v_cndmask_b32_e64 v17, v17, v32, s1
	v_cmp_le_u32_e64 s1, s2, v26
	v_add_nc_u32_e32 v31, v41, v3
	v_add_nc_u32_e32 v32, v0, v4
	v_and_b32_e32 v6, -4, v6
	v_lshlrev_b32_e32 v17, 1, v17
	;; [unrolled: 6-line block ×3, first 2 shown]
	v_cndmask_b32_e64 v7, v7, v34, s1
	v_add_nc_u32_e32 v34, v0, v6
	s_delay_alu instid0(VALU_DEP_4) | instskip(NEXT) | instid1(VALU_DEP_4)
	v_add_nc_u32_e32 v36, v0, v17
	v_and_b32_e32 v39, -4, v26
	s_delay_alu instid0(VALU_DEP_4) | instskip(SKIP_2) | instid1(VALU_DEP_4)
	v_lshlrev_b32_e32 v7, 1, v7
	v_add_nc_u32_e32 v26, v0, v1
	v_add_nc_u32_e32 v37, v41, v17
	;; [unrolled: 1-line block ×3, first 2 shown]
	s_delay_alu instid0(VALU_DEP_4) | instskip(SKIP_1) | instid1(VALU_DEP_2)
	v_and_b32_e32 v7, -4, v7
	v_add_nc_u32_e32 v39, v41, v39
	v_add_nc_u32_e32 v40, v0, v7
	;; [unrolled: 1-line block ×3, first 2 shown]
	s_waitcnt vmcnt(1)
	v_lshrrev_b32_e32 v42, 16, v8
	v_lshrrev_b32_e32 v43, 16, v9
	;; [unrolled: 1-line block ×4, first 2 shown]
	s_waitcnt vmcnt(0)
	v_lshrrev_b32_e32 v46, 16, v12
	v_lshrrev_b32_e32 v47, 16, v13
	;; [unrolled: 1-line block ×4, first 2 shown]
	s_branch .LBB83_10
.LBB83_9:                               ;   in Loop: Header=BB83_10 Depth=1
	s_or_b32 exec_lo, exec_lo, s2
	v_ashrrev_i32_e32 v17, 31, v16
	s_add_i32 s4, s4, 1
	v_perm_b32 v3, v58, v57, 0x7060302
	v_cmp_ge_i32_e64 s1, s4, v19
	v_perm_b32 v2, v56, v55, 0x7060302
	v_lshlrev_b64 v[4:5], 1, v[16:17]
	v_perm_b32 v1, v54, v53, 0x7060302
	v_perm_b32 v0, v52, v51, 0x7060302
	v_add_nc_u32_e32 v16, 0x100, v16
	v_add_nc_u32_e32 v50, 0x200, v50
	s_or_b32 s3, s1, s3
	v_add_co_u32 v4, s2, s12, v4
	s_delay_alu instid0(VALU_DEP_1)
	v_add_co_ci_u32_e64 v5, s2, s13, v5, s2
	global_store_b128 v[4:5], v[0:3], off
	s_and_not1_b32 exec_lo, exec_lo, s3
	s_cbranch_execz .LBB83_44
.LBB83_10:                              ; =>This Inner Loop Header: Depth=1
	ds_load_b128 v[0:3], v50
	s_waitcnt lgkmcnt(0)
	v_lshlrev_b32_e32 v6, 16, v1
	v_and_b32_e32 v4, 0xffff0000, v0
	v_and_b32_e32 v7, 0xffff0000, v1
	v_lshlrev_b32_e32 v0, 16, v0
	v_and_b32_e32 v53, 0xffff0000, v3
	s_delay_alu instid0(VALU_DEP_4) | instskip(SKIP_2) | instid1(VALU_DEP_3)
	v_dual_mul_f32 v5, v4, v4 :: v_dual_lshlrev_b32 v52, 16, v3
	v_add_nc_u32_e32 v3, s4, v18
	v_lshlrev_b32_e32 v17, 16, v2
	v_fmac_f32_e32 v5, v0, v0
	s_delay_alu instid0(VALU_DEP_3) | instskip(NEXT) | instid1(VALU_DEP_2)
	v_cmp_gt_i32_e64 s2, s16, v3
	v_fmac_f32_e32 v5, v6, v6
	s_delay_alu instid0(VALU_DEP_2) | instskip(SKIP_3) | instid1(VALU_DEP_4)
	v_cndmask_b32_e64 v56, v48, v44, s2
	v_cndmask_b32_e64 v54, v47, v43, s2
	;; [unrolled: 1-line block ×4, first 2 shown]
	v_dual_fmac_f32 v5, v7, v7 :: v_dual_lshlrev_b32 v56, 16, v56
	v_and_b32_e32 v51, 0xffff0000, v2
	v_cndmask_b32_e64 v55, v14, v10, s2
	v_cndmask_b32_e64 v57, v15, v11, s2
	s_delay_alu instid0(VALU_DEP_4) | instskip(NEXT) | instid1(VALU_DEP_2)
	v_dual_fmac_f32 v5, v17, v17 :: v_dual_lshlrev_b32 v54, 16, v54
	v_lshlrev_b32_e32 v57, 16, v57
	s_delay_alu instid0(VALU_DEP_2) | instskip(NEXT) | instid1(VALU_DEP_1)
	v_fmac_f32_e32 v5, v51, v51
	v_fmac_f32_e32 v5, v52, v52
	s_delay_alu instid0(VALU_DEP_1)
	v_fmac_f32_e32 v5, v53, v53
	ds_bpermute_b32 v1, v20, v5
	s_waitcnt lgkmcnt(0)
	v_add_f32_e32 v1, v5, v1
	v_cndmask_b32_e64 v5, v13, v9, s2
	ds_bpermute_b32 v2, v21, v1
	v_lshlrev_b32_e32 v5, 16, v5
	s_waitcnt lgkmcnt(0)
	v_add_f32_e32 v1, v1, v2
	ds_bpermute_b32 v2, v22, v1
	s_waitcnt lgkmcnt(0)
	v_add_f32_e32 v1, v1, v2
	ds_bpermute_b32 v2, v23, v1
	s_waitcnt lgkmcnt(0)
	v_add_f32_e32 v1, v1, v2
	ds_bpermute_b32 v2, v24, v1
	s_waitcnt lgkmcnt(0)
	v_add_f32_e32 v1, v1, v2
	s_delay_alu instid0(VALU_DEP_1) | instskip(NEXT) | instid1(VALU_DEP_1)
	v_fma_f32 v1, 0x3b800000, v1, s19
	v_mul_f32_e32 v2, 0x4b800000, v1
	v_cmp_gt_f32_e64 s1, 0x800000, v1
	s_delay_alu instid0(VALU_DEP_1) | instskip(SKIP_1) | instid1(VALU_DEP_2)
	v_cndmask_b32_e64 v1, v1, v2, s1
	v_cndmask_b32_e64 v2, v12, v8, s2
	v_rsq_f32_e32 v1, v1
	s_delay_alu instid0(VALU_DEP_1) | instskip(SKIP_2) | instid1(VALU_DEP_1)
	v_lshlrev_b32_e32 v2, 16, v2
	s_waitcnt_depctr 0xfff
	v_mul_f32_e32 v58, 0x45800000, v1
	v_cndmask_b32_e64 v1, v1, v58, s1
	v_lshlrev_b32_e32 v58, 16, v59
	s_delay_alu instid0(VALU_DEP_2) | instskip(NEXT) | instid1(VALU_DEP_2)
	v_dual_mul_f32 v2, v1, v2 :: v_dual_lshlrev_b32 v3, 16, v3
	v_mul_f32_e32 v58, v1, v58
	v_mul_f32_e32 v5, v1, v5
	v_lshlrev_b32_e32 v55, 16, v55
	s_delay_alu instid0(VALU_DEP_4)
	v_mul_f32_e32 v3, v1, v3
	v_mul_f32_e32 v54, v1, v54
	;; [unrolled: 1-line block ×3, first 2 shown]
	v_dual_mul_f32 v57, v1, v57 :: v_dual_mul_f32 v0, v2, v0
	v_mul_f32_e32 v2, v5, v6
	v_mul_f32_e32 v55, v1, v55
	;; [unrolled: 1-line block ×4, first 2 shown]
	v_dual_mul_f32 v5, v56, v51 :: v_dual_mul_f32 v6, v57, v52
	s_delay_alu instid0(VALU_DEP_4)
	v_mul_f32_e32 v4, v55, v17
	v_mul_f32_e32 v7, v58, v53
	s_and_saveexec_b32 s1, vcc_lo
	s_cbranch_execz .LBB83_12
; %bb.11:                               ;   in Loop: Header=BB83_10 Depth=1
	ds_bpermute_b32 v17, v25, v0
	ds_bpermute_b32 v51, v25, v1
	;; [unrolled: 1-line block ×3, first 2 shown]
	; wave barrier
	ds_load_b32 v55, v26
	ds_load_b32 v53, v27
	;; [unrolled: 1-line block ×8, first 2 shown]
	ds_bpermute_b32 v63, v25, v5
	ds_bpermute_b32 v54, v25, v3
	;; [unrolled: 1-line block ×5, first 2 shown]
	ds_load_b32 v68, v34
	ds_load_b32 v69, v35
	;; [unrolled: 1-line block ×8, first 2 shown]
	; wave barrier
	s_waitcnt lgkmcnt(23)
	v_cndmask_b32_e64 v17, v17, -v17, s0
	s_waitcnt lgkmcnt(22)
	v_cndmask_b32_e64 v66, v51, -v51, s0
	;; [unrolled: 2-line block ×3, first 2 shown]
	s_waitcnt lgkmcnt(19)
	v_mul_f32_e32 v51, v17, v53
	s_waitcnt lgkmcnt(15)
	s_delay_alu instid0(VALU_DEP_2) | instskip(SKIP_2) | instid1(VALU_DEP_2)
	v_dual_mul_f32 v52, v66, v57 :: v_dual_mul_f32 v53, v67, v59
	s_waitcnt lgkmcnt(9)
	v_cndmask_b32_e64 v17, v64, -v64, s0
	v_dual_fmac_f32 v52, v1, v56 :: v_dual_fmac_f32 v53, v2, v58
	v_cndmask_b32_e64 v2, v63, -v63, s0
	v_cndmask_b32_e64 v1, v62, -v62, s0
	s_waitcnt lgkmcnt(8)
	v_cndmask_b32_e64 v58, v65, -v65, s0
	s_waitcnt lgkmcnt(3)
	v_dual_mul_f32 v57, v17, v72 :: v_dual_mul_f32 v56, v2, v71
	s_waitcnt lgkmcnt(2)
	s_delay_alu instid0(VALU_DEP_2)
	v_dual_fmac_f32 v51, v0, v55 :: v_dual_mul_f32 v58, v58, v73
	v_cndmask_b32_e64 v0, v54, -v54, s0
	s_waitcnt lgkmcnt(1)
	v_fmac_f32_e32 v57, v6, v74
	v_fmac_f32_e32 v56, v5, v70
	s_waitcnt lgkmcnt(0)
	v_fmac_f32_e32 v58, v7, v75
	v_mul_f32_e32 v54, v0, v61
	s_delay_alu instid0(VALU_DEP_1) | instskip(NEXT) | instid1(VALU_DEP_1)
	v_dual_mul_f32 v55, v1, v69 :: v_dual_fmac_f32 v54, v3, v60
	v_fmac_f32_e32 v55, v4, v68
	v_dual_mov_b32 v0, v51 :: v_dual_mov_b32 v1, v52
	s_delay_alu instid0(VALU_DEP_3) | instskip(NEXT) | instid1(VALU_DEP_3)
	v_dual_mov_b32 v2, v53 :: v_dual_mov_b32 v3, v54
	v_dual_mov_b32 v4, v55 :: v_dual_mov_b32 v5, v56
	;; [unrolled: 1-line block ×3, first 2 shown]
.LBB83_12:                              ;   in Loop: Header=BB83_10 Depth=1
	s_or_b32 exec_lo, exec_lo, s1
	v_and_b32_e32 v17, 0x7f800000, v0
                                        ; implicit-def: $vgpr51
	s_delay_alu instid0(VALU_DEP_1) | instskip(NEXT) | instid1(VALU_DEP_1)
	v_cmp_ne_u32_e64 s1, 0x7f800000, v17
	s_and_saveexec_b32 s2, s1
	s_delay_alu instid0(SALU_CYCLE_1)
	s_xor_b32 s1, exec_lo, s2
; %bb.13:                               ;   in Loop: Header=BB83_10 Depth=1
	v_bfe_u32 v17, v0, 16, 1
	s_delay_alu instid0(VALU_DEP_1)
	v_add3_u32 v51, v0, v17, 0x7fff
; %bb.14:                               ;   in Loop: Header=BB83_10 Depth=1
	s_and_not1_saveexec_b32 s2, s1
; %bb.15:                               ;   in Loop: Header=BB83_10 Depth=1
	v_and_b32_e32 v17, 0xffff, v0
	v_or_b32_e32 v51, 0x10000, v0
	s_delay_alu instid0(VALU_DEP_2) | instskip(NEXT) | instid1(VALU_DEP_1)
	v_cmp_eq_u32_e64 s1, 0, v17
	v_cndmask_b32_e64 v51, v51, v0, s1
; %bb.16:                               ;   in Loop: Header=BB83_10 Depth=1
	s_or_b32 exec_lo, exec_lo, s2
	v_and_b32_e32 v0, 0x7f800000, v1
                                        ; implicit-def: $vgpr52
	s_delay_alu instid0(VALU_DEP_1) | instskip(NEXT) | instid1(VALU_DEP_1)
	v_cmp_ne_u32_e64 s1, 0x7f800000, v0
	s_and_saveexec_b32 s2, s1
	s_delay_alu instid0(SALU_CYCLE_1)
	s_xor_b32 s1, exec_lo, s2
; %bb.17:                               ;   in Loop: Header=BB83_10 Depth=1
	v_bfe_u32 v0, v1, 16, 1
	s_delay_alu instid0(VALU_DEP_1)
	v_add3_u32 v52, v1, v0, 0x7fff
; %bb.18:                               ;   in Loop: Header=BB83_10 Depth=1
	s_and_not1_saveexec_b32 s2, s1
; %bb.19:                               ;   in Loop: Header=BB83_10 Depth=1
	v_and_b32_e32 v0, 0xffff, v1
	v_or_b32_e32 v17, 0x10000, v1
	s_delay_alu instid0(VALU_DEP_2) | instskip(NEXT) | instid1(VALU_DEP_1)
	v_cmp_eq_u32_e64 s1, 0, v0
	v_cndmask_b32_e64 v52, v17, v1, s1
; %bb.20:                               ;   in Loop: Header=BB83_10 Depth=1
	s_or_b32 exec_lo, exec_lo, s2
	v_and_b32_e32 v0, 0x7f800000, v2
                                        ; implicit-def: $vgpr53
	s_delay_alu instid0(VALU_DEP_1) | instskip(NEXT) | instid1(VALU_DEP_1)
	v_cmp_ne_u32_e64 s1, 0x7f800000, v0
	s_and_saveexec_b32 s2, s1
	s_delay_alu instid0(SALU_CYCLE_1)
	s_xor_b32 s1, exec_lo, s2
; %bb.21:                               ;   in Loop: Header=BB83_10 Depth=1
	v_bfe_u32 v0, v2, 16, 1
	s_delay_alu instid0(VALU_DEP_1)
	v_add3_u32 v53, v2, v0, 0x7fff
; %bb.22:                               ;   in Loop: Header=BB83_10 Depth=1
	s_and_not1_saveexec_b32 s2, s1
; %bb.23:                               ;   in Loop: Header=BB83_10 Depth=1
	v_and_b32_e32 v0, 0xffff, v2
	v_or_b32_e32 v1, 0x10000, v2
	s_delay_alu instid0(VALU_DEP_2) | instskip(NEXT) | instid1(VALU_DEP_1)
	v_cmp_eq_u32_e64 s1, 0, v0
	v_cndmask_b32_e64 v53, v1, v2, s1
; %bb.24:                               ;   in Loop: Header=BB83_10 Depth=1
	s_or_b32 exec_lo, exec_lo, s2
	v_and_b32_e32 v0, 0x7f800000, v3
                                        ; implicit-def: $vgpr54
	s_delay_alu instid0(VALU_DEP_1) | instskip(NEXT) | instid1(VALU_DEP_1)
	v_cmp_ne_u32_e64 s1, 0x7f800000, v0
	s_and_saveexec_b32 s2, s1
	s_delay_alu instid0(SALU_CYCLE_1)
	s_xor_b32 s1, exec_lo, s2
; %bb.25:                               ;   in Loop: Header=BB83_10 Depth=1
	v_bfe_u32 v0, v3, 16, 1
	s_delay_alu instid0(VALU_DEP_1)
	v_add3_u32 v54, v3, v0, 0x7fff
; %bb.26:                               ;   in Loop: Header=BB83_10 Depth=1
	s_and_not1_saveexec_b32 s2, s1
; %bb.27:                               ;   in Loop: Header=BB83_10 Depth=1
	v_and_b32_e32 v0, 0xffff, v3
	v_or_b32_e32 v1, 0x10000, v3
	s_delay_alu instid0(VALU_DEP_2) | instskip(NEXT) | instid1(VALU_DEP_1)
	v_cmp_eq_u32_e64 s1, 0, v0
	v_cndmask_b32_e64 v54, v1, v3, s1
; %bb.28:                               ;   in Loop: Header=BB83_10 Depth=1
	s_or_b32 exec_lo, exec_lo, s2
	v_and_b32_e32 v0, 0x7f800000, v4
                                        ; implicit-def: $vgpr55
	s_delay_alu instid0(VALU_DEP_1) | instskip(NEXT) | instid1(VALU_DEP_1)
	v_cmp_ne_u32_e64 s1, 0x7f800000, v0
	s_and_saveexec_b32 s2, s1
	s_delay_alu instid0(SALU_CYCLE_1)
	s_xor_b32 s1, exec_lo, s2
; %bb.29:                               ;   in Loop: Header=BB83_10 Depth=1
	v_bfe_u32 v0, v4, 16, 1
	s_delay_alu instid0(VALU_DEP_1)
	v_add3_u32 v55, v4, v0, 0x7fff
; %bb.30:                               ;   in Loop: Header=BB83_10 Depth=1
	s_and_not1_saveexec_b32 s2, s1
; %bb.31:                               ;   in Loop: Header=BB83_10 Depth=1
	v_and_b32_e32 v0, 0xffff, v4
	v_or_b32_e32 v1, 0x10000, v4
	s_delay_alu instid0(VALU_DEP_2) | instskip(NEXT) | instid1(VALU_DEP_1)
	v_cmp_eq_u32_e64 s1, 0, v0
	v_cndmask_b32_e64 v55, v1, v4, s1
; %bb.32:                               ;   in Loop: Header=BB83_10 Depth=1
	s_or_b32 exec_lo, exec_lo, s2
	v_and_b32_e32 v0, 0x7f800000, v5
                                        ; implicit-def: $vgpr56
	s_delay_alu instid0(VALU_DEP_1) | instskip(NEXT) | instid1(VALU_DEP_1)
	v_cmp_ne_u32_e64 s1, 0x7f800000, v0
	s_and_saveexec_b32 s2, s1
	s_delay_alu instid0(SALU_CYCLE_1)
	s_xor_b32 s1, exec_lo, s2
; %bb.33:                               ;   in Loop: Header=BB83_10 Depth=1
	v_bfe_u32 v0, v5, 16, 1
	s_delay_alu instid0(VALU_DEP_1)
	v_add3_u32 v56, v5, v0, 0x7fff
; %bb.34:                               ;   in Loop: Header=BB83_10 Depth=1
	s_and_not1_saveexec_b32 s2, s1
; %bb.35:                               ;   in Loop: Header=BB83_10 Depth=1
	v_and_b32_e32 v0, 0xffff, v5
	v_or_b32_e32 v1, 0x10000, v5
	s_delay_alu instid0(VALU_DEP_2) | instskip(NEXT) | instid1(VALU_DEP_1)
	v_cmp_eq_u32_e64 s1, 0, v0
	v_cndmask_b32_e64 v56, v1, v5, s1
; %bb.36:                               ;   in Loop: Header=BB83_10 Depth=1
	s_or_b32 exec_lo, exec_lo, s2
	v_and_b32_e32 v0, 0x7f800000, v6
                                        ; implicit-def: $vgpr57
	s_delay_alu instid0(VALU_DEP_1) | instskip(NEXT) | instid1(VALU_DEP_1)
	v_cmp_ne_u32_e64 s1, 0x7f800000, v0
	s_and_saveexec_b32 s2, s1
	s_delay_alu instid0(SALU_CYCLE_1)
	s_xor_b32 s1, exec_lo, s2
; %bb.37:                               ;   in Loop: Header=BB83_10 Depth=1
	v_bfe_u32 v0, v6, 16, 1
	s_delay_alu instid0(VALU_DEP_1)
	v_add3_u32 v57, v6, v0, 0x7fff
; %bb.38:                               ;   in Loop: Header=BB83_10 Depth=1
	s_and_not1_saveexec_b32 s2, s1
; %bb.39:                               ;   in Loop: Header=BB83_10 Depth=1
	v_and_b32_e32 v0, 0xffff, v6
	v_or_b32_e32 v1, 0x10000, v6
	s_delay_alu instid0(VALU_DEP_2) | instskip(NEXT) | instid1(VALU_DEP_1)
	v_cmp_eq_u32_e64 s1, 0, v0
	v_cndmask_b32_e64 v57, v1, v6, s1
; %bb.40:                               ;   in Loop: Header=BB83_10 Depth=1
	s_or_b32 exec_lo, exec_lo, s2
	v_and_b32_e32 v0, 0x7f800000, v7
                                        ; implicit-def: $vgpr58
	s_delay_alu instid0(VALU_DEP_1) | instskip(NEXT) | instid1(VALU_DEP_1)
	v_cmp_ne_u32_e64 s1, 0x7f800000, v0
	s_and_saveexec_b32 s2, s1
	s_delay_alu instid0(SALU_CYCLE_1)
	s_xor_b32 s1, exec_lo, s2
; %bb.41:                               ;   in Loop: Header=BB83_10 Depth=1
	v_bfe_u32 v0, v7, 16, 1
	s_delay_alu instid0(VALU_DEP_1)
	v_add3_u32 v58, v7, v0, 0x7fff
                                        ; implicit-def: $vgpr0_vgpr1_vgpr2_vgpr3_vgpr4_vgpr5_vgpr6_vgpr7
; %bb.42:                               ;   in Loop: Header=BB83_10 Depth=1
	s_and_not1_saveexec_b32 s2, s1
	s_cbranch_execz .LBB83_9
; %bb.43:                               ;   in Loop: Header=BB83_10 Depth=1
	v_and_b32_e32 v0, 0xffff, v7
	v_or_b32_e32 v1, 0x10000, v7
	s_delay_alu instid0(VALU_DEP_2) | instskip(NEXT) | instid1(VALU_DEP_1)
	v_cmp_eq_u32_e64 s1, 0, v0
	v_cndmask_b32_e64 v58, v1, v7, s1
	s_branch .LBB83_9
.LBB83_44:
	s_nop 0
	s_sendmsg sendmsg(MSG_DEALLOC_VGPRS)
	s_endpgm
	.section	.rodata,"a",@progbits
	.p2align	6, 0x0
	.amdhsa_kernel _ZN12tensorrt_llm7kernels32fusedQKNormRopeKernelNTokenHeadsIN3c108BFloat16EfLi256ELb0ELi2EEEvPviiifPKvS6_S6_PKlii
		.amdhsa_group_segment_fixed_size 0
		.amdhsa_private_segment_fixed_size 0
		.amdhsa_kernarg_size 320
		.amdhsa_user_sgpr_count 15
		.amdhsa_user_sgpr_dispatch_ptr 0
		.amdhsa_user_sgpr_queue_ptr 0
		.amdhsa_user_sgpr_kernarg_segment_ptr 1
		.amdhsa_user_sgpr_dispatch_id 0
		.amdhsa_user_sgpr_private_segment_size 0
		.amdhsa_wavefront_size32 1
		.amdhsa_uses_dynamic_stack 0
		.amdhsa_enable_private_segment 0
		.amdhsa_system_sgpr_workgroup_id_x 1
		.amdhsa_system_sgpr_workgroup_id_y 0
		.amdhsa_system_sgpr_workgroup_id_z 0
		.amdhsa_system_sgpr_workgroup_info 0
		.amdhsa_system_vgpr_workitem_id 0
		.amdhsa_next_free_vgpr 76
		.amdhsa_next_free_sgpr 21
		.amdhsa_reserve_vcc 1
		.amdhsa_float_round_mode_32 0
		.amdhsa_float_round_mode_16_64 0
		.amdhsa_float_denorm_mode_32 3
		.amdhsa_float_denorm_mode_16_64 3
		.amdhsa_dx10_clamp 1
		.amdhsa_ieee_mode 1
		.amdhsa_fp16_overflow 0
		.amdhsa_workgroup_processor_mode 1
		.amdhsa_memory_ordered 1
		.amdhsa_forward_progress 0
		.amdhsa_shared_vgpr_count 0
		.amdhsa_exception_fp_ieee_invalid_op 0
		.amdhsa_exception_fp_denorm_src 0
		.amdhsa_exception_fp_ieee_div_zero 0
		.amdhsa_exception_fp_ieee_overflow 0
		.amdhsa_exception_fp_ieee_underflow 0
		.amdhsa_exception_fp_ieee_inexact 0
		.amdhsa_exception_int_div_zero 0
	.end_amdhsa_kernel
	.section	.text._ZN12tensorrt_llm7kernels32fusedQKNormRopeKernelNTokenHeadsIN3c108BFloat16EfLi256ELb0ELi2EEEvPviiifPKvS6_S6_PKlii,"axG",@progbits,_ZN12tensorrt_llm7kernels32fusedQKNormRopeKernelNTokenHeadsIN3c108BFloat16EfLi256ELb0ELi2EEEvPviiifPKvS6_S6_PKlii,comdat
.Lfunc_end83:
	.size	_ZN12tensorrt_llm7kernels32fusedQKNormRopeKernelNTokenHeadsIN3c108BFloat16EfLi256ELb0ELi2EEEvPviiifPKvS6_S6_PKlii, .Lfunc_end83-_ZN12tensorrt_llm7kernels32fusedQKNormRopeKernelNTokenHeadsIN3c108BFloat16EfLi256ELb0ELi2EEEvPviiifPKvS6_S6_PKlii
                                        ; -- End function
	.section	.AMDGPU.csdata,"",@progbits
; Kernel info:
; codeLenInByte = 3812
; NumSgprs: 23
; NumVgprs: 76
; ScratchSize: 0
; MemoryBound: 0
; FloatMode: 240
; IeeeMode: 1
; LDSByteSize: 0 bytes/workgroup (compile time only)
; SGPRBlocks: 2
; VGPRBlocks: 9
; NumSGPRsForWavesPerEU: 23
; NumVGPRsForWavesPerEU: 76
; Occupancy: 16
; WaveLimiterHint : 0
; COMPUTE_PGM_RSRC2:SCRATCH_EN: 0
; COMPUTE_PGM_RSRC2:USER_SGPR: 15
; COMPUTE_PGM_RSRC2:TRAP_HANDLER: 0
; COMPUTE_PGM_RSRC2:TGID_X_EN: 1
; COMPUTE_PGM_RSRC2:TGID_Y_EN: 0
; COMPUTE_PGM_RSRC2:TGID_Z_EN: 0
; COMPUTE_PGM_RSRC2:TIDIG_COMP_CNT: 0
	.section	.text._ZN12tensorrt_llm7kernels32fusedQKNormRopeKernelNTokenHeadsIN3c108BFloat16EfLi64ELb1ELi4EEEvPviiifPKvS6_S6_PKlii,"axG",@progbits,_ZN12tensorrt_llm7kernels32fusedQKNormRopeKernelNTokenHeadsIN3c108BFloat16EfLi64ELb1ELi4EEEvPviiifPKvS6_S6_PKlii,comdat
	.protected	_ZN12tensorrt_llm7kernels32fusedQKNormRopeKernelNTokenHeadsIN3c108BFloat16EfLi64ELb1ELi4EEEvPviiifPKvS6_S6_PKlii ; -- Begin function _ZN12tensorrt_llm7kernels32fusedQKNormRopeKernelNTokenHeadsIN3c108BFloat16EfLi64ELb1ELi4EEEvPviiifPKvS6_S6_PKlii
	.globl	_ZN12tensorrt_llm7kernels32fusedQKNormRopeKernelNTokenHeadsIN3c108BFloat16EfLi64ELb1ELi4EEEvPviiifPKvS6_S6_PKlii
	.p2align	8
	.type	_ZN12tensorrt_llm7kernels32fusedQKNormRopeKernelNTokenHeadsIN3c108BFloat16EfLi64ELb1ELi4EEEvPviiifPKvS6_S6_PKlii,@function
_ZN12tensorrt_llm7kernels32fusedQKNormRopeKernelNTokenHeadsIN3c108BFloat16EfLi64ELb1ELi4EEEvPviiifPKvS6_S6_PKlii: ; @_ZN12tensorrt_llm7kernels32fusedQKNormRopeKernelNTokenHeadsIN3c108BFloat16EfLi64ELb1ELi4EEEvPviiifPKvS6_S6_PKlii
; %bb.0:
	s_clause 0x1
	s_load_b128 s[16:19], s[0:1], 0x8
	s_load_b64 s[2:3], s[0:1], 0x38
	v_lshrrev_b32_e32 v2, 5, v0
	s_waitcnt lgkmcnt(0)
	s_add_i32 s4, s17, s16
	s_delay_alu instid0(SALU_CYCLE_1) | instskip(NEXT) | instid1(SALU_CYCLE_1)
	s_add_i32 s5, s4, 3
	s_ashr_i32 s6, s5, 31
	s_delay_alu instid0(SALU_CYCLE_1) | instskip(NEXT) | instid1(SALU_CYCLE_1)
	s_lshr_b32 s6, s6, 30
	s_add_i32 s5, s5, s6
	s_delay_alu instid0(SALU_CYCLE_1) | instskip(SKIP_2) | instid1(SALU_CYCLE_1)
	s_ashr_i32 s14, s5, 2
	s_load_b32 s5, s[0:1], 0x4c
	s_abs_i32 s6, s14
	v_cvt_f32_u32_e32 v1, s6
	s_sub_i32 s7, 0, s6
	s_delay_alu instid0(VALU_DEP_1) | instskip(SKIP_4) | instid1(SALU_CYCLE_1)
	v_rcp_iflag_f32_e32 v1, v1
	s_waitcnt_depctr 0xfff
	v_mul_f32_e32 v1, 0x4f7ffffe, v1
	s_waitcnt lgkmcnt(0)
	s_bfe_u32 s5, s5, 0xb0005
	v_mad_u64_u32 v[3:4], null, s15, s5, v[2:3]
	s_delay_alu instid0(VALU_DEP_2) | instskip(NEXT) | instid1(VALU_DEP_1)
	v_cvt_u32_f32_e32 v1, v1
	v_mul_lo_u32 v5, s7, v1
	s_delay_alu instid0(VALU_DEP_1) | instskip(NEXT) | instid1(VALU_DEP_4)
	v_mul_hi_u32 v4, v1, v5
	v_sub_nc_u32_e32 v5, 0, v3
	s_delay_alu instid0(VALU_DEP_1) | instskip(NEXT) | instid1(VALU_DEP_3)
	v_max_i32_e32 v5, v3, v5
	v_add_nc_u32_e32 v1, v1, v4
	s_delay_alu instid0(VALU_DEP_1) | instskip(NEXT) | instid1(VALU_DEP_1)
	v_mul_hi_u32 v1, v5, v1
	v_mul_lo_u32 v4, v1, s6
	s_delay_alu instid0(VALU_DEP_1) | instskip(SKIP_1) | instid1(VALU_DEP_2)
	v_sub_nc_u32_e32 v4, v5, v4
	v_add_nc_u32_e32 v5, 1, v1
	v_subrev_nc_u32_e32 v6, s6, v4
	v_cmp_le_u32_e32 vcc_lo, s6, v4
	s_delay_alu instid0(VALU_DEP_2) | instskip(SKIP_1) | instid1(VALU_DEP_2)
	v_dual_cndmask_b32 v4, v4, v6 :: v_dual_cndmask_b32 v1, v1, v5
	v_xor_b32_e32 v5, s14, v3
	v_cmp_le_u32_e32 vcc_lo, s6, v4
	s_delay_alu instid0(VALU_DEP_3) | instskip(NEXT) | instid1(VALU_DEP_3)
	v_add_nc_u32_e32 v6, 1, v1
	v_ashrrev_i32_e32 v5, 31, v5
	s_delay_alu instid0(VALU_DEP_2) | instskip(NEXT) | instid1(VALU_DEP_1)
	v_cndmask_b32_e32 v1, v1, v6, vcc_lo
	v_xor_b32_e32 v1, v1, v5
	s_delay_alu instid0(VALU_DEP_1) | instskip(NEXT) | instid1(VALU_DEP_1)
	v_sub_nc_u32_e32 v1, v1, v5
	v_cmp_gt_i32_e32 vcc_lo, s2, v1
	s_and_saveexec_b32 s2, vcc_lo
	s_cbranch_execz .LBB84_20
; %bb.1:
	v_mul_lo_u32 v4, v1, s14
	s_load_b64 s[12:13], s[0:1], 0x0
	v_and_b32_e32 v0, 31, v0
	v_lshlrev_b32_e32 v10, 9, v2
	v_lshlrev_b32_e32 v8, 8, v3
	s_lshl_b32 s20, s3, 2
	s_delay_alu instid0(VALU_DEP_3) | instskip(SKIP_2) | instid1(VALU_DEP_1)
	v_lshlrev_b32_e32 v7, 2, v0
	v_sub_nc_u32_e32 v4, v3, v4
	s_mul_i32 s15, s20, s5
	v_lshlrev_b32_e32 v5, 2, v4
	s_delay_alu instid0(VALU_DEP_1) | instskip(SKIP_1) | instid1(VALU_DEP_2)
	v_add_nc_u32_e32 v4, 4, v5
	v_sub_nc_u32_e32 v6, s4, v5
	v_cmp_lt_i32_e32 vcc_lo, s4, v4
	s_delay_alu instid0(VALU_DEP_2) | instskip(NEXT) | instid1(VALU_DEP_1)
	v_cndmask_b32_e32 v6, 4, v6, vcc_lo
	v_cmp_lt_i32_e32 vcc_lo, 0, v6
	s_and_saveexec_b32 s4, vcc_lo
	s_cbranch_execz .LBB84_4
; %bb.2:
	s_add_i32 s2, s18, s17
	s_lshl_b32 s5, s14, 2
	s_add_i32 s2, s2, s16
	s_mov_b32 s6, 0
	s_sub_i32 s2, s2, s5
	s_mov_b32 s5, 0
	v_mul_lo_u32 v3, s2, v1
	s_add_i32 s2, s15, 0
	s_delay_alu instid0(SALU_CYCLE_1) | instskip(NEXT) | instid1(VALU_DEP_2)
	v_add3_u32 v9, s2, v10, v7
	v_lshl_add_u32 v3, v3, 6, v8
	s_delay_alu instid0(VALU_DEP_1)
	v_lshl_or_b32 v3, v0, 1, v3
	.p2align	6
.LBB84_3:                               ; =>This Inner Loop Header: Depth=1
	s_delay_alu instid0(VALU_DEP_1) | instskip(SKIP_1) | instid1(VALU_DEP_1)
	v_ashrrev_i32_e32 v4, 31, v3
	s_add_i32 s6, s6, 1
	v_lshlrev_b64 v[11:12], 1, v[3:4]
	v_add_nc_u32_e32 v3, 64, v3
	s_waitcnt lgkmcnt(0)
	s_delay_alu instid0(VALU_DEP_2) | instskip(NEXT) | instid1(VALU_DEP_1)
	v_add_co_u32 v11, s2, s12, v11
	v_add_co_ci_u32_e64 v12, s2, s13, v12, s2
	v_cmp_ge_i32_e64 s2, s6, v6
	global_load_b32 v4, v[11:12], off
	s_or_b32 s5, s2, s5
	s_waitcnt vmcnt(0)
	ds_store_b32 v9, v4
	v_add_nc_u32_e32 v9, 0x80, v9
	s_and_not1_b32 exec_lo, exec_lo, s5
	s_cbranch_execnz .LBB84_3
.LBB84_4:
	s_or_b32 exec_lo, exec_lo, s4
	s_load_b256 s[4:11], s[0:1], 0x18
	v_mul_lo_u32 v2, v2, s3
	s_add_i32 s0, s20, 15
	s_mov_b32 s20, exec_lo
	s_ashr_i32 s1, s0, 31
	s_delay_alu instid0(SALU_CYCLE_1) | instskip(NEXT) | instid1(SALU_CYCLE_1)
	s_lshr_b32 s1, s1, 28
	s_add_i32 s0, s0, s1
	s_delay_alu instid0(VALU_DEP_1) | instskip(SKIP_1) | instid1(SALU_CYCLE_1)
	v_lshlrev_b32_e32 v9, 2, v2
	s_ashr_i32 s2, s0, 4
	v_cmpx_gt_i32_e64 s2, v0
	s_cbranch_execz .LBB84_7
; %bb.5:
	v_ashrrev_i32_e32 v2, 31, v1
	s_delay_alu instid0(VALU_DEP_1) | instskip(SKIP_1) | instid1(VALU_DEP_1)
	v_lshlrev_b64 v[2:3], 3, v[1:2]
	s_waitcnt lgkmcnt(0)
	v_add_co_u32 v2, s0, s10, v2
	s_delay_alu instid0(VALU_DEP_1)
	v_add_co_ci_u32_e64 v3, s0, s11, v3, s0
	s_ashr_i32 s0, s3, 31
	global_load_b64 v[2:3], v[2:3], off
	s_waitcnt vmcnt(0)
	v_mul_lo_u32 v11, v3, s3
	v_mul_lo_u32 v12, v2, s0
	v_mad_u64_u32 v[3:4], null, v2, s3, 0
	s_delay_alu instid0(VALU_DEP_1) | instskip(SKIP_1) | instid1(VALU_DEP_2)
	v_add3_u32 v4, v4, v12, v11
	v_mov_b32_e32 v11, v0
	v_lshlrev_b64 v[2:3], 2, v[3:4]
	v_lshlrev_b32_e32 v4, 4, v0
	s_delay_alu instid0(VALU_DEP_1) | instskip(NEXT) | instid1(VALU_DEP_1)
	v_add_co_u32 v2, s0, v2, v4
	v_add_co_ci_u32_e64 v3, s0, 0, v3, s0
	v_add3_u32 v4, v9, v4, 0
	s_delay_alu instid0(VALU_DEP_3) | instskip(NEXT) | instid1(VALU_DEP_1)
	v_add_co_u32 v2, s0, s8, v2
	v_add_co_ci_u32_e64 v3, s0, s9, v3, s0
	s_mov_b32 s8, 0
	.p2align	6
.LBB84_6:                               ; =>This Inner Loop Header: Depth=1
	global_load_b128 v[12:15], v[2:3], off
	v_add_nc_u32_e32 v11, 32, v11
	v_add_co_u32 v2, s0, 0x200, v2
	s_delay_alu instid0(VALU_DEP_1) | instskip(NEXT) | instid1(VALU_DEP_3)
	v_add_co_ci_u32_e64 v3, s0, 0, v3, s0
	v_cmp_le_i32_e64 s1, s2, v11
	s_delay_alu instid0(VALU_DEP_1)
	s_or_b32 s8, s1, s8
	s_waitcnt vmcnt(0)
	ds_store_b128 v4, v[12:15]
	v_add_nc_u32_e32 v4, 0x200, v4
	s_and_not1_b32 exec_lo, exec_lo, s8
	s_cbranch_execnz .LBB84_6
.LBB84_7:
	s_or_b32 exec_lo, exec_lo, s20
	s_delay_alu instid0(SALU_CYCLE_1)
	s_and_b32 exec_lo, exec_lo, vcc_lo
	s_cbranch_execz .LBB84_20
; %bb.8:
	s_waitcnt lgkmcnt(0)
	s_clause 0x1
	global_load_b32 v3, v7, s[4:5]
	global_load_b32 v4, v7, s[6:7]
	v_mbcnt_lo_u32_b32 v2, -1, 0
	s_lshr_b32 s0, s3, 31
	v_add3_u32 v9, 0, v9, v7
	s_add_i32 s0, s3, s0
	v_add_nc_u32_e32 v17, s15, v10
	v_xor_b32_e32 v11, 16, v2
	s_ashr_i32 s0, s0, 1
	v_xor_b32_e32 v12, 8, v2
	v_cmp_gt_i32_e32 vcc_lo, s0, v0
	v_lshl_add_u32 v10, s0, 2, v9
	v_cmp_gt_i32_e64 s0, 32, v11
	v_xor_b32_e32 v13, 4, v2
	v_xor_b32_e32 v14, 2, v2
	s_add_i32 s1, s18, s17
	s_lshl_b32 s2, s14, 2
	v_cndmask_b32_e64 v11, v2, v11, s0
	v_cmp_gt_i32_e64 s0, 32, v12
	s_add_i32 s1, s1, s16
	v_xor_b32_e32 v15, 1, v2
	s_sub_i32 s1, s1, s2
	v_add3_u32 v7, v17, v7, 0
	v_cndmask_b32_e64 v12, v2, v12, s0
	v_cmp_gt_i32_e64 s0, 32, v13
	v_mul_lo_u32 v1, s1, v1
	s_mov_b32 s2, 0
	s_mov_b32 s3, 0
	s_delay_alu instid0(VALU_DEP_2) | instskip(SKIP_1) | instid1(VALU_DEP_3)
	v_cndmask_b32_e64 v13, v2, v13, s0
	v_cmp_gt_i32_e64 s0, 32, v14
	v_lshl_add_u32 v1, v1, 6, v8
	v_lshlrev_b32_e32 v8, 2, v11
	s_delay_alu instid0(VALU_DEP_3)
	v_cndmask_b32_e64 v14, v2, v14, s0
	v_cmp_gt_i32_e64 s0, 32, v15
	v_lshlrev_b32_e32 v11, 2, v12
	v_lshlrev_b32_e32 v12, 2, v13
	v_lshl_or_b32 v0, v0, 1, v1
	v_lshlrev_b32_e32 v13, 2, v14
	v_cndmask_b32_e64 v2, v2, v15, s0
	s_delay_alu instid0(VALU_DEP_1)
	v_lshlrev_b32_e32 v14, 2, v2
	s_waitcnt vmcnt(1)
	v_lshrrev_b32_e32 v15, 16, v3
	s_waitcnt vmcnt(0)
	v_lshrrev_b32_e32 v16, 16, v4
	s_branch .LBB84_10
.LBB84_9:                               ;   in Loop: Header=BB84_10 Depth=1
	s_or_b32 exec_lo, exec_lo, s1
	v_ashrrev_i32_e32 v1, 31, v0
	v_lshrrev_b32_e32 v17, 16, v17
	s_add_i32 s3, s3, 1
	v_add_nc_u32_e32 v7, 0x80, v7
	v_cmp_ge_i32_e64 s0, s3, v6
	v_lshlrev_b64 v[1:2], 1, v[0:1]
	v_and_or_b32 v17, 0xffff0000, v18, v17
	v_add_nc_u32_e32 v0, 64, v0
	s_delay_alu instid0(VALU_DEP_4) | instskip(NEXT) | instid1(VALU_DEP_3)
	s_or_b32 s2, s0, s2
	v_add_co_u32 v1, s1, s12, v1
	s_delay_alu instid0(VALU_DEP_1)
	v_add_co_ci_u32_e64 v2, s1, s13, v2, s1
	global_store_b32 v[1:2], v17, off
	s_and_not1_b32 exec_lo, exec_lo, s2
	s_cbranch_execz .LBB84_20
.LBB84_10:                              ; =>This Inner Loop Header: Depth=1
	ds_load_b32 v1, v7
	s_waitcnt lgkmcnt(0)
	v_lshlrev_b32_e32 v2, 16, v1
	v_and_b32_e32 v17, 0xffff0000, v1
	s_delay_alu instid0(VALU_DEP_2) | instskip(NEXT) | instid1(VALU_DEP_1)
	v_mul_f32_e32 v1, v2, v2
	v_fmac_f32_e32 v1, v17, v17
	ds_bpermute_b32 v18, v8, v1
	s_waitcnt lgkmcnt(0)
	v_add_f32_e32 v1, v1, v18
	ds_bpermute_b32 v18, v11, v1
	s_waitcnt lgkmcnt(0)
	v_add_f32_e32 v1, v1, v18
	;; [unrolled: 3-line block ×5, first 2 shown]
	s_delay_alu instid0(VALU_DEP_1) | instskip(NEXT) | instid1(VALU_DEP_1)
	v_fma_f32 v1, 0x3c800000, v1, s19
	v_mul_f32_e32 v18, 0x4b800000, v1
	v_cmp_gt_f32_e64 s0, 0x800000, v1
	s_delay_alu instid0(VALU_DEP_1) | instskip(SKIP_1) | instid1(VALU_DEP_2)
	v_cndmask_b32_e64 v1, v1, v18, s0
	v_add_nc_u32_e32 v18, s3, v5
	v_rsq_f32_e32 v1, v1
	s_delay_alu instid0(VALU_DEP_1) | instskip(NEXT) | instid1(VALU_DEP_1)
	v_cmp_gt_i32_e64 s1, s16, v18
	v_cndmask_b32_e64 v18, v4, v3, s1
	v_cndmask_b32_e64 v20, v16, v15, s1
	s_waitcnt_depctr 0xfff
	v_dual_mul_f32 v19, 0x45800000, v1 :: v_dual_lshlrev_b32 v18, 16, v18
	s_delay_alu instid0(VALU_DEP_1) | instskip(NEXT) | instid1(VALU_DEP_1)
	v_cndmask_b32_e64 v1, v1, v19, s0
	v_dual_mul_f32 v18, v1, v18 :: v_dual_lshlrev_b32 v19, 16, v20
	s_delay_alu instid0(VALU_DEP_1) | instskip(NEXT) | instid1(VALU_DEP_1)
	v_mul_f32_e32 v19, v1, v19
	v_dual_mul_f32 v1, v18, v2 :: v_dual_mul_f32 v2, v19, v17
	s_and_saveexec_b32 s0, vcc_lo
	s_cbranch_execz .LBB84_12
; %bb.11:                               ;   in Loop: Header=BB84_10 Depth=1
	ds_load_b32 v17, v10
	ds_load_b32 v19, v9
	s_waitcnt lgkmcnt(1)
	v_mul_f32_e32 v18, v1, v17
	s_waitcnt lgkmcnt(0)
	s_delay_alu instid0(VALU_DEP_1) | instskip(SKIP_1) | instid1(VALU_DEP_1)
	v_fmac_f32_e32 v18, v2, v19
	v_mul_f32_e32 v20, v2, v17
	v_fma_f32 v17, v1, v19, -v20
	s_delay_alu instid0(VALU_DEP_1)
	v_dual_mov_b32 v1, v17 :: v_dual_mov_b32 v2, v18
.LBB84_12:                              ;   in Loop: Header=BB84_10 Depth=1
	s_or_b32 exec_lo, exec_lo, s0
	s_delay_alu instid0(VALU_DEP_1) | instskip(NEXT) | instid1(VALU_DEP_1)
	v_and_b32_e32 v17, 0x7f800000, v1
	v_cmp_ne_u32_e64 s0, 0x7f800000, v17
                                        ; implicit-def: $vgpr17
	s_delay_alu instid0(VALU_DEP_1) | instskip(NEXT) | instid1(SALU_CYCLE_1)
	s_and_saveexec_b32 s1, s0
	s_xor_b32 s0, exec_lo, s1
; %bb.13:                               ;   in Loop: Header=BB84_10 Depth=1
	v_bfe_u32 v17, v1, 16, 1
	s_delay_alu instid0(VALU_DEP_1)
	v_add3_u32 v17, v1, v17, 0x7fff
; %bb.14:                               ;   in Loop: Header=BB84_10 Depth=1
	s_and_not1_saveexec_b32 s1, s0
; %bb.15:                               ;   in Loop: Header=BB84_10 Depth=1
	v_and_b32_e32 v17, 0xffff, v1
	v_or_b32_e32 v18, 0x10000, v1
	s_delay_alu instid0(VALU_DEP_2) | instskip(NEXT) | instid1(VALU_DEP_1)
	v_cmp_eq_u32_e64 s0, 0, v17
	v_cndmask_b32_e64 v17, v18, v1, s0
; %bb.16:                               ;   in Loop: Header=BB84_10 Depth=1
	s_or_b32 exec_lo, exec_lo, s1
	v_and_b32_e32 v1, 0x7f800000, v2
                                        ; implicit-def: $vgpr18
	s_delay_alu instid0(VALU_DEP_1) | instskip(NEXT) | instid1(VALU_DEP_1)
	v_cmp_ne_u32_e64 s0, 0x7f800000, v1
	s_and_saveexec_b32 s1, s0
	s_delay_alu instid0(SALU_CYCLE_1)
	s_xor_b32 s0, exec_lo, s1
; %bb.17:                               ;   in Loop: Header=BB84_10 Depth=1
	v_bfe_u32 v1, v2, 16, 1
	s_delay_alu instid0(VALU_DEP_1)
	v_add3_u32 v18, v2, v1, 0x7fff
                                        ; implicit-def: $vgpr1_vgpr2
; %bb.18:                               ;   in Loop: Header=BB84_10 Depth=1
	s_and_not1_saveexec_b32 s1, s0
	s_cbranch_execz .LBB84_9
; %bb.19:                               ;   in Loop: Header=BB84_10 Depth=1
	v_and_b32_e32 v1, 0xffff, v2
	v_or_b32_e32 v18, 0x10000, v2
	s_delay_alu instid0(VALU_DEP_2) | instskip(NEXT) | instid1(VALU_DEP_1)
	v_cmp_eq_u32_e64 s0, 0, v1
	v_cndmask_b32_e64 v18, v18, v2, s0
	s_branch .LBB84_9
.LBB84_20:
	s_nop 0
	s_sendmsg sendmsg(MSG_DEALLOC_VGPRS)
	s_endpgm
	.section	.rodata,"a",@progbits
	.p2align	6, 0x0
	.amdhsa_kernel _ZN12tensorrt_llm7kernels32fusedQKNormRopeKernelNTokenHeadsIN3c108BFloat16EfLi64ELb1ELi4EEEvPviiifPKvS6_S6_PKlii
		.amdhsa_group_segment_fixed_size 0
		.amdhsa_private_segment_fixed_size 0
		.amdhsa_kernarg_size 320
		.amdhsa_user_sgpr_count 15
		.amdhsa_user_sgpr_dispatch_ptr 0
		.amdhsa_user_sgpr_queue_ptr 0
		.amdhsa_user_sgpr_kernarg_segment_ptr 1
		.amdhsa_user_sgpr_dispatch_id 0
		.amdhsa_user_sgpr_private_segment_size 0
		.amdhsa_wavefront_size32 1
		.amdhsa_uses_dynamic_stack 0
		.amdhsa_enable_private_segment 0
		.amdhsa_system_sgpr_workgroup_id_x 1
		.amdhsa_system_sgpr_workgroup_id_y 0
		.amdhsa_system_sgpr_workgroup_id_z 0
		.amdhsa_system_sgpr_workgroup_info 0
		.amdhsa_system_vgpr_workitem_id 0
		.amdhsa_next_free_vgpr 21
		.amdhsa_next_free_sgpr 21
		.amdhsa_reserve_vcc 1
		.amdhsa_float_round_mode_32 0
		.amdhsa_float_round_mode_16_64 0
		.amdhsa_float_denorm_mode_32 3
		.amdhsa_float_denorm_mode_16_64 3
		.amdhsa_dx10_clamp 1
		.amdhsa_ieee_mode 1
		.amdhsa_fp16_overflow 0
		.amdhsa_workgroup_processor_mode 1
		.amdhsa_memory_ordered 1
		.amdhsa_forward_progress 0
		.amdhsa_shared_vgpr_count 0
		.amdhsa_exception_fp_ieee_invalid_op 0
		.amdhsa_exception_fp_denorm_src 0
		.amdhsa_exception_fp_ieee_div_zero 0
		.amdhsa_exception_fp_ieee_overflow 0
		.amdhsa_exception_fp_ieee_underflow 0
		.amdhsa_exception_fp_ieee_inexact 0
		.amdhsa_exception_int_div_zero 0
	.end_amdhsa_kernel
	.section	.text._ZN12tensorrt_llm7kernels32fusedQKNormRopeKernelNTokenHeadsIN3c108BFloat16EfLi64ELb1ELi4EEEvPviiifPKvS6_S6_PKlii,"axG",@progbits,_ZN12tensorrt_llm7kernels32fusedQKNormRopeKernelNTokenHeadsIN3c108BFloat16EfLi64ELb1ELi4EEEvPviiifPKvS6_S6_PKlii,comdat
.Lfunc_end84:
	.size	_ZN12tensorrt_llm7kernels32fusedQKNormRopeKernelNTokenHeadsIN3c108BFloat16EfLi64ELb1ELi4EEEvPviiifPKvS6_S6_PKlii, .Lfunc_end84-_ZN12tensorrt_llm7kernels32fusedQKNormRopeKernelNTokenHeadsIN3c108BFloat16EfLi64ELb1ELi4EEEvPviiifPKvS6_S6_PKlii
                                        ; -- End function
	.section	.AMDGPU.csdata,"",@progbits
; Kernel info:
; codeLenInByte = 1772
; NumSgprs: 23
; NumVgprs: 21
; ScratchSize: 0
; MemoryBound: 0
; FloatMode: 240
; IeeeMode: 1
; LDSByteSize: 0 bytes/workgroup (compile time only)
; SGPRBlocks: 2
; VGPRBlocks: 2
; NumSGPRsForWavesPerEU: 23
; NumVGPRsForWavesPerEU: 21
; Occupancy: 16
; WaveLimiterHint : 0
; COMPUTE_PGM_RSRC2:SCRATCH_EN: 0
; COMPUTE_PGM_RSRC2:USER_SGPR: 15
; COMPUTE_PGM_RSRC2:TRAP_HANDLER: 0
; COMPUTE_PGM_RSRC2:TGID_X_EN: 1
; COMPUTE_PGM_RSRC2:TGID_Y_EN: 0
; COMPUTE_PGM_RSRC2:TGID_Z_EN: 0
; COMPUTE_PGM_RSRC2:TIDIG_COMP_CNT: 0
	.section	.text._ZN12tensorrt_llm7kernels32fusedQKNormRopeKernelNTokenHeadsIN3c108BFloat16EfLi64ELb0ELi4EEEvPviiifPKvS6_S6_PKlii,"axG",@progbits,_ZN12tensorrt_llm7kernels32fusedQKNormRopeKernelNTokenHeadsIN3c108BFloat16EfLi64ELb0ELi4EEEvPviiifPKvS6_S6_PKlii,comdat
	.protected	_ZN12tensorrt_llm7kernels32fusedQKNormRopeKernelNTokenHeadsIN3c108BFloat16EfLi64ELb0ELi4EEEvPviiifPKvS6_S6_PKlii ; -- Begin function _ZN12tensorrt_llm7kernels32fusedQKNormRopeKernelNTokenHeadsIN3c108BFloat16EfLi64ELb0ELi4EEEvPviiifPKvS6_S6_PKlii
	.globl	_ZN12tensorrt_llm7kernels32fusedQKNormRopeKernelNTokenHeadsIN3c108BFloat16EfLi64ELb0ELi4EEEvPviiifPKvS6_S6_PKlii
	.p2align	8
	.type	_ZN12tensorrt_llm7kernels32fusedQKNormRopeKernelNTokenHeadsIN3c108BFloat16EfLi64ELb0ELi4EEEvPviiifPKvS6_S6_PKlii,@function
_ZN12tensorrt_llm7kernels32fusedQKNormRopeKernelNTokenHeadsIN3c108BFloat16EfLi64ELb0ELi4EEEvPviiifPKvS6_S6_PKlii: ; @_ZN12tensorrt_llm7kernels32fusedQKNormRopeKernelNTokenHeadsIN3c108BFloat16EfLi64ELb0ELi4EEEvPviiifPKvS6_S6_PKlii
; %bb.0:
	s_clause 0x1
	s_load_b128 s[16:19], s[0:1], 0x8
	s_load_b64 s[2:3], s[0:1], 0x38
	v_lshrrev_b32_e32 v2, 5, v0
	s_waitcnt lgkmcnt(0)
	s_add_i32 s4, s17, s16
	s_delay_alu instid0(SALU_CYCLE_1) | instskip(NEXT) | instid1(SALU_CYCLE_1)
	s_add_i32 s5, s4, 3
	s_ashr_i32 s6, s5, 31
	s_delay_alu instid0(SALU_CYCLE_1) | instskip(NEXT) | instid1(SALU_CYCLE_1)
	s_lshr_b32 s6, s6, 30
	s_add_i32 s5, s5, s6
	s_delay_alu instid0(SALU_CYCLE_1) | instskip(SKIP_2) | instid1(SALU_CYCLE_1)
	s_ashr_i32 s14, s5, 2
	s_load_b32 s5, s[0:1], 0x4c
	s_abs_i32 s6, s14
	v_cvt_f32_u32_e32 v1, s6
	s_sub_i32 s7, 0, s6
	s_delay_alu instid0(VALU_DEP_1) | instskip(SKIP_4) | instid1(SALU_CYCLE_1)
	v_rcp_iflag_f32_e32 v1, v1
	s_waitcnt_depctr 0xfff
	v_mul_f32_e32 v1, 0x4f7ffffe, v1
	s_waitcnt lgkmcnt(0)
	s_bfe_u32 s5, s5, 0xb0005
	v_mad_u64_u32 v[3:4], null, s15, s5, v[2:3]
	s_delay_alu instid0(VALU_DEP_2) | instskip(NEXT) | instid1(VALU_DEP_1)
	v_cvt_u32_f32_e32 v1, v1
	v_mul_lo_u32 v5, s7, v1
	s_delay_alu instid0(VALU_DEP_1) | instskip(NEXT) | instid1(VALU_DEP_4)
	v_mul_hi_u32 v4, v1, v5
	v_sub_nc_u32_e32 v5, 0, v3
	s_delay_alu instid0(VALU_DEP_1) | instskip(NEXT) | instid1(VALU_DEP_3)
	v_max_i32_e32 v5, v3, v5
	v_add_nc_u32_e32 v1, v1, v4
	s_delay_alu instid0(VALU_DEP_1) | instskip(NEXT) | instid1(VALU_DEP_1)
	v_mul_hi_u32 v1, v5, v1
	v_mul_lo_u32 v4, v1, s6
	s_delay_alu instid0(VALU_DEP_1) | instskip(SKIP_1) | instid1(VALU_DEP_2)
	v_sub_nc_u32_e32 v4, v5, v4
	v_add_nc_u32_e32 v5, 1, v1
	v_subrev_nc_u32_e32 v6, s6, v4
	v_cmp_le_u32_e32 vcc_lo, s6, v4
	s_delay_alu instid0(VALU_DEP_2) | instskip(SKIP_1) | instid1(VALU_DEP_2)
	v_dual_cndmask_b32 v4, v4, v6 :: v_dual_cndmask_b32 v1, v1, v5
	v_xor_b32_e32 v5, s14, v3
	v_cmp_le_u32_e32 vcc_lo, s6, v4
	s_delay_alu instid0(VALU_DEP_3) | instskip(NEXT) | instid1(VALU_DEP_3)
	v_add_nc_u32_e32 v6, 1, v1
	v_ashrrev_i32_e32 v5, 31, v5
	s_delay_alu instid0(VALU_DEP_2) | instskip(NEXT) | instid1(VALU_DEP_1)
	v_cndmask_b32_e32 v1, v1, v6, vcc_lo
	v_xor_b32_e32 v1, v1, v5
	s_delay_alu instid0(VALU_DEP_1) | instskip(NEXT) | instid1(VALU_DEP_1)
	v_sub_nc_u32_e32 v1, v1, v5
	v_cmp_gt_i32_e32 vcc_lo, s2, v1
	s_and_saveexec_b32 s2, vcc_lo
	s_cbranch_execz .LBB85_20
; %bb.1:
	v_mul_lo_u32 v4, v1, s14
	s_load_b64 s[12:13], s[0:1], 0x0
	v_and_b32_e32 v0, 31, v0
	v_lshlrev_b32_e32 v9, 9, v2
	v_lshlrev_b32_e32 v8, 8, v3
	s_lshl_b32 s20, s3, 2
	s_delay_alu instid0(VALU_DEP_3) | instskip(SKIP_2) | instid1(VALU_DEP_1)
	v_lshlrev_b32_e32 v7, 2, v0
	v_sub_nc_u32_e32 v4, v3, v4
	s_mul_i32 s15, s20, s5
	v_lshlrev_b32_e32 v5, 2, v4
	s_delay_alu instid0(VALU_DEP_1) | instskip(SKIP_1) | instid1(VALU_DEP_2)
	v_add_nc_u32_e32 v4, 4, v5
	v_sub_nc_u32_e32 v6, s4, v5
	v_cmp_lt_i32_e32 vcc_lo, s4, v4
	s_delay_alu instid0(VALU_DEP_2) | instskip(NEXT) | instid1(VALU_DEP_1)
	v_cndmask_b32_e32 v6, 4, v6, vcc_lo
	v_cmp_lt_i32_e32 vcc_lo, 0, v6
	s_and_saveexec_b32 s4, vcc_lo
	s_cbranch_execz .LBB85_4
; %bb.2:
	s_add_i32 s2, s18, s17
	s_lshl_b32 s5, s14, 2
	s_add_i32 s2, s2, s16
	s_mov_b32 s6, 0
	s_sub_i32 s2, s2, s5
	s_mov_b32 s5, 0
	v_mul_lo_u32 v3, s2, v1
	s_add_i32 s2, s15, 0
	s_delay_alu instid0(SALU_CYCLE_1) | instskip(NEXT) | instid1(VALU_DEP_2)
	v_add3_u32 v10, s2, v9, v7
	v_lshl_add_u32 v3, v3, 6, v8
	s_delay_alu instid0(VALU_DEP_1)
	v_lshl_or_b32 v3, v0, 1, v3
	.p2align	6
.LBB85_3:                               ; =>This Inner Loop Header: Depth=1
	s_delay_alu instid0(VALU_DEP_1) | instskip(SKIP_1) | instid1(VALU_DEP_1)
	v_ashrrev_i32_e32 v4, 31, v3
	s_add_i32 s6, s6, 1
	v_lshlrev_b64 v[11:12], 1, v[3:4]
	v_add_nc_u32_e32 v3, 64, v3
	s_waitcnt lgkmcnt(0)
	s_delay_alu instid0(VALU_DEP_2) | instskip(NEXT) | instid1(VALU_DEP_1)
	v_add_co_u32 v11, s2, s12, v11
	v_add_co_ci_u32_e64 v12, s2, s13, v12, s2
	v_cmp_ge_i32_e64 s2, s6, v6
	global_load_b32 v4, v[11:12], off
	s_or_b32 s5, s2, s5
	s_waitcnt vmcnt(0)
	ds_store_b32 v10, v4
	v_add_nc_u32_e32 v10, 0x80, v10
	s_and_not1_b32 exec_lo, exec_lo, s5
	s_cbranch_execnz .LBB85_3
.LBB85_4:
	s_or_b32 exec_lo, exec_lo, s4
	s_load_b256 s[4:11], s[0:1], 0x18
	s_add_i32 s0, s20, 15
	v_mul_lo_u32 v10, v2, s3
	s_ashr_i32 s1, s0, 31
	s_mov_b32 s20, exec_lo
	s_lshr_b32 s1, s1, 28
	s_delay_alu instid0(SALU_CYCLE_1) | instskip(NEXT) | instid1(SALU_CYCLE_1)
	s_add_i32 s0, s0, s1
	s_ashr_i32 s2, s0, 4
	s_delay_alu instid0(SALU_CYCLE_1)
	v_cmpx_gt_i32_e64 s2, v0
	s_cbranch_execz .LBB85_7
; %bb.5:
	v_ashrrev_i32_e32 v2, 31, v1
	s_delay_alu instid0(VALU_DEP_1) | instskip(SKIP_1) | instid1(VALU_DEP_1)
	v_lshlrev_b64 v[2:3], 3, v[1:2]
	s_waitcnt lgkmcnt(0)
	v_add_co_u32 v2, s0, s10, v2
	s_delay_alu instid0(VALU_DEP_1)
	v_add_co_ci_u32_e64 v3, s0, s11, v3, s0
	s_ashr_i32 s0, s3, 31
	global_load_b64 v[2:3], v[2:3], off
	s_waitcnt vmcnt(0)
	v_mul_lo_u32 v11, v3, s3
	v_mul_lo_u32 v12, v2, s0
	v_mad_u64_u32 v[3:4], null, v2, s3, 0
	s_delay_alu instid0(VALU_DEP_1) | instskip(SKIP_1) | instid1(VALU_DEP_2)
	v_add3_u32 v4, v4, v12, v11
	v_lshlrev_b32_e32 v11, 2, v10
	v_lshlrev_b64 v[2:3], 2, v[3:4]
	v_lshlrev_b32_e32 v4, 4, v0
	s_delay_alu instid0(VALU_DEP_1) | instskip(NEXT) | instid1(VALU_DEP_1)
	v_add_co_u32 v2, s0, v2, v4
	v_add_co_ci_u32_e64 v3, s0, 0, v3, s0
	v_add3_u32 v4, v11, v4, 0
	v_mov_b32_e32 v11, v0
	s_delay_alu instid0(VALU_DEP_4) | instskip(NEXT) | instid1(VALU_DEP_1)
	v_add_co_u32 v2, s0, s8, v2
	v_add_co_ci_u32_e64 v3, s0, s9, v3, s0
	s_mov_b32 s8, 0
	.p2align	6
.LBB85_6:                               ; =>This Inner Loop Header: Depth=1
	global_load_b128 v[12:15], v[2:3], off
	v_add_nc_u32_e32 v11, 32, v11
	v_add_co_u32 v2, s0, 0x200, v2
	s_delay_alu instid0(VALU_DEP_1) | instskip(NEXT) | instid1(VALU_DEP_3)
	v_add_co_ci_u32_e64 v3, s0, 0, v3, s0
	v_cmp_le_i32_e64 s1, s2, v11
	s_delay_alu instid0(VALU_DEP_1)
	s_or_b32 s8, s1, s8
	s_waitcnt vmcnt(0)
	ds_store_b128 v4, v[12:15]
	v_add_nc_u32_e32 v4, 0x200, v4
	s_and_not1_b32 exec_lo, exec_lo, s8
	s_cbranch_execnz .LBB85_6
.LBB85_7:
	s_or_b32 exec_lo, exec_lo, s20
	s_delay_alu instid0(SALU_CYCLE_1)
	s_and_b32 exec_lo, exec_lo, vcc_lo
	s_cbranch_execz .LBB85_20
; %bb.8:
	s_waitcnt lgkmcnt(0)
	s_clause 0x1
	global_load_b32 v3, v7, s[4:5]
	global_load_b32 v4, v7, s[6:7]
	s_abs_i32 s2, s3
	v_or_b32_e32 v12, 2, v7
	v_cvt_f32_u32_e32 v2, s2
	s_sub_i32 s0, 0, s2
	v_lshl_add_u32 v16, v10, 2, 0
	v_mbcnt_lo_u32_b32 v10, -1, 0
	s_add_i32 s1, s18, s17
	v_rcp_iflag_f32_e32 v2, v2
	v_add_nc_u32_e32 v20, s15, v9
	s_lshl_b32 s4, s14, 2
	s_add_i32 s1, s1, s16
	v_xor_b32_e32 v13, 8, v10
	s_sub_i32 s1, s1, s4
	v_xor_b32_e32 v14, 4, v10
	v_mul_lo_u32 v1, s1, v1
	v_xor_b32_e32 v15, 2, v10
	v_xor_b32_e32 v17, 1, v10
	v_mul_f32_e32 v2, 0x4f7ffffe, v2
	s_mov_b32 s4, 0
	s_delay_alu instid0(VALU_DEP_4) | instskip(NEXT) | instid1(VALU_DEP_2)
	v_lshl_add_u32 v1, v1, 6, v8
	v_cvt_u32_f32_e32 v2, v2
	s_delay_alu instid0(VALU_DEP_1) | instskip(SKIP_1) | instid1(SALU_CYCLE_1)
	v_mul_lo_u32 v11, s0, v2
	s_lshr_b32 s0, s3, 31
	s_add_i32 s0, s3, s0
	s_mov_b32 s3, 0
	s_ashr_i32 s0, s0, 1
	s_delay_alu instid0(SALU_CYCLE_1) | instskip(NEXT) | instid1(VALU_DEP_2)
	v_lshl_add_u32 v18, s0, 2, v16
	v_mul_hi_u32 v11, v2, v11
	v_cmp_gt_i32_e32 vcc_lo, s0, v0
	s_lshr_b32 s0, s0, 1
	s_delay_alu instid0(SALU_CYCLE_1) | instskip(SKIP_4) | instid1(VALU_DEP_2)
	v_xor_b32_e32 v19, s0, v10
	v_cmp_gt_u32_e64 s0, s0, v0
	v_lshl_or_b32 v0, v0, 1, v1
	v_add_nc_u32_e32 v2, v2, v11
	v_xor_b32_e32 v11, 16, v10
	v_mul_hi_u32 v9, v7, v2
	v_mul_hi_u32 v2, v12, v2
	s_delay_alu instid0(VALU_DEP_3) | instskip(NEXT) | instid1(VALU_DEP_1)
	v_cmp_gt_i32_e64 s1, 32, v11
	v_cndmask_b32_e64 v11, v10, v11, s1
	s_delay_alu instid0(VALU_DEP_4) | instskip(NEXT) | instid1(VALU_DEP_4)
	v_mul_lo_u32 v9, v9, s2
	v_mul_lo_u32 v2, v2, s2
	v_cmp_gt_i32_e64 s1, 32, v13
	s_delay_alu instid0(VALU_DEP_4) | instskip(NEXT) | instid1(VALU_DEP_4)
	v_lshlrev_b32_e32 v8, 2, v11
	v_sub_nc_u32_e32 v9, v7, v9
	s_delay_alu instid0(VALU_DEP_4) | instskip(NEXT) | instid1(VALU_DEP_4)
	v_sub_nc_u32_e32 v2, v12, v2
	v_cndmask_b32_e64 v12, v10, v13, s1
	v_cmp_gt_i32_e64 s1, 32, v14
	v_add3_u32 v7, v20, v7, 0
	v_subrev_nc_u32_e32 v13, s2, v9
	v_subrev_nc_u32_e32 v21, s2, v2
	s_delay_alu instid0(VALU_DEP_4) | instskip(SKIP_1) | instid1(VALU_DEP_1)
	v_cndmask_b32_e64 v14, v10, v14, s1
	v_cmp_le_u32_e64 s1, s2, v9
	v_cndmask_b32_e64 v9, v9, v13, s1
	v_cmp_le_u32_e64 s1, s2, v2
	s_delay_alu instid0(VALU_DEP_1) | instskip(SKIP_1) | instid1(VALU_DEP_2)
	v_cndmask_b32_e64 v2, v2, v21, s1
	v_cmp_gt_i32_e64 s1, 32, v15
	v_subrev_nc_u32_e32 v21, s2, v2
	s_delay_alu instid0(VALU_DEP_2) | instskip(SKIP_1) | instid1(VALU_DEP_2)
	v_cndmask_b32_e64 v13, v10, v15, s1
	v_cmp_gt_i32_e64 s1, 32, v17
	v_lshlrev_b32_e32 v11, 2, v13
	s_delay_alu instid0(VALU_DEP_2) | instskip(SKIP_2) | instid1(VALU_DEP_2)
	v_cndmask_b32_e64 v15, v10, v17, s1
	v_cmp_gt_i32_e64 s1, 32, v19
	v_subrev_nc_u32_e32 v17, s2, v9
	v_cndmask_b32_e64 v19, v10, v19, s1
	v_cmp_le_u32_e64 s1, s2, v9
	v_lshlrev_b32_e32 v10, 2, v14
	s_delay_alu instid0(VALU_DEP_3) | instskip(NEXT) | instid1(VALU_DEP_3)
	v_lshlrev_b32_e32 v13, 2, v19
	v_cndmask_b32_e64 v9, v9, v17, s1
	v_cmp_le_u32_e64 s1, s2, v2
	s_delay_alu instid0(VALU_DEP_2) | instskip(NEXT) | instid1(VALU_DEP_2)
	v_lshlrev_b32_e32 v17, 1, v9
	v_cndmask_b32_e64 v2, v2, v21, s1
	v_lshlrev_b32_e32 v9, 2, v12
	v_lshlrev_b32_e32 v12, 2, v15
	s_delay_alu instid0(VALU_DEP_4) | instskip(NEXT) | instid1(VALU_DEP_4)
	v_and_b32_e32 v17, -4, v17
	v_lshlrev_b32_e32 v2, 1, v2
	s_delay_alu instid0(VALU_DEP_2) | instskip(NEXT) | instid1(VALU_DEP_2)
	v_add_nc_u32_e32 v14, v16, v17
	v_and_b32_e32 v2, -4, v2
	v_add_nc_u32_e32 v15, v18, v17
	s_delay_alu instid0(VALU_DEP_2)
	v_add_nc_u32_e32 v16, v16, v2
	v_add_nc_u32_e32 v17, v18, v2
	s_waitcnt vmcnt(1)
	v_lshrrev_b32_e32 v18, 16, v3
	s_waitcnt vmcnt(0)
	v_lshrrev_b32_e32 v19, 16, v4
	s_branch .LBB85_10
.LBB85_9:                               ;   in Loop: Header=BB85_10 Depth=1
	s_or_b32 exec_lo, exec_lo, s2
	v_ashrrev_i32_e32 v1, 31, v0
	v_lshrrev_b32_e32 v20, 16, v20
	s_add_i32 s4, s4, 1
	v_add_nc_u32_e32 v7, 0x80, v7
	v_cmp_ge_i32_e64 s1, s4, v6
	v_lshlrev_b64 v[1:2], 1, v[0:1]
	v_and_or_b32 v20, 0xffff0000, v21, v20
	v_add_nc_u32_e32 v0, 64, v0
	s_delay_alu instid0(VALU_DEP_4) | instskip(NEXT) | instid1(VALU_DEP_3)
	s_or_b32 s3, s1, s3
	v_add_co_u32 v1, s2, s12, v1
	s_delay_alu instid0(VALU_DEP_1)
	v_add_co_ci_u32_e64 v2, s2, s13, v2, s2
	global_store_b32 v[1:2], v20, off
	s_and_not1_b32 exec_lo, exec_lo, s3
	s_cbranch_execz .LBB85_20
.LBB85_10:                              ; =>This Inner Loop Header: Depth=1
	ds_load_b32 v1, v7
	s_waitcnt lgkmcnt(0)
	v_and_b32_e32 v20, 0xffff0000, v1
	v_lshlrev_b32_e32 v2, 16, v1
	s_delay_alu instid0(VALU_DEP_1) | instskip(NEXT) | instid1(VALU_DEP_1)
	v_mul_f32_e32 v1, v2, v2
	v_fmac_f32_e32 v1, v20, v20
	ds_bpermute_b32 v21, v8, v1
	s_waitcnt lgkmcnt(0)
	v_add_f32_e32 v1, v1, v21
	ds_bpermute_b32 v21, v9, v1
	s_waitcnt lgkmcnt(0)
	v_add_f32_e32 v1, v1, v21
	;; [unrolled: 3-line block ×5, first 2 shown]
	s_delay_alu instid0(VALU_DEP_1) | instskip(NEXT) | instid1(VALU_DEP_1)
	v_fma_f32 v1, 0x3c800000, v1, s19
	v_mul_f32_e32 v21, 0x4b800000, v1
	v_cmp_gt_f32_e64 s1, 0x800000, v1
	s_delay_alu instid0(VALU_DEP_1) | instskip(SKIP_1) | instid1(VALU_DEP_2)
	v_cndmask_b32_e64 v1, v1, v21, s1
	v_add_nc_u32_e32 v21, s4, v5
	v_rsq_f32_e32 v1, v1
	s_delay_alu instid0(VALU_DEP_1) | instskip(NEXT) | instid1(VALU_DEP_1)
	v_cmp_gt_i32_e64 s2, s16, v21
	v_cndmask_b32_e64 v21, v4, v3, s2
	v_cndmask_b32_e64 v23, v19, v18, s2
	s_waitcnt_depctr 0xfff
	v_mul_f32_e32 v22, 0x45800000, v1
	v_lshlrev_b32_e32 v21, 16, v21
	s_delay_alu instid0(VALU_DEP_2) | instskip(NEXT) | instid1(VALU_DEP_1)
	v_cndmask_b32_e64 v1, v1, v22, s1
	v_dual_mul_f32 v21, v1, v21 :: v_dual_lshlrev_b32 v22, 16, v23
	s_delay_alu instid0(VALU_DEP_1) | instskip(NEXT) | instid1(VALU_DEP_1)
	v_mul_f32_e32 v22, v1, v22
	v_dual_mul_f32 v1, v21, v2 :: v_dual_mul_f32 v2, v22, v20
	s_and_saveexec_b32 s1, vcc_lo
	s_cbranch_execz .LBB85_12
; %bb.11:                               ;   in Loop: Header=BB85_10 Depth=1
	ds_bpermute_b32 v20, v13, v1
	ds_bpermute_b32 v21, v13, v2
	; wave barrier
	ds_load_b32 v22, v15
	ds_load_b32 v23, v17
	ds_load_b32 v24, v14
	ds_load_b32 v25, v16
	; wave barrier
	s_waitcnt lgkmcnt(5)
	v_cndmask_b32_e64 v20, v20, -v20, s0
	s_waitcnt lgkmcnt(4)
	v_cndmask_b32_e64 v21, v21, -v21, s0
	s_waitcnt lgkmcnt(2)
	s_delay_alu instid0(VALU_DEP_1) | instskip(SKIP_1) | instid1(VALU_DEP_1)
	v_dual_mul_f32 v20, v20, v22 :: v_dual_mul_f32 v21, v21, v23
	s_waitcnt lgkmcnt(0)
	v_dual_fmac_f32 v20, v1, v24 :: v_dual_fmac_f32 v21, v2, v25
	s_delay_alu instid0(VALU_DEP_1)
	v_dual_mov_b32 v1, v20 :: v_dual_mov_b32 v2, v21
.LBB85_12:                              ;   in Loop: Header=BB85_10 Depth=1
	s_or_b32 exec_lo, exec_lo, s1
	s_delay_alu instid0(VALU_DEP_1) | instskip(NEXT) | instid1(VALU_DEP_1)
	v_and_b32_e32 v20, 0x7f800000, v1
	v_cmp_ne_u32_e64 s1, 0x7f800000, v20
                                        ; implicit-def: $vgpr20
	s_delay_alu instid0(VALU_DEP_1) | instskip(NEXT) | instid1(SALU_CYCLE_1)
	s_and_saveexec_b32 s2, s1
	s_xor_b32 s1, exec_lo, s2
; %bb.13:                               ;   in Loop: Header=BB85_10 Depth=1
	v_bfe_u32 v20, v1, 16, 1
	s_delay_alu instid0(VALU_DEP_1)
	v_add3_u32 v20, v1, v20, 0x7fff
; %bb.14:                               ;   in Loop: Header=BB85_10 Depth=1
	s_and_not1_saveexec_b32 s2, s1
; %bb.15:                               ;   in Loop: Header=BB85_10 Depth=1
	v_and_b32_e32 v20, 0xffff, v1
	v_or_b32_e32 v21, 0x10000, v1
	s_delay_alu instid0(VALU_DEP_2) | instskip(NEXT) | instid1(VALU_DEP_1)
	v_cmp_eq_u32_e64 s1, 0, v20
	v_cndmask_b32_e64 v20, v21, v1, s1
; %bb.16:                               ;   in Loop: Header=BB85_10 Depth=1
	s_or_b32 exec_lo, exec_lo, s2
	v_and_b32_e32 v1, 0x7f800000, v2
                                        ; implicit-def: $vgpr21
	s_delay_alu instid0(VALU_DEP_1) | instskip(NEXT) | instid1(VALU_DEP_1)
	v_cmp_ne_u32_e64 s1, 0x7f800000, v1
	s_and_saveexec_b32 s2, s1
	s_delay_alu instid0(SALU_CYCLE_1)
	s_xor_b32 s1, exec_lo, s2
; %bb.17:                               ;   in Loop: Header=BB85_10 Depth=1
	v_bfe_u32 v1, v2, 16, 1
	s_delay_alu instid0(VALU_DEP_1)
	v_add3_u32 v21, v2, v1, 0x7fff
                                        ; implicit-def: $vgpr1_vgpr2
; %bb.18:                               ;   in Loop: Header=BB85_10 Depth=1
	s_and_not1_saveexec_b32 s2, s1
	s_cbranch_execz .LBB85_9
; %bb.19:                               ;   in Loop: Header=BB85_10 Depth=1
	v_and_b32_e32 v1, 0xffff, v2
	v_or_b32_e32 v21, 0x10000, v2
	s_delay_alu instid0(VALU_DEP_2) | instskip(NEXT) | instid1(VALU_DEP_1)
	v_cmp_eq_u32_e64 s1, 0, v1
	v_cndmask_b32_e64 v21, v21, v2, s1
	s_branch .LBB85_9
.LBB85_20:
	s_nop 0
	s_sendmsg sendmsg(MSG_DEALLOC_VGPRS)
	s_endpgm
	.section	.rodata,"a",@progbits
	.p2align	6, 0x0
	.amdhsa_kernel _ZN12tensorrt_llm7kernels32fusedQKNormRopeKernelNTokenHeadsIN3c108BFloat16EfLi64ELb0ELi4EEEvPviiifPKvS6_S6_PKlii
		.amdhsa_group_segment_fixed_size 0
		.amdhsa_private_segment_fixed_size 0
		.amdhsa_kernarg_size 320
		.amdhsa_user_sgpr_count 15
		.amdhsa_user_sgpr_dispatch_ptr 0
		.amdhsa_user_sgpr_queue_ptr 0
		.amdhsa_user_sgpr_kernarg_segment_ptr 1
		.amdhsa_user_sgpr_dispatch_id 0
		.amdhsa_user_sgpr_private_segment_size 0
		.amdhsa_wavefront_size32 1
		.amdhsa_uses_dynamic_stack 0
		.amdhsa_enable_private_segment 0
		.amdhsa_system_sgpr_workgroup_id_x 1
		.amdhsa_system_sgpr_workgroup_id_y 0
		.amdhsa_system_sgpr_workgroup_id_z 0
		.amdhsa_system_sgpr_workgroup_info 0
		.amdhsa_system_vgpr_workitem_id 0
		.amdhsa_next_free_vgpr 26
		.amdhsa_next_free_sgpr 21
		.amdhsa_reserve_vcc 1
		.amdhsa_float_round_mode_32 0
		.amdhsa_float_round_mode_16_64 0
		.amdhsa_float_denorm_mode_32 3
		.amdhsa_float_denorm_mode_16_64 3
		.amdhsa_dx10_clamp 1
		.amdhsa_ieee_mode 1
		.amdhsa_fp16_overflow 0
		.amdhsa_workgroup_processor_mode 1
		.amdhsa_memory_ordered 1
		.amdhsa_forward_progress 0
		.amdhsa_shared_vgpr_count 0
		.amdhsa_exception_fp_ieee_invalid_op 0
		.amdhsa_exception_fp_denorm_src 0
		.amdhsa_exception_fp_ieee_div_zero 0
		.amdhsa_exception_fp_ieee_overflow 0
		.amdhsa_exception_fp_ieee_underflow 0
		.amdhsa_exception_fp_ieee_inexact 0
		.amdhsa_exception_int_div_zero 0
	.end_amdhsa_kernel
	.section	.text._ZN12tensorrt_llm7kernels32fusedQKNormRopeKernelNTokenHeadsIN3c108BFloat16EfLi64ELb0ELi4EEEvPviiifPKvS6_S6_PKlii,"axG",@progbits,_ZN12tensorrt_llm7kernels32fusedQKNormRopeKernelNTokenHeadsIN3c108BFloat16EfLi64ELb0ELi4EEEvPviiifPKvS6_S6_PKlii,comdat
.Lfunc_end85:
	.size	_ZN12tensorrt_llm7kernels32fusedQKNormRopeKernelNTokenHeadsIN3c108BFloat16EfLi64ELb0ELi4EEEvPviiifPKvS6_S6_PKlii, .Lfunc_end85-_ZN12tensorrt_llm7kernels32fusedQKNormRopeKernelNTokenHeadsIN3c108BFloat16EfLi64ELb0ELi4EEEvPviiifPKvS6_S6_PKlii
                                        ; -- End function
	.section	.AMDGPU.csdata,"",@progbits
; Kernel info:
; codeLenInByte = 2120
; NumSgprs: 23
; NumVgprs: 26
; ScratchSize: 0
; MemoryBound: 0
; FloatMode: 240
; IeeeMode: 1
; LDSByteSize: 0 bytes/workgroup (compile time only)
; SGPRBlocks: 2
; VGPRBlocks: 3
; NumSGPRsForWavesPerEU: 23
; NumVGPRsForWavesPerEU: 26
; Occupancy: 16
; WaveLimiterHint : 0
; COMPUTE_PGM_RSRC2:SCRATCH_EN: 0
; COMPUTE_PGM_RSRC2:USER_SGPR: 15
; COMPUTE_PGM_RSRC2:TRAP_HANDLER: 0
; COMPUTE_PGM_RSRC2:TGID_X_EN: 1
; COMPUTE_PGM_RSRC2:TGID_Y_EN: 0
; COMPUTE_PGM_RSRC2:TGID_Z_EN: 0
; COMPUTE_PGM_RSRC2:TIDIG_COMP_CNT: 0
	.section	.text._ZN12tensorrt_llm7kernels32fusedQKNormRopeKernelNTokenHeadsIN3c108BFloat16EfLi128ELb1ELi4EEEvPviiifPKvS6_S6_PKlii,"axG",@progbits,_ZN12tensorrt_llm7kernels32fusedQKNormRopeKernelNTokenHeadsIN3c108BFloat16EfLi128ELb1ELi4EEEvPviiifPKvS6_S6_PKlii,comdat
	.protected	_ZN12tensorrt_llm7kernels32fusedQKNormRopeKernelNTokenHeadsIN3c108BFloat16EfLi128ELb1ELi4EEEvPviiifPKvS6_S6_PKlii ; -- Begin function _ZN12tensorrt_llm7kernels32fusedQKNormRopeKernelNTokenHeadsIN3c108BFloat16EfLi128ELb1ELi4EEEvPviiifPKvS6_S6_PKlii
	.globl	_ZN12tensorrt_llm7kernels32fusedQKNormRopeKernelNTokenHeadsIN3c108BFloat16EfLi128ELb1ELi4EEEvPviiifPKvS6_S6_PKlii
	.p2align	8
	.type	_ZN12tensorrt_llm7kernels32fusedQKNormRopeKernelNTokenHeadsIN3c108BFloat16EfLi128ELb1ELi4EEEvPviiifPKvS6_S6_PKlii,@function
_ZN12tensorrt_llm7kernels32fusedQKNormRopeKernelNTokenHeadsIN3c108BFloat16EfLi128ELb1ELi4EEEvPviiifPKvS6_S6_PKlii: ; @_ZN12tensorrt_llm7kernels32fusedQKNormRopeKernelNTokenHeadsIN3c108BFloat16EfLi128ELb1ELi4EEEvPviiifPKvS6_S6_PKlii
; %bb.0:
	s_clause 0x1
	s_load_b128 s[16:19], s[0:1], 0x8
	s_load_b64 s[2:3], s[0:1], 0x38
	v_lshrrev_b32_e32 v2, 5, v0
	s_waitcnt lgkmcnt(0)
	s_add_i32 s4, s17, s16
	s_delay_alu instid0(SALU_CYCLE_1) | instskip(NEXT) | instid1(SALU_CYCLE_1)
	s_add_i32 s5, s4, 3
	s_ashr_i32 s6, s5, 31
	s_delay_alu instid0(SALU_CYCLE_1) | instskip(NEXT) | instid1(SALU_CYCLE_1)
	s_lshr_b32 s6, s6, 30
	s_add_i32 s5, s5, s6
	s_delay_alu instid0(SALU_CYCLE_1) | instskip(SKIP_2) | instid1(SALU_CYCLE_1)
	s_ashr_i32 s14, s5, 2
	s_load_b32 s5, s[0:1], 0x4c
	s_abs_i32 s6, s14
	v_cvt_f32_u32_e32 v1, s6
	s_sub_i32 s7, 0, s6
	s_delay_alu instid0(VALU_DEP_1) | instskip(SKIP_4) | instid1(SALU_CYCLE_1)
	v_rcp_iflag_f32_e32 v1, v1
	s_waitcnt_depctr 0xfff
	v_mul_f32_e32 v1, 0x4f7ffffe, v1
	s_waitcnt lgkmcnt(0)
	s_bfe_u32 s5, s5, 0xb0005
	v_mad_u64_u32 v[3:4], null, s15, s5, v[2:3]
	s_delay_alu instid0(VALU_DEP_2) | instskip(NEXT) | instid1(VALU_DEP_1)
	v_cvt_u32_f32_e32 v1, v1
	v_mul_lo_u32 v5, s7, v1
	s_delay_alu instid0(VALU_DEP_1) | instskip(NEXT) | instid1(VALU_DEP_4)
	v_mul_hi_u32 v4, v1, v5
	v_sub_nc_u32_e32 v5, 0, v3
	s_delay_alu instid0(VALU_DEP_1) | instskip(NEXT) | instid1(VALU_DEP_3)
	v_max_i32_e32 v5, v3, v5
	v_add_nc_u32_e32 v1, v1, v4
	s_delay_alu instid0(VALU_DEP_1) | instskip(NEXT) | instid1(VALU_DEP_1)
	v_mul_hi_u32 v1, v5, v1
	v_mul_lo_u32 v4, v1, s6
	s_delay_alu instid0(VALU_DEP_1) | instskip(SKIP_1) | instid1(VALU_DEP_2)
	v_sub_nc_u32_e32 v4, v5, v4
	v_add_nc_u32_e32 v5, 1, v1
	v_subrev_nc_u32_e32 v6, s6, v4
	v_cmp_le_u32_e32 vcc_lo, s6, v4
	s_delay_alu instid0(VALU_DEP_2) | instskip(SKIP_1) | instid1(VALU_DEP_2)
	v_dual_cndmask_b32 v4, v4, v6 :: v_dual_cndmask_b32 v1, v1, v5
	v_xor_b32_e32 v5, s14, v3
	v_cmp_le_u32_e32 vcc_lo, s6, v4
	s_delay_alu instid0(VALU_DEP_3) | instskip(NEXT) | instid1(VALU_DEP_3)
	v_add_nc_u32_e32 v6, 1, v1
	v_ashrrev_i32_e32 v5, 31, v5
	s_delay_alu instid0(VALU_DEP_2) | instskip(NEXT) | instid1(VALU_DEP_1)
	v_cndmask_b32_e32 v1, v1, v6, vcc_lo
	v_xor_b32_e32 v1, v1, v5
	s_delay_alu instid0(VALU_DEP_1) | instskip(NEXT) | instid1(VALU_DEP_1)
	v_sub_nc_u32_e32 v1, v1, v5
	v_cmp_gt_i32_e32 vcc_lo, s2, v1
	s_and_saveexec_b32 s2, vcc_lo
	s_cbranch_execz .LBB86_28
; %bb.1:
	v_mul_lo_u32 v4, v1, s14
	s_load_b64 s[12:13], s[0:1], 0x0
	v_and_b32_e32 v0, 31, v0
	v_lshlrev_b32_e32 v13, 10, v2
	v_lshlrev_b32_e32 v8, 9, v3
	s_lshl_b32 s20, s3, 2
	s_delay_alu instid0(VALU_DEP_3) | instskip(SKIP_2) | instid1(VALU_DEP_1)
	v_lshlrev_b32_e32 v9, 3, v0
	v_sub_nc_u32_e32 v4, v3, v4
	s_mul_i32 s15, s20, s5
	v_lshlrev_b32_e32 v10, 2, v4
	s_delay_alu instid0(VALU_DEP_1) | instskip(SKIP_1) | instid1(VALU_DEP_2)
	v_add_nc_u32_e32 v4, 4, v10
	v_sub_nc_u32_e32 v5, s4, v10
	v_cmp_lt_i32_e32 vcc_lo, s4, v4
	s_delay_alu instid0(VALU_DEP_2) | instskip(NEXT) | instid1(VALU_DEP_1)
	v_cndmask_b32_e32 v11, 4, v5, vcc_lo
	v_cmp_lt_i32_e32 vcc_lo, 0, v11
	s_and_saveexec_b32 s4, vcc_lo
	s_cbranch_execz .LBB86_4
; %bb.2:
	s_add_i32 s2, s18, s17
	s_lshl_b32 s5, s14, 2
	s_add_i32 s2, s2, s16
	s_mov_b32 s6, 0
	s_sub_i32 s2, s2, s5
	s_mov_b32 s5, 0
	v_mul_lo_u32 v3, s2, v1
	s_add_i32 s2, s15, 0
	s_delay_alu instid0(SALU_CYCLE_1) | instskip(NEXT) | instid1(VALU_DEP_2)
	v_add3_u32 v5, s2, v13, v9
	v_lshl_add_u32 v3, v3, 7, v8
	s_delay_alu instid0(VALU_DEP_1)
	v_lshl_or_b32 v3, v0, 2, v3
	.p2align	6
.LBB86_3:                               ; =>This Inner Loop Header: Depth=1
	s_delay_alu instid0(VALU_DEP_1) | instskip(SKIP_1) | instid1(VALU_DEP_1)
	v_ashrrev_i32_e32 v4, 31, v3
	s_add_i32 s6, s6, 1
	v_lshlrev_b64 v[6:7], 1, v[3:4]
	v_add_nc_u32_e32 v3, 0x80, v3
	s_waitcnt lgkmcnt(0)
	s_delay_alu instid0(VALU_DEP_2) | instskip(NEXT) | instid1(VALU_DEP_1)
	v_add_co_u32 v6, s2, s12, v6
	v_add_co_ci_u32_e64 v7, s2, s13, v7, s2
	v_cmp_ge_i32_e64 s2, s6, v11
	global_load_b64 v[6:7], v[6:7], off
	s_or_b32 s5, s2, s5
	s_waitcnt vmcnt(0)
	ds_store_b64 v5, v[6:7]
	v_add_nc_u32_e32 v5, 0x100, v5
	s_and_not1_b32 exec_lo, exec_lo, s5
	s_cbranch_execnz .LBB86_3
.LBB86_4:
	s_or_b32 exec_lo, exec_lo, s4
	s_load_b256 s[4:11], s[0:1], 0x18
	v_mul_lo_u32 v2, v2, s3
	s_add_i32 s0, s20, 15
	s_mov_b32 s20, exec_lo
	s_ashr_i32 s1, s0, 31
	s_delay_alu instid0(SALU_CYCLE_1) | instskip(NEXT) | instid1(SALU_CYCLE_1)
	s_lshr_b32 s1, s1, 28
	s_add_i32 s0, s0, s1
	s_delay_alu instid0(VALU_DEP_1) | instskip(SKIP_1) | instid1(SALU_CYCLE_1)
	v_lshlrev_b32_e32 v12, 2, v2
	s_ashr_i32 s2, s0, 4
	v_cmpx_gt_i32_e64 s2, v0
	s_cbranch_execz .LBB86_7
; %bb.5:
	v_ashrrev_i32_e32 v2, 31, v1
	s_delay_alu instid0(VALU_DEP_1) | instskip(SKIP_1) | instid1(VALU_DEP_1)
	v_lshlrev_b64 v[2:3], 3, v[1:2]
	s_waitcnt lgkmcnt(0)
	v_add_co_u32 v2, s0, s10, v2
	s_delay_alu instid0(VALU_DEP_1)
	v_add_co_ci_u32_e64 v3, s0, s11, v3, s0
	s_ashr_i32 s0, s3, 31
	global_load_b64 v[2:3], v[2:3], off
	s_waitcnt vmcnt(0)
	v_mul_lo_u32 v5, v3, s3
	v_mul_lo_u32 v6, v2, s0
	v_mad_u64_u32 v[3:4], null, v2, s3, 0
	s_delay_alu instid0(VALU_DEP_1) | instskip(SKIP_1) | instid1(VALU_DEP_2)
	v_add3_u32 v4, v4, v6, v5
	v_mov_b32_e32 v5, v0
	v_lshlrev_b64 v[2:3], 2, v[3:4]
	v_lshlrev_b32_e32 v4, 4, v0
	s_delay_alu instid0(VALU_DEP_1) | instskip(NEXT) | instid1(VALU_DEP_1)
	v_add_co_u32 v2, s0, v2, v4
	v_add_co_ci_u32_e64 v3, s0, 0, v3, s0
	v_add3_u32 v4, v12, v4, 0
	s_delay_alu instid0(VALU_DEP_3) | instskip(NEXT) | instid1(VALU_DEP_1)
	v_add_co_u32 v2, s0, s8, v2
	v_add_co_ci_u32_e64 v3, s0, s9, v3, s0
	s_mov_b32 s8, 0
	.p2align	6
.LBB86_6:                               ; =>This Inner Loop Header: Depth=1
	global_load_b128 v[14:17], v[2:3], off
	v_add_nc_u32_e32 v5, 32, v5
	v_add_co_u32 v2, s0, 0x200, v2
	s_delay_alu instid0(VALU_DEP_1) | instskip(NEXT) | instid1(VALU_DEP_3)
	v_add_co_ci_u32_e64 v3, s0, 0, v3, s0
	v_cmp_le_i32_e64 s1, s2, v5
	s_delay_alu instid0(VALU_DEP_1)
	s_or_b32 s8, s1, s8
	s_waitcnt vmcnt(0)
	ds_store_b128 v4, v[14:17]
	v_add_nc_u32_e32 v4, 0x200, v4
	s_and_not1_b32 exec_lo, exec_lo, s8
	s_cbranch_execnz .LBB86_6
.LBB86_7:
	s_or_b32 exec_lo, exec_lo, s20
	s_delay_alu instid0(SALU_CYCLE_1)
	s_and_b32 exec_lo, exec_lo, vcc_lo
	s_cbranch_execz .LBB86_28
; %bb.8:
	s_waitcnt lgkmcnt(0)
	s_clause 0x1
	global_load_b64 v[4:5], v9, s[4:5]
	global_load_b64 v[6:7], v9, s[6:7]
	v_mbcnt_lo_u32_b32 v2, -1, 0
	s_lshr_b32 s0, s3, 31
	v_add3_u32 v12, 0, v12, v9
	s_add_i32 s0, s3, s0
	v_add_nc_u32_e32 v3, s15, v13
	v_xor_b32_e32 v14, 16, v2
	s_lshl_b32 s0, s0, 1
	v_xor_b32_e32 v15, 8, v2
	s_and_b32 s0, s0, -4
	v_xor_b32_e32 v16, 4, v2
	v_add_nc_u32_e32 v13, s0, v12
	v_cmp_gt_i32_e64 s0, 32, v14
	v_xor_b32_e32 v17, 2, v2
	s_add_i32 s2, s18, s17
	s_lshl_b32 s4, s14, 2
	s_add_i32 s2, s2, s16
	v_cndmask_b32_e64 v14, v2, v14, s0
	v_cmp_gt_i32_e64 s0, 32, v15
	s_sub_i32 s2, s2, s4
	v_xor_b32_e32 v18, 1, v2
	v_mul_lo_u32 v1, s2, v1
	s_ashr_i32 s1, s3, 31
	v_cndmask_b32_e64 v15, v2, v15, s0
	v_cmp_gt_i32_e64 s0, 32, v16
	s_lshr_b32 s1, s1, 30
	v_lshlrev_b32_e32 v14, 2, v14
	s_add_i32 s1, s3, s1
	v_lshlrev_b32_e32 v15, 2, v15
	v_cndmask_b32_e64 v16, v2, v16, s0
	v_cmp_gt_i32_e64 s0, 32, v17
	v_lshl_add_u32 v1, v1, 7, v8
	s_ashr_i32 s1, s1, 2
	v_add3_u32 v23, v3, v9, 0
	v_cmp_gt_i32_e32 vcc_lo, s1, v0
	v_cndmask_b32_e64 v17, v2, v17, s0
	v_cmp_gt_i32_e64 s0, 32, v18
	v_lshlrev_b32_e32 v16, 2, v16
	v_lshl_or_b32 v8, v0, 2, v1
	s_mov_b32 s2, 0
	v_lshlrev_b32_e32 v17, 2, v17
	v_cndmask_b32_e64 v2, v2, v18, s0
	s_mov_b32 s3, 0
	s_delay_alu instid0(VALU_DEP_1)
	v_lshlrev_b32_e32 v18, 2, v2
	s_waitcnt vmcnt(1)
	v_lshrrev_b32_e32 v19, 16, v4
	v_lshrrev_b32_e32 v20, 16, v5
	s_waitcnt vmcnt(0)
	v_lshrrev_b32_e32 v21, 16, v6
	v_lshrrev_b32_e32 v22, 16, v7
	s_branch .LBB86_10
.LBB86_9:                               ;   in Loop: Header=BB86_10 Depth=1
	s_or_b32 exec_lo, exec_lo, s1
	v_ashrrev_i32_e32 v9, 31, v8
	v_lshrrev_b32_e32 v2, 16, v26
	v_and_b32_e32 v3, 0xffff0000, v27
	s_add_i32 s3, s3, 1
	v_add_nc_u32_e32 v23, 0x100, v23
	v_lshlrev_b64 v[0:1], 1, v[8:9]
	v_lshrrev_b32_e32 v9, 16, v24
	v_cmp_ge_i32_e64 s0, s3, v11
	v_or_b32_e32 v2, v3, v2
	v_add_nc_u32_e32 v8, 0x80, v8
	v_add_co_u32 v26, s1, s12, v0
	s_delay_alu instid0(VALU_DEP_1)
	v_add_co_ci_u32_e64 v27, s1, s13, v1, s1
	v_and_or_b32 v1, 0xffff0000, v25, v9
	s_or_b32 s2, s0, s2
	global_store_b64 v[26:27], v[1:2], off
	s_and_not1_b32 exec_lo, exec_lo, s2
	s_cbranch_execz .LBB86_28
.LBB86_10:                              ; =>This Inner Loop Header: Depth=1
	ds_load_b64 v[0:1], v23
	s_waitcnt lgkmcnt(0)
	v_lshlrev_b32_e32 v3, 16, v0
	v_and_b32_e32 v2, 0xffff0000, v0
	v_alignbit_b32 v0, v1, v0, 16
	v_and_b32_e32 v25, 0xffff0000, v1
	s_delay_alu instid0(VALU_DEP_2) | instskip(NEXT) | instid1(VALU_DEP_1)
	v_dual_mul_f32 v9, v2, v2 :: v_dual_and_b32 v24, 0xffff0000, v0
	v_fmac_f32_e32 v9, v3, v3
	s_delay_alu instid0(VALU_DEP_1) | instskip(NEXT) | instid1(VALU_DEP_1)
	v_fmac_f32_e32 v9, v24, v24
	v_fmac_f32_e32 v9, v25, v25
	ds_bpermute_b32 v0, v14, v9
	s_waitcnt lgkmcnt(0)
	v_add_f32_e32 v0, v9, v0
	ds_bpermute_b32 v1, v15, v0
	s_waitcnt lgkmcnt(0)
	v_add_f32_e32 v0, v0, v1
	ds_bpermute_b32 v1, v16, v0
	s_waitcnt lgkmcnt(0)
	v_add_f32_e32 v0, v0, v1
	ds_bpermute_b32 v1, v17, v0
	s_waitcnt lgkmcnt(0)
	v_add_f32_e32 v0, v0, v1
	ds_bpermute_b32 v1, v18, v0
	s_waitcnt lgkmcnt(0)
	v_add_f32_e32 v0, v0, v1
	s_delay_alu instid0(VALU_DEP_1) | instskip(NEXT) | instid1(VALU_DEP_1)
	v_fma_f32 v0, 0x3c000000, v0, s19
	v_mul_f32_e32 v1, 0x4b800000, v0
	v_cmp_gt_f32_e64 s0, 0x800000, v0
	s_delay_alu instid0(VALU_DEP_1) | instskip(SKIP_1) | instid1(VALU_DEP_2)
	v_cndmask_b32_e64 v0, v0, v1, s0
	v_add_nc_u32_e32 v1, s3, v10
	v_rsq_f32_e32 v0, v0
	s_delay_alu instid0(VALU_DEP_1) | instskip(NEXT) | instid1(VALU_DEP_1)
	v_cmp_gt_i32_e64 s1, s16, v1
	v_cndmask_b32_e64 v26, v21, v19, s1
	v_cndmask_b32_e64 v27, v7, v5, s1
	;; [unrolled: 1-line block ×4, first 2 shown]
	s_waitcnt_depctr 0xfff
	v_mul_f32_e32 v9, 0x45800000, v0
	s_delay_alu instid0(VALU_DEP_1) | instskip(SKIP_3) | instid1(VALU_DEP_3)
	v_cndmask_b32_e64 v0, v0, v9, s0
	v_lshlrev_b32_e32 v9, 16, v26
	v_lshlrev_b32_e32 v26, 16, v27
	;; [unrolled: 1-line block ×3, first 2 shown]
	v_mul_f32_e32 v9, v0, v9
	s_delay_alu instid0(VALU_DEP_3) | instskip(NEXT) | instid1(VALU_DEP_3)
	v_dual_mul_f32 v26, v0, v26 :: v_dual_lshlrev_b32 v1, 16, v1
	v_mul_f32_e32 v27, v0, v27
	s_delay_alu instid0(VALU_DEP_2) | instskip(NEXT) | instid1(VALU_DEP_1)
	v_mul_f32_e32 v1, v0, v1
	v_mul_f32_e32 v0, v1, v3
	s_delay_alu instid0(VALU_DEP_4) | instskip(NEXT) | instid1(VALU_DEP_4)
	v_dual_mul_f32 v1, v9, v2 :: v_dual_mul_f32 v2, v26, v24
	v_mul_f32_e32 v3, v27, v25
	s_and_saveexec_b32 s0, vcc_lo
	s_cbranch_execz .LBB86_12
; %bb.11:                               ;   in Loop: Header=BB86_10 Depth=1
	ds_load_2addr_b32 v[25:26], v13 offset1:1
	ds_load_2addr_b32 v[28:29], v12 offset1:1
	s_waitcnt lgkmcnt(1)
	v_dual_mul_f32 v9, v1, v25 :: v_dual_mul_f32 v30, v3, v26
	v_mul_f32_e32 v25, v0, v25
	v_mul_f32_e32 v27, v2, v26
	s_waitcnt lgkmcnt(0)
	s_delay_alu instid0(VALU_DEP_3) | instskip(SKIP_3) | instid1(VALU_DEP_4)
	v_fma_f32 v24, v0, v28, -v9
	v_fma_f32 v26, v2, v29, -v30
	v_fmac_f32_e32 v25, v1, v28
	v_fmac_f32_e32 v27, v3, v29
	v_mov_b32_e32 v0, v24
	s_delay_alu instid0(VALU_DEP_3) | instskip(NEXT) | instid1(VALU_DEP_3)
	v_dual_mov_b32 v2, v26 :: v_dual_mov_b32 v1, v25
	v_mov_b32_e32 v3, v27
.LBB86_12:                              ;   in Loop: Header=BB86_10 Depth=1
	s_or_b32 exec_lo, exec_lo, s0
	s_delay_alu instid0(VALU_DEP_3) | instskip(NEXT) | instid1(VALU_DEP_1)
	v_and_b32_e32 v9, 0x7f800000, v0
                                        ; implicit-def: $vgpr24
	v_cmp_ne_u32_e64 s0, 0x7f800000, v9
	s_delay_alu instid0(VALU_DEP_1) | instskip(NEXT) | instid1(SALU_CYCLE_1)
	s_and_saveexec_b32 s1, s0
	s_xor_b32 s0, exec_lo, s1
; %bb.13:                               ;   in Loop: Header=BB86_10 Depth=1
	v_bfe_u32 v9, v0, 16, 1
	s_delay_alu instid0(VALU_DEP_1)
	v_add3_u32 v24, v0, v9, 0x7fff
; %bb.14:                               ;   in Loop: Header=BB86_10 Depth=1
	s_and_not1_saveexec_b32 s1, s0
; %bb.15:                               ;   in Loop: Header=BB86_10 Depth=1
	v_and_b32_e32 v9, 0xffff, v0
	v_or_b32_e32 v24, 0x10000, v0
	s_delay_alu instid0(VALU_DEP_2) | instskip(NEXT) | instid1(VALU_DEP_1)
	v_cmp_eq_u32_e64 s0, 0, v9
	v_cndmask_b32_e64 v24, v24, v0, s0
; %bb.16:                               ;   in Loop: Header=BB86_10 Depth=1
	s_or_b32 exec_lo, exec_lo, s1
	v_and_b32_e32 v0, 0x7f800000, v1
                                        ; implicit-def: $vgpr25
	s_delay_alu instid0(VALU_DEP_1) | instskip(NEXT) | instid1(VALU_DEP_1)
	v_cmp_ne_u32_e64 s0, 0x7f800000, v0
	s_and_saveexec_b32 s1, s0
	s_delay_alu instid0(SALU_CYCLE_1)
	s_xor_b32 s0, exec_lo, s1
; %bb.17:                               ;   in Loop: Header=BB86_10 Depth=1
	v_bfe_u32 v0, v1, 16, 1
	s_delay_alu instid0(VALU_DEP_1)
	v_add3_u32 v25, v1, v0, 0x7fff
; %bb.18:                               ;   in Loop: Header=BB86_10 Depth=1
	s_and_not1_saveexec_b32 s1, s0
; %bb.19:                               ;   in Loop: Header=BB86_10 Depth=1
	v_and_b32_e32 v0, 0xffff, v1
	v_or_b32_e32 v9, 0x10000, v1
	s_delay_alu instid0(VALU_DEP_2) | instskip(NEXT) | instid1(VALU_DEP_1)
	v_cmp_eq_u32_e64 s0, 0, v0
	v_cndmask_b32_e64 v25, v9, v1, s0
; %bb.20:                               ;   in Loop: Header=BB86_10 Depth=1
	s_or_b32 exec_lo, exec_lo, s1
	v_and_b32_e32 v0, 0x7f800000, v2
                                        ; implicit-def: $vgpr26
	s_delay_alu instid0(VALU_DEP_1) | instskip(NEXT) | instid1(VALU_DEP_1)
	v_cmp_ne_u32_e64 s0, 0x7f800000, v0
	s_and_saveexec_b32 s1, s0
	s_delay_alu instid0(SALU_CYCLE_1)
	s_xor_b32 s0, exec_lo, s1
; %bb.21:                               ;   in Loop: Header=BB86_10 Depth=1
	v_bfe_u32 v0, v2, 16, 1
	s_delay_alu instid0(VALU_DEP_1)
	v_add3_u32 v26, v2, v0, 0x7fff
; %bb.22:                               ;   in Loop: Header=BB86_10 Depth=1
	s_and_not1_saveexec_b32 s1, s0
; %bb.23:                               ;   in Loop: Header=BB86_10 Depth=1
	v_and_b32_e32 v0, 0xffff, v2
	v_or_b32_e32 v1, 0x10000, v2
	s_delay_alu instid0(VALU_DEP_2) | instskip(NEXT) | instid1(VALU_DEP_1)
	v_cmp_eq_u32_e64 s0, 0, v0
	v_cndmask_b32_e64 v26, v1, v2, s0
; %bb.24:                               ;   in Loop: Header=BB86_10 Depth=1
	s_or_b32 exec_lo, exec_lo, s1
	v_and_b32_e32 v0, 0x7f800000, v3
                                        ; implicit-def: $vgpr27
	s_delay_alu instid0(VALU_DEP_1) | instskip(NEXT) | instid1(VALU_DEP_1)
	v_cmp_ne_u32_e64 s0, 0x7f800000, v0
	s_and_saveexec_b32 s1, s0
	s_delay_alu instid0(SALU_CYCLE_1)
	s_xor_b32 s0, exec_lo, s1
; %bb.25:                               ;   in Loop: Header=BB86_10 Depth=1
	v_bfe_u32 v0, v3, 16, 1
	s_delay_alu instid0(VALU_DEP_1)
	v_add3_u32 v27, v3, v0, 0x7fff
                                        ; implicit-def: $vgpr0_vgpr1_vgpr2_vgpr3
; %bb.26:                               ;   in Loop: Header=BB86_10 Depth=1
	s_and_not1_saveexec_b32 s1, s0
	s_cbranch_execz .LBB86_9
; %bb.27:                               ;   in Loop: Header=BB86_10 Depth=1
	v_and_b32_e32 v0, 0xffff, v3
	v_or_b32_e32 v1, 0x10000, v3
	s_delay_alu instid0(VALU_DEP_2) | instskip(NEXT) | instid1(VALU_DEP_1)
	v_cmp_eq_u32_e64 s0, 0, v0
	v_cndmask_b32_e64 v27, v1, v3, s0
	s_branch .LBB86_9
.LBB86_28:
	s_nop 0
	s_sendmsg sendmsg(MSG_DEALLOC_VGPRS)
	s_endpgm
	.section	.rodata,"a",@progbits
	.p2align	6, 0x0
	.amdhsa_kernel _ZN12tensorrt_llm7kernels32fusedQKNormRopeKernelNTokenHeadsIN3c108BFloat16EfLi128ELb1ELi4EEEvPviiifPKvS6_S6_PKlii
		.amdhsa_group_segment_fixed_size 0
		.amdhsa_private_segment_fixed_size 0
		.amdhsa_kernarg_size 320
		.amdhsa_user_sgpr_count 15
		.amdhsa_user_sgpr_dispatch_ptr 0
		.amdhsa_user_sgpr_queue_ptr 0
		.amdhsa_user_sgpr_kernarg_segment_ptr 1
		.amdhsa_user_sgpr_dispatch_id 0
		.amdhsa_user_sgpr_private_segment_size 0
		.amdhsa_wavefront_size32 1
		.amdhsa_uses_dynamic_stack 0
		.amdhsa_enable_private_segment 0
		.amdhsa_system_sgpr_workgroup_id_x 1
		.amdhsa_system_sgpr_workgroup_id_y 0
		.amdhsa_system_sgpr_workgroup_id_z 0
		.amdhsa_system_sgpr_workgroup_info 0
		.amdhsa_system_vgpr_workitem_id 0
		.amdhsa_next_free_vgpr 31
		.amdhsa_next_free_sgpr 21
		.amdhsa_reserve_vcc 1
		.amdhsa_float_round_mode_32 0
		.amdhsa_float_round_mode_16_64 0
		.amdhsa_float_denorm_mode_32 3
		.amdhsa_float_denorm_mode_16_64 3
		.amdhsa_dx10_clamp 1
		.amdhsa_ieee_mode 1
		.amdhsa_fp16_overflow 0
		.amdhsa_workgroup_processor_mode 1
		.amdhsa_memory_ordered 1
		.amdhsa_forward_progress 0
		.amdhsa_shared_vgpr_count 0
		.amdhsa_exception_fp_ieee_invalid_op 0
		.amdhsa_exception_fp_denorm_src 0
		.amdhsa_exception_fp_ieee_div_zero 0
		.amdhsa_exception_fp_ieee_overflow 0
		.amdhsa_exception_fp_ieee_underflow 0
		.amdhsa_exception_fp_ieee_inexact 0
		.amdhsa_exception_int_div_zero 0
	.end_amdhsa_kernel
	.section	.text._ZN12tensorrt_llm7kernels32fusedQKNormRopeKernelNTokenHeadsIN3c108BFloat16EfLi128ELb1ELi4EEEvPviiifPKvS6_S6_PKlii,"axG",@progbits,_ZN12tensorrt_llm7kernels32fusedQKNormRopeKernelNTokenHeadsIN3c108BFloat16EfLi128ELb1ELi4EEEvPviiifPKvS6_S6_PKlii,comdat
.Lfunc_end86:
	.size	_ZN12tensorrt_llm7kernels32fusedQKNormRopeKernelNTokenHeadsIN3c108BFloat16EfLi128ELb1ELi4EEEvPviiifPKvS6_S6_PKlii, .Lfunc_end86-_ZN12tensorrt_llm7kernels32fusedQKNormRopeKernelNTokenHeadsIN3c108BFloat16EfLi128ELb1ELi4EEEvPviiifPKvS6_S6_PKlii
                                        ; -- End function
	.section	.AMDGPU.csdata,"",@progbits
; Kernel info:
; codeLenInByte = 2128
; NumSgprs: 23
; NumVgprs: 31
; ScratchSize: 0
; MemoryBound: 0
; FloatMode: 240
; IeeeMode: 1
; LDSByteSize: 0 bytes/workgroup (compile time only)
; SGPRBlocks: 2
; VGPRBlocks: 3
; NumSGPRsForWavesPerEU: 23
; NumVGPRsForWavesPerEU: 31
; Occupancy: 16
; WaveLimiterHint : 0
; COMPUTE_PGM_RSRC2:SCRATCH_EN: 0
; COMPUTE_PGM_RSRC2:USER_SGPR: 15
; COMPUTE_PGM_RSRC2:TRAP_HANDLER: 0
; COMPUTE_PGM_RSRC2:TGID_X_EN: 1
; COMPUTE_PGM_RSRC2:TGID_Y_EN: 0
; COMPUTE_PGM_RSRC2:TGID_Z_EN: 0
; COMPUTE_PGM_RSRC2:TIDIG_COMP_CNT: 0
	.section	.text._ZN12tensorrt_llm7kernels32fusedQKNormRopeKernelNTokenHeadsIN3c108BFloat16EfLi128ELb0ELi4EEEvPviiifPKvS6_S6_PKlii,"axG",@progbits,_ZN12tensorrt_llm7kernels32fusedQKNormRopeKernelNTokenHeadsIN3c108BFloat16EfLi128ELb0ELi4EEEvPviiifPKvS6_S6_PKlii,comdat
	.protected	_ZN12tensorrt_llm7kernels32fusedQKNormRopeKernelNTokenHeadsIN3c108BFloat16EfLi128ELb0ELi4EEEvPviiifPKvS6_S6_PKlii ; -- Begin function _ZN12tensorrt_llm7kernels32fusedQKNormRopeKernelNTokenHeadsIN3c108BFloat16EfLi128ELb0ELi4EEEvPviiifPKvS6_S6_PKlii
	.globl	_ZN12tensorrt_llm7kernels32fusedQKNormRopeKernelNTokenHeadsIN3c108BFloat16EfLi128ELb0ELi4EEEvPviiifPKvS6_S6_PKlii
	.p2align	8
	.type	_ZN12tensorrt_llm7kernels32fusedQKNormRopeKernelNTokenHeadsIN3c108BFloat16EfLi128ELb0ELi4EEEvPviiifPKvS6_S6_PKlii,@function
_ZN12tensorrt_llm7kernels32fusedQKNormRopeKernelNTokenHeadsIN3c108BFloat16EfLi128ELb0ELi4EEEvPviiifPKvS6_S6_PKlii: ; @_ZN12tensorrt_llm7kernels32fusedQKNormRopeKernelNTokenHeadsIN3c108BFloat16EfLi128ELb0ELi4EEEvPviiifPKvS6_S6_PKlii
; %bb.0:
	s_clause 0x1
	s_load_b128 s[16:19], s[0:1], 0x8
	s_load_b64 s[2:3], s[0:1], 0x38
	v_lshrrev_b32_e32 v2, 5, v0
	s_waitcnt lgkmcnt(0)
	s_add_i32 s4, s17, s16
	s_delay_alu instid0(SALU_CYCLE_1) | instskip(NEXT) | instid1(SALU_CYCLE_1)
	s_add_i32 s5, s4, 3
	s_ashr_i32 s6, s5, 31
	s_delay_alu instid0(SALU_CYCLE_1) | instskip(NEXT) | instid1(SALU_CYCLE_1)
	s_lshr_b32 s6, s6, 30
	s_add_i32 s5, s5, s6
	s_delay_alu instid0(SALU_CYCLE_1) | instskip(SKIP_2) | instid1(SALU_CYCLE_1)
	s_ashr_i32 s14, s5, 2
	s_load_b32 s5, s[0:1], 0x4c
	s_abs_i32 s6, s14
	v_cvt_f32_u32_e32 v1, s6
	s_sub_i32 s7, 0, s6
	s_delay_alu instid0(VALU_DEP_1) | instskip(SKIP_4) | instid1(SALU_CYCLE_1)
	v_rcp_iflag_f32_e32 v1, v1
	s_waitcnt_depctr 0xfff
	v_mul_f32_e32 v1, 0x4f7ffffe, v1
	s_waitcnt lgkmcnt(0)
	s_bfe_u32 s5, s5, 0xb0005
	v_mad_u64_u32 v[3:4], null, s15, s5, v[2:3]
	s_delay_alu instid0(VALU_DEP_2) | instskip(NEXT) | instid1(VALU_DEP_1)
	v_cvt_u32_f32_e32 v1, v1
	v_mul_lo_u32 v5, s7, v1
	s_delay_alu instid0(VALU_DEP_1) | instskip(NEXT) | instid1(VALU_DEP_4)
	v_mul_hi_u32 v4, v1, v5
	v_sub_nc_u32_e32 v5, 0, v3
	s_delay_alu instid0(VALU_DEP_1) | instskip(NEXT) | instid1(VALU_DEP_3)
	v_max_i32_e32 v5, v3, v5
	v_add_nc_u32_e32 v1, v1, v4
	s_delay_alu instid0(VALU_DEP_1) | instskip(NEXT) | instid1(VALU_DEP_1)
	v_mul_hi_u32 v1, v5, v1
	v_mul_lo_u32 v4, v1, s6
	s_delay_alu instid0(VALU_DEP_1) | instskip(SKIP_1) | instid1(VALU_DEP_2)
	v_sub_nc_u32_e32 v4, v5, v4
	v_add_nc_u32_e32 v5, 1, v1
	v_subrev_nc_u32_e32 v6, s6, v4
	v_cmp_le_u32_e32 vcc_lo, s6, v4
	s_delay_alu instid0(VALU_DEP_2) | instskip(SKIP_1) | instid1(VALU_DEP_2)
	v_dual_cndmask_b32 v4, v4, v6 :: v_dual_cndmask_b32 v1, v1, v5
	v_xor_b32_e32 v5, s14, v3
	v_cmp_le_u32_e32 vcc_lo, s6, v4
	s_delay_alu instid0(VALU_DEP_3) | instskip(NEXT) | instid1(VALU_DEP_3)
	v_add_nc_u32_e32 v6, 1, v1
	v_ashrrev_i32_e32 v5, 31, v5
	s_delay_alu instid0(VALU_DEP_2) | instskip(NEXT) | instid1(VALU_DEP_1)
	v_cndmask_b32_e32 v1, v1, v6, vcc_lo
	v_xor_b32_e32 v1, v1, v5
	s_delay_alu instid0(VALU_DEP_1) | instskip(NEXT) | instid1(VALU_DEP_1)
	v_sub_nc_u32_e32 v1, v1, v5
	v_cmp_gt_i32_e32 vcc_lo, s2, v1
	s_and_saveexec_b32 s2, vcc_lo
	s_cbranch_execz .LBB87_28
; %bb.1:
	v_mul_lo_u32 v4, v1, s14
	s_load_b64 s[12:13], s[0:1], 0x0
	v_and_b32_e32 v8, 31, v0
	v_lshlrev_b32_e32 v12, 10, v2
	v_lshlrev_b32_e32 v9, 9, v3
	s_lshl_b32 s20, s3, 2
	s_delay_alu instid0(VALU_DEP_3) | instskip(SKIP_2) | instid1(VALU_DEP_1)
	v_lshlrev_b32_e32 v0, 3, v8
	v_sub_nc_u32_e32 v4, v3, v4
	s_mul_i32 s15, s20, s5
	v_lshlrev_b32_e32 v10, 2, v4
	s_delay_alu instid0(VALU_DEP_1) | instskip(SKIP_1) | instid1(VALU_DEP_2)
	v_add_nc_u32_e32 v4, 4, v10
	v_sub_nc_u32_e32 v5, s4, v10
	v_cmp_lt_i32_e32 vcc_lo, s4, v4
	s_delay_alu instid0(VALU_DEP_2) | instskip(NEXT) | instid1(VALU_DEP_1)
	v_cndmask_b32_e32 v11, 4, v5, vcc_lo
	v_cmp_lt_i32_e32 vcc_lo, 0, v11
	s_and_saveexec_b32 s4, vcc_lo
	s_cbranch_execz .LBB87_4
; %bb.2:
	s_add_i32 s2, s18, s17
	s_lshl_b32 s5, s14, 2
	s_add_i32 s2, s2, s16
	s_mov_b32 s6, 0
	s_sub_i32 s2, s2, s5
	s_mov_b32 s5, 0
	v_mul_lo_u32 v3, s2, v1
	s_add_i32 s2, s15, 0
	s_delay_alu instid0(SALU_CYCLE_1) | instskip(NEXT) | instid1(VALU_DEP_2)
	v_add3_u32 v5, s2, v12, v0
	v_lshl_add_u32 v3, v3, 7, v9
	s_delay_alu instid0(VALU_DEP_1)
	v_lshl_or_b32 v3, v8, 2, v3
	.p2align	6
.LBB87_3:                               ; =>This Inner Loop Header: Depth=1
	s_delay_alu instid0(VALU_DEP_1) | instskip(SKIP_1) | instid1(VALU_DEP_1)
	v_ashrrev_i32_e32 v4, 31, v3
	s_add_i32 s6, s6, 1
	v_lshlrev_b64 v[6:7], 1, v[3:4]
	v_add_nc_u32_e32 v3, 0x80, v3
	s_waitcnt lgkmcnt(0)
	s_delay_alu instid0(VALU_DEP_2) | instskip(NEXT) | instid1(VALU_DEP_1)
	v_add_co_u32 v6, s2, s12, v6
	v_add_co_ci_u32_e64 v7, s2, s13, v7, s2
	v_cmp_ge_i32_e64 s2, s6, v11
	global_load_b64 v[6:7], v[6:7], off
	s_or_b32 s5, s2, s5
	s_waitcnt vmcnt(0)
	ds_store_b64 v5, v[6:7]
	v_add_nc_u32_e32 v5, 0x100, v5
	s_and_not1_b32 exec_lo, exec_lo, s5
	s_cbranch_execnz .LBB87_3
.LBB87_4:
	s_or_b32 exec_lo, exec_lo, s4
	s_load_b256 s[4:11], s[0:1], 0x18
	s_add_i32 s0, s20, 15
	v_mul_lo_u32 v13, v2, s3
	s_ashr_i32 s1, s0, 31
	s_mov_b32 s20, exec_lo
	s_lshr_b32 s1, s1, 28
	s_delay_alu instid0(SALU_CYCLE_1) | instskip(NEXT) | instid1(SALU_CYCLE_1)
	s_add_i32 s0, s0, s1
	s_ashr_i32 s2, s0, 4
	s_delay_alu instid0(SALU_CYCLE_1)
	v_cmpx_gt_i32_e64 s2, v8
	s_cbranch_execz .LBB87_7
; %bb.5:
	v_ashrrev_i32_e32 v2, 31, v1
	s_delay_alu instid0(VALU_DEP_1) | instskip(SKIP_1) | instid1(VALU_DEP_1)
	v_lshlrev_b64 v[2:3], 3, v[1:2]
	s_waitcnt lgkmcnt(0)
	v_add_co_u32 v2, s0, s10, v2
	s_delay_alu instid0(VALU_DEP_1)
	v_add_co_ci_u32_e64 v3, s0, s11, v3, s0
	s_ashr_i32 s0, s3, 31
	global_load_b64 v[2:3], v[2:3], off
	s_waitcnt vmcnt(0)
	v_mul_lo_u32 v5, v3, s3
	v_mul_lo_u32 v6, v2, s0
	v_mad_u64_u32 v[3:4], null, v2, s3, 0
	s_delay_alu instid0(VALU_DEP_1) | instskip(SKIP_1) | instid1(VALU_DEP_2)
	v_add3_u32 v4, v4, v6, v5
	v_lshlrev_b32_e32 v5, 2, v13
	v_lshlrev_b64 v[2:3], 2, v[3:4]
	v_lshlrev_b32_e32 v4, 4, v8
	s_delay_alu instid0(VALU_DEP_1) | instskip(NEXT) | instid1(VALU_DEP_1)
	v_add_co_u32 v2, s0, v2, v4
	v_add_co_ci_u32_e64 v3, s0, 0, v3, s0
	v_add3_u32 v4, v5, v4, 0
	v_mov_b32_e32 v5, v8
	s_delay_alu instid0(VALU_DEP_4) | instskip(NEXT) | instid1(VALU_DEP_1)
	v_add_co_u32 v2, s0, s8, v2
	v_add_co_ci_u32_e64 v3, s0, s9, v3, s0
	s_mov_b32 s8, 0
	.p2align	6
.LBB87_6:                               ; =>This Inner Loop Header: Depth=1
	global_load_b128 v[14:17], v[2:3], off
	v_add_nc_u32_e32 v5, 32, v5
	v_add_co_u32 v2, s0, 0x200, v2
	s_delay_alu instid0(VALU_DEP_1) | instskip(NEXT) | instid1(VALU_DEP_3)
	v_add_co_ci_u32_e64 v3, s0, 0, v3, s0
	v_cmp_le_i32_e64 s1, s2, v5
	s_delay_alu instid0(VALU_DEP_1)
	s_or_b32 s8, s1, s8
	s_waitcnt vmcnt(0)
	ds_store_b128 v4, v[14:17]
	v_add_nc_u32_e32 v4, 0x200, v4
	s_and_not1_b32 exec_lo, exec_lo, s8
	s_cbranch_execnz .LBB87_6
.LBB87_7:
	s_or_b32 exec_lo, exec_lo, s20
	s_delay_alu instid0(SALU_CYCLE_1)
	s_and_b32 exec_lo, exec_lo, vcc_lo
	s_cbranch_execz .LBB87_28
; %bb.8:
	s_waitcnt lgkmcnt(0)
	s_clause 0x1
	global_load_b64 v[4:5], v0, s[4:5]
	global_load_b64 v[6:7], v0, s[6:7]
	s_abs_i32 s2, s3
	v_lshl_add_u32 v2, v13, 2, 0
	v_cvt_f32_u32_e32 v3, s2
	v_mbcnt_lo_u32_b32 v13, -1, 0
	s_lshr_b32 s0, s3, 31
	s_ashr_i32 s1, s3, 31
	s_add_i32 s0, s3, s0
	v_rcp_iflag_f32_e32 v3, v3
	v_add_nc_u32_e32 v30, s15, v12
	s_lshr_b32 s6, s1, 30
	s_lshr_b32 s1, s1, 29
	v_xor_b32_e32 v12, 16, v13
	s_lshl_b32 s0, s0, 1
	s_add_i32 s1, s3, s1
	s_sub_i32 s7, 0, s2
	s_and_b32 s0, s0, -4
	s_ashr_i32 s1, s1, 3
	s_waitcnt_depctr 0xfff
	v_mul_f32_e32 v3, 0x4f7ffffe, v3
	v_xor_b32_e32 v14, 8, v13
	v_add_nc_u32_e32 v25, s0, v2
	v_xor_b32_e32 v22, s1, v13
	v_cmp_gt_i32_e64 s0, s1, v8
	v_cvt_u32_f32_e32 v3, v3
	v_cmp_gt_i32_e64 s1, 32, v12
	v_xor_b32_e32 v18, 4, v13
	v_xor_b32_e32 v20, 2, v13
	v_or_b32_e32 v15, 2, v0
	v_mul_lo_u32 v19, s7, v3
	v_cndmask_b32_e64 v12, v13, v12, s1
	v_cmp_gt_i32_e64 s1, 32, v14
	v_or_b32_e32 v16, 4, v0
	v_or_b32_e32 v17, 6, v0
	s_add_i32 s4, s18, s17
	s_lshl_b32 s5, s14, 2
	v_cndmask_b32_e64 v14, v13, v14, s1
	v_mul_hi_u32 v19, v3, v19
	v_cmp_gt_i32_e64 s1, 32, v18
	s_add_i32 s4, s4, s16
	s_add_i32 s6, s3, s6
	s_sub_i32 s3, s4, s5
	v_xor_b32_e32 v21, 1, v13
	v_cndmask_b32_e64 v18, v13, v18, s1
	v_cmp_gt_i32_e64 s1, 32, v20
	v_add_nc_u32_e32 v3, v3, v19
	v_mul_lo_u32 v1, s3, v1
	s_ashr_i32 s4, s6, 2
	v_lshlrev_b32_e32 v12, 2, v12
	v_cndmask_b32_e64 v19, v13, v20, s1
	v_mul_hi_u32 v20, v0, v3
	v_mul_hi_u32 v23, v15, v3
	;; [unrolled: 1-line block ×4, first 2 shown]
	v_cmp_gt_i32_e64 s1, 32, v21
	v_lshl_add_u32 v1, v1, 7, v9
	v_cmp_gt_i32_e32 vcc_lo, s4, v8
	v_add3_u32 v30, v30, v0, 0
	v_mul_lo_u32 v20, v20, s2
	v_mul_lo_u32 v23, v23, s2
	v_cndmask_b32_e64 v21, v13, v21, s1
	v_mul_lo_u32 v3, v3, s2
	v_cmp_gt_i32_e64 s1, 32, v22
	v_mul_lo_u32 v24, v24, s2
	v_lshl_or_b32 v8, v8, 2, v1
	s_mov_b32 s3, 0
	v_sub_nc_u32_e32 v9, v0, v20
	v_cndmask_b32_e64 v22, v13, v22, s1
	v_lshlrev_b32_e32 v13, 2, v14
	v_lshlrev_b32_e32 v14, 2, v18
	v_sub_nc_u32_e32 v18, v15, v23
	v_sub_nc_u32_e32 v3, v17, v3
	v_subrev_nc_u32_e32 v17, s2, v9
	v_cmp_le_u32_e64 s1, s2, v9
	v_sub_nc_u32_e32 v16, v16, v24
	v_lshlrev_b32_e32 v15, 2, v19
	v_subrev_nc_u32_e32 v19, s2, v18
	v_subrev_nc_u32_e32 v23, s2, v3
	v_cndmask_b32_e64 v9, v9, v17, s1
	v_cmp_le_u32_e64 s1, s2, v18
	v_subrev_nc_u32_e32 v20, s2, v16
	s_mov_b32 s4, 0
	s_delay_alu instid0(VALU_DEP_2) | instskip(SKIP_2) | instid1(VALU_DEP_2)
	v_cndmask_b32_e64 v17, v18, v19, s1
	v_cmp_le_u32_e64 s1, s2, v16
	v_subrev_nc_u32_e32 v19, s2, v9
	v_cndmask_b32_e64 v18, v16, v20, s1
	v_cmp_le_u32_e64 s1, s2, v3
	v_subrev_nc_u32_e32 v20, s2, v17
	v_lshlrev_b32_e32 v16, 2, v21
	s_delay_alu instid0(VALU_DEP_4) | instskip(NEXT) | instid1(VALU_DEP_4)
	v_subrev_nc_u32_e32 v21, s2, v18
	v_cndmask_b32_e64 v3, v3, v23, s1
	v_cmp_le_u32_e64 s1, s2, v9
	s_delay_alu instid0(VALU_DEP_2) | instskip(NEXT) | instid1(VALU_DEP_2)
	v_subrev_nc_u32_e32 v23, s2, v3
	v_cndmask_b32_e64 v9, v9, v19, s1
	v_cmp_le_u32_e64 s1, s2, v17
	s_delay_alu instid0(VALU_DEP_2) | instskip(NEXT) | instid1(VALU_DEP_2)
	v_lshlrev_b32_e32 v9, 1, v9
	v_cndmask_b32_e64 v19, v17, v20, s1
	v_cmp_le_u32_e64 s1, s2, v18
	v_lshlrev_b32_e32 v17, 2, v22
	s_delay_alu instid0(VALU_DEP_4) | instskip(NEXT) | instid1(VALU_DEP_4)
	v_and_b32_e32 v9, -4, v9
	v_lshlrev_b32_e32 v19, 1, v19
	s_delay_alu instid0(VALU_DEP_4) | instskip(SKIP_1) | instid1(VALU_DEP_3)
	v_cndmask_b32_e64 v18, v18, v21, s1
	v_cmp_le_u32_e64 s1, s2, v3
	v_and_b32_e32 v1, -4, v19
	s_delay_alu instid0(VALU_DEP_3) | instskip(NEXT) | instid1(VALU_DEP_3)
	v_lshlrev_b32_e32 v18, 1, v18
	v_cndmask_b32_e64 v3, v3, v23, s1
	v_add_nc_u32_e32 v19, v25, v9
	s_delay_alu instid0(VALU_DEP_4) | instskip(NEXT) | instid1(VALU_DEP_4)
	v_add_nc_u32_e32 v20, v2, v1
	v_and_b32_e32 v23, -4, v18
	s_delay_alu instid0(VALU_DEP_4) | instskip(SKIP_2) | instid1(VALU_DEP_4)
	v_lshlrev_b32_e32 v3, 1, v3
	v_add_nc_u32_e32 v18, v2, v9
	v_add_nc_u32_e32 v21, v25, v1
	;; [unrolled: 1-line block ×3, first 2 shown]
	s_delay_alu instid0(VALU_DEP_4) | instskip(SKIP_1) | instid1(VALU_DEP_2)
	v_and_b32_e32 v3, -4, v3
	v_add_nc_u32_e32 v23, v25, v23
	v_add_nc_u32_e32 v24, v2, v3
	;; [unrolled: 1-line block ×3, first 2 shown]
	s_waitcnt vmcnt(1)
	v_lshrrev_b32_e32 v26, 16, v4
	v_lshrrev_b32_e32 v27, 16, v5
	s_waitcnt vmcnt(0)
	v_lshrrev_b32_e32 v28, 16, v6
	v_lshrrev_b32_e32 v29, 16, v7
	s_branch .LBB87_10
.LBB87_9:                               ;   in Loop: Header=BB87_10 Depth=1
	s_or_b32 exec_lo, exec_lo, s2
	v_ashrrev_i32_e32 v9, 31, v8
	v_lshrrev_b32_e32 v2, 16, v33
	v_and_b32_e32 v3, 0xffff0000, v34
	s_add_i32 s4, s4, 1
	v_add_nc_u32_e32 v30, 0x100, v30
	v_lshlrev_b64 v[0:1], 1, v[8:9]
	v_lshrrev_b32_e32 v9, 16, v31
	v_cmp_ge_i32_e64 s1, s4, v11
	v_or_b32_e32 v2, v3, v2
	v_add_nc_u32_e32 v8, 0x80, v8
	v_add_co_u32 v33, s2, s12, v0
	s_delay_alu instid0(VALU_DEP_1)
	v_add_co_ci_u32_e64 v34, s2, s13, v1, s2
	v_and_or_b32 v1, 0xffff0000, v32, v9
	s_or_b32 s3, s1, s3
	global_store_b64 v[33:34], v[1:2], off
	s_and_not1_b32 exec_lo, exec_lo, s3
	s_cbranch_execz .LBB87_28
.LBB87_10:                              ; =>This Inner Loop Header: Depth=1
	ds_load_b64 v[0:1], v30
	s_waitcnt lgkmcnt(0)
	v_lshlrev_b32_e32 v3, 16, v0
	v_and_b32_e32 v2, 0xffff0000, v0
	v_alignbit_b32 v0, v1, v0, 16
	s_delay_alu instid0(VALU_DEP_2) | instskip(NEXT) | instid1(VALU_DEP_2)
	v_dual_mul_f32 v9, v2, v2 :: v_dual_and_b32 v32, 0xffff0000, v1
	v_and_b32_e32 v31, 0xffff0000, v0
	s_delay_alu instid0(VALU_DEP_2) | instskip(NEXT) | instid1(VALU_DEP_1)
	v_fmac_f32_e32 v9, v3, v3
	v_fmac_f32_e32 v9, v31, v31
	s_delay_alu instid0(VALU_DEP_1)
	v_fmac_f32_e32 v9, v32, v32
	ds_bpermute_b32 v0, v12, v9
	s_waitcnt lgkmcnt(0)
	v_add_f32_e32 v0, v9, v0
	ds_bpermute_b32 v1, v13, v0
	s_waitcnt lgkmcnt(0)
	v_add_f32_e32 v0, v0, v1
	;; [unrolled: 3-line block ×5, first 2 shown]
	s_delay_alu instid0(VALU_DEP_1) | instskip(NEXT) | instid1(VALU_DEP_1)
	v_fma_f32 v0, 0x3c000000, v0, s19
	v_mul_f32_e32 v1, 0x4b800000, v0
	v_cmp_gt_f32_e64 s1, 0x800000, v0
	s_delay_alu instid0(VALU_DEP_1) | instskip(SKIP_1) | instid1(VALU_DEP_2)
	v_cndmask_b32_e64 v0, v0, v1, s1
	v_add_nc_u32_e32 v1, s4, v10
	v_rsq_f32_e32 v0, v0
	s_delay_alu instid0(VALU_DEP_1) | instskip(NEXT) | instid1(VALU_DEP_1)
	v_cmp_gt_i32_e64 s2, s16, v1
	v_cndmask_b32_e64 v33, v28, v26, s2
	v_cndmask_b32_e64 v34, v7, v5, s2
	;; [unrolled: 1-line block ×4, first 2 shown]
	s_waitcnt_depctr 0xfff
	v_mul_f32_e32 v9, 0x45800000, v0
	s_delay_alu instid0(VALU_DEP_1) | instskip(SKIP_2) | instid1(VALU_DEP_2)
	v_cndmask_b32_e64 v0, v0, v9, s1
	v_lshlrev_b32_e32 v9, 16, v33
	v_lshlrev_b32_e32 v33, 16, v34
	v_dual_mul_f32 v9, v0, v9 :: v_dual_lshlrev_b32 v34, 16, v35
	s_delay_alu instid0(VALU_DEP_2) | instskip(NEXT) | instid1(VALU_DEP_2)
	v_mul_f32_e32 v33, v0, v33
	v_dual_mul_f32 v34, v0, v34 :: v_dual_lshlrev_b32 v1, 16, v1
	s_delay_alu instid0(VALU_DEP_1) | instskip(NEXT) | instid1(VALU_DEP_1)
	v_mul_f32_e32 v1, v0, v1
	v_mul_f32_e32 v0, v1, v3
	;; [unrolled: 1-line block ×3, first 2 shown]
	s_delay_alu instid0(VALU_DEP_4)
	v_dual_mul_f32 v2, v33, v31 :: v_dual_mul_f32 v3, v34, v32
	s_and_saveexec_b32 s1, vcc_lo
	s_cbranch_execz .LBB87_12
; %bb.11:                               ;   in Loop: Header=BB87_10 Depth=1
	ds_bpermute_b32 v9, v17, v0
	ds_bpermute_b32 v31, v17, v1
	;; [unrolled: 1-line block ×4, first 2 shown]
	; wave barrier
	ds_load_b32 v34, v19
	ds_load_b32 v35, v21
	;; [unrolled: 1-line block ×8, first 2 shown]
	; wave barrier
	s_waitcnt lgkmcnt(11)
	v_cndmask_b32_e64 v9, v9, -v9, s0
	s_waitcnt lgkmcnt(10)
	v_cndmask_b32_e64 v42, v31, -v31, s0
	;; [unrolled: 2-line block ×4, first 2 shown]
	s_waitcnt lgkmcnt(6)
	v_dual_mul_f32 v31, v9, v34 :: v_dual_mul_f32 v32, v42, v35
	s_waitcnt lgkmcnt(4)
	s_delay_alu instid0(VALU_DEP_2) | instskip(SKIP_1) | instid1(VALU_DEP_2)
	v_dual_mul_f32 v33, v43, v36 :: v_dual_mul_f32 v34, v44, v37
	s_waitcnt lgkmcnt(2)
	v_dual_fmac_f32 v31, v0, v38 :: v_dual_fmac_f32 v32, v1, v39
	s_waitcnt lgkmcnt(0)
	s_delay_alu instid0(VALU_DEP_2) | instskip(NEXT) | instid1(VALU_DEP_2)
	v_dual_fmac_f32 v33, v2, v40 :: v_dual_fmac_f32 v34, v3, v41
	v_dual_mov_b32 v0, v31 :: v_dual_mov_b32 v1, v32
	s_delay_alu instid0(VALU_DEP_2)
	v_dual_mov_b32 v2, v33 :: v_dual_mov_b32 v3, v34
.LBB87_12:                              ;   in Loop: Header=BB87_10 Depth=1
	s_or_b32 exec_lo, exec_lo, s1
	s_delay_alu instid0(VALU_DEP_2) | instskip(NEXT) | instid1(VALU_DEP_1)
	v_and_b32_e32 v9, 0x7f800000, v0
                                        ; implicit-def: $vgpr31
	v_cmp_ne_u32_e64 s1, 0x7f800000, v9
	s_delay_alu instid0(VALU_DEP_1) | instskip(NEXT) | instid1(SALU_CYCLE_1)
	s_and_saveexec_b32 s2, s1
	s_xor_b32 s1, exec_lo, s2
; %bb.13:                               ;   in Loop: Header=BB87_10 Depth=1
	v_bfe_u32 v9, v0, 16, 1
	s_delay_alu instid0(VALU_DEP_1)
	v_add3_u32 v31, v0, v9, 0x7fff
; %bb.14:                               ;   in Loop: Header=BB87_10 Depth=1
	s_and_not1_saveexec_b32 s2, s1
; %bb.15:                               ;   in Loop: Header=BB87_10 Depth=1
	v_and_b32_e32 v9, 0xffff, v0
	v_or_b32_e32 v31, 0x10000, v0
	s_delay_alu instid0(VALU_DEP_2) | instskip(NEXT) | instid1(VALU_DEP_1)
	v_cmp_eq_u32_e64 s1, 0, v9
	v_cndmask_b32_e64 v31, v31, v0, s1
; %bb.16:                               ;   in Loop: Header=BB87_10 Depth=1
	s_or_b32 exec_lo, exec_lo, s2
	v_and_b32_e32 v0, 0x7f800000, v1
                                        ; implicit-def: $vgpr32
	s_delay_alu instid0(VALU_DEP_1) | instskip(NEXT) | instid1(VALU_DEP_1)
	v_cmp_ne_u32_e64 s1, 0x7f800000, v0
	s_and_saveexec_b32 s2, s1
	s_delay_alu instid0(SALU_CYCLE_1)
	s_xor_b32 s1, exec_lo, s2
; %bb.17:                               ;   in Loop: Header=BB87_10 Depth=1
	v_bfe_u32 v0, v1, 16, 1
	s_delay_alu instid0(VALU_DEP_1)
	v_add3_u32 v32, v1, v0, 0x7fff
; %bb.18:                               ;   in Loop: Header=BB87_10 Depth=1
	s_and_not1_saveexec_b32 s2, s1
; %bb.19:                               ;   in Loop: Header=BB87_10 Depth=1
	v_and_b32_e32 v0, 0xffff, v1
	v_or_b32_e32 v9, 0x10000, v1
	s_delay_alu instid0(VALU_DEP_2) | instskip(NEXT) | instid1(VALU_DEP_1)
	v_cmp_eq_u32_e64 s1, 0, v0
	v_cndmask_b32_e64 v32, v9, v1, s1
; %bb.20:                               ;   in Loop: Header=BB87_10 Depth=1
	s_or_b32 exec_lo, exec_lo, s2
	v_and_b32_e32 v0, 0x7f800000, v2
                                        ; implicit-def: $vgpr33
	s_delay_alu instid0(VALU_DEP_1) | instskip(NEXT) | instid1(VALU_DEP_1)
	v_cmp_ne_u32_e64 s1, 0x7f800000, v0
	s_and_saveexec_b32 s2, s1
	s_delay_alu instid0(SALU_CYCLE_1)
	s_xor_b32 s1, exec_lo, s2
; %bb.21:                               ;   in Loop: Header=BB87_10 Depth=1
	v_bfe_u32 v0, v2, 16, 1
	s_delay_alu instid0(VALU_DEP_1)
	v_add3_u32 v33, v2, v0, 0x7fff
; %bb.22:                               ;   in Loop: Header=BB87_10 Depth=1
	s_and_not1_saveexec_b32 s2, s1
; %bb.23:                               ;   in Loop: Header=BB87_10 Depth=1
	v_and_b32_e32 v0, 0xffff, v2
	v_or_b32_e32 v1, 0x10000, v2
	s_delay_alu instid0(VALU_DEP_2) | instskip(NEXT) | instid1(VALU_DEP_1)
	v_cmp_eq_u32_e64 s1, 0, v0
	v_cndmask_b32_e64 v33, v1, v2, s1
; %bb.24:                               ;   in Loop: Header=BB87_10 Depth=1
	s_or_b32 exec_lo, exec_lo, s2
	v_and_b32_e32 v0, 0x7f800000, v3
                                        ; implicit-def: $vgpr34
	s_delay_alu instid0(VALU_DEP_1) | instskip(NEXT) | instid1(VALU_DEP_1)
	v_cmp_ne_u32_e64 s1, 0x7f800000, v0
	s_and_saveexec_b32 s2, s1
	s_delay_alu instid0(SALU_CYCLE_1)
	s_xor_b32 s1, exec_lo, s2
; %bb.25:                               ;   in Loop: Header=BB87_10 Depth=1
	v_bfe_u32 v0, v3, 16, 1
	s_delay_alu instid0(VALU_DEP_1)
	v_add3_u32 v34, v3, v0, 0x7fff
                                        ; implicit-def: $vgpr0_vgpr1_vgpr2_vgpr3
; %bb.26:                               ;   in Loop: Header=BB87_10 Depth=1
	s_and_not1_saveexec_b32 s2, s1
	s_cbranch_execz .LBB87_9
; %bb.27:                               ;   in Loop: Header=BB87_10 Depth=1
	v_and_b32_e32 v0, 0xffff, v3
	v_or_b32_e32 v1, 0x10000, v3
	s_delay_alu instid0(VALU_DEP_2) | instskip(NEXT) | instid1(VALU_DEP_1)
	v_cmp_eq_u32_e64 s1, 0, v0
	v_cndmask_b32_e64 v34, v1, v3, s1
	s_branch .LBB87_9
.LBB87_28:
	s_nop 0
	s_sendmsg sendmsg(MSG_DEALLOC_VGPRS)
	s_endpgm
	.section	.rodata,"a",@progbits
	.p2align	6, 0x0
	.amdhsa_kernel _ZN12tensorrt_llm7kernels32fusedQKNormRopeKernelNTokenHeadsIN3c108BFloat16EfLi128ELb0ELi4EEEvPviiifPKvS6_S6_PKlii
		.amdhsa_group_segment_fixed_size 0
		.amdhsa_private_segment_fixed_size 0
		.amdhsa_kernarg_size 320
		.amdhsa_user_sgpr_count 15
		.amdhsa_user_sgpr_dispatch_ptr 0
		.amdhsa_user_sgpr_queue_ptr 0
		.amdhsa_user_sgpr_kernarg_segment_ptr 1
		.amdhsa_user_sgpr_dispatch_id 0
		.amdhsa_user_sgpr_private_segment_size 0
		.amdhsa_wavefront_size32 1
		.amdhsa_uses_dynamic_stack 0
		.amdhsa_enable_private_segment 0
		.amdhsa_system_sgpr_workgroup_id_x 1
		.amdhsa_system_sgpr_workgroup_id_y 0
		.amdhsa_system_sgpr_workgroup_id_z 0
		.amdhsa_system_sgpr_workgroup_info 0
		.amdhsa_system_vgpr_workitem_id 0
		.amdhsa_next_free_vgpr 45
		.amdhsa_next_free_sgpr 21
		.amdhsa_reserve_vcc 1
		.amdhsa_float_round_mode_32 0
		.amdhsa_float_round_mode_16_64 0
		.amdhsa_float_denorm_mode_32 3
		.amdhsa_float_denorm_mode_16_64 3
		.amdhsa_dx10_clamp 1
		.amdhsa_ieee_mode 1
		.amdhsa_fp16_overflow 0
		.amdhsa_workgroup_processor_mode 1
		.amdhsa_memory_ordered 1
		.amdhsa_forward_progress 0
		.amdhsa_shared_vgpr_count 0
		.amdhsa_exception_fp_ieee_invalid_op 0
		.amdhsa_exception_fp_denorm_src 0
		.amdhsa_exception_fp_ieee_div_zero 0
		.amdhsa_exception_fp_ieee_overflow 0
		.amdhsa_exception_fp_ieee_underflow 0
		.amdhsa_exception_fp_ieee_inexact 0
		.amdhsa_exception_int_div_zero 0
	.end_amdhsa_kernel
	.section	.text._ZN12tensorrt_llm7kernels32fusedQKNormRopeKernelNTokenHeadsIN3c108BFloat16EfLi128ELb0ELi4EEEvPviiifPKvS6_S6_PKlii,"axG",@progbits,_ZN12tensorrt_llm7kernels32fusedQKNormRopeKernelNTokenHeadsIN3c108BFloat16EfLi128ELb0ELi4EEEvPviiifPKvS6_S6_PKlii,comdat
.Lfunc_end87:
	.size	_ZN12tensorrt_llm7kernels32fusedQKNormRopeKernelNTokenHeadsIN3c108BFloat16EfLi128ELb0ELi4EEEvPviiifPKvS6_S6_PKlii, .Lfunc_end87-_ZN12tensorrt_llm7kernels32fusedQKNormRopeKernelNTokenHeadsIN3c108BFloat16EfLi128ELb0ELi4EEEvPviiifPKvS6_S6_PKlii
                                        ; -- End function
	.section	.AMDGPU.csdata,"",@progbits
; Kernel info:
; codeLenInByte = 2712
; NumSgprs: 23
; NumVgprs: 45
; ScratchSize: 0
; MemoryBound: 0
; FloatMode: 240
; IeeeMode: 1
; LDSByteSize: 0 bytes/workgroup (compile time only)
; SGPRBlocks: 2
; VGPRBlocks: 5
; NumSGPRsForWavesPerEU: 23
; NumVGPRsForWavesPerEU: 45
; Occupancy: 16
; WaveLimiterHint : 0
; COMPUTE_PGM_RSRC2:SCRATCH_EN: 0
; COMPUTE_PGM_RSRC2:USER_SGPR: 15
; COMPUTE_PGM_RSRC2:TRAP_HANDLER: 0
; COMPUTE_PGM_RSRC2:TGID_X_EN: 1
; COMPUTE_PGM_RSRC2:TGID_Y_EN: 0
; COMPUTE_PGM_RSRC2:TGID_Z_EN: 0
; COMPUTE_PGM_RSRC2:TIDIG_COMP_CNT: 0
	.section	.text._ZN12tensorrt_llm7kernels32fusedQKNormRopeKernelNTokenHeadsIN3c108BFloat16EfLi256ELb1ELi4EEEvPviiifPKvS6_S6_PKlii,"axG",@progbits,_ZN12tensorrt_llm7kernels32fusedQKNormRopeKernelNTokenHeadsIN3c108BFloat16EfLi256ELb1ELi4EEEvPviiifPKvS6_S6_PKlii,comdat
	.protected	_ZN12tensorrt_llm7kernels32fusedQKNormRopeKernelNTokenHeadsIN3c108BFloat16EfLi256ELb1ELi4EEEvPviiifPKvS6_S6_PKlii ; -- Begin function _ZN12tensorrt_llm7kernels32fusedQKNormRopeKernelNTokenHeadsIN3c108BFloat16EfLi256ELb1ELi4EEEvPviiifPKvS6_S6_PKlii
	.globl	_ZN12tensorrt_llm7kernels32fusedQKNormRopeKernelNTokenHeadsIN3c108BFloat16EfLi256ELb1ELi4EEEvPviiifPKvS6_S6_PKlii
	.p2align	8
	.type	_ZN12tensorrt_llm7kernels32fusedQKNormRopeKernelNTokenHeadsIN3c108BFloat16EfLi256ELb1ELi4EEEvPviiifPKvS6_S6_PKlii,@function
_ZN12tensorrt_llm7kernels32fusedQKNormRopeKernelNTokenHeadsIN3c108BFloat16EfLi256ELb1ELi4EEEvPviiifPKvS6_S6_PKlii: ; @_ZN12tensorrt_llm7kernels32fusedQKNormRopeKernelNTokenHeadsIN3c108BFloat16EfLi256ELb1ELi4EEEvPviiifPKvS6_S6_PKlii
; %bb.0:
	s_clause 0x1
	s_load_b128 s[16:19], s[0:1], 0x8
	s_load_b64 s[2:3], s[0:1], 0x38
	v_lshrrev_b32_e32 v2, 5, v0
	s_waitcnt lgkmcnt(0)
	s_add_i32 s4, s17, s16
	s_delay_alu instid0(SALU_CYCLE_1) | instskip(NEXT) | instid1(SALU_CYCLE_1)
	s_add_i32 s5, s4, 3
	s_ashr_i32 s6, s5, 31
	s_delay_alu instid0(SALU_CYCLE_1) | instskip(NEXT) | instid1(SALU_CYCLE_1)
	s_lshr_b32 s6, s6, 30
	s_add_i32 s5, s5, s6
	s_delay_alu instid0(SALU_CYCLE_1) | instskip(SKIP_2) | instid1(SALU_CYCLE_1)
	s_ashr_i32 s14, s5, 2
	s_load_b32 s5, s[0:1], 0x4c
	s_abs_i32 s6, s14
	v_cvt_f32_u32_e32 v1, s6
	s_sub_i32 s7, 0, s6
	s_delay_alu instid0(VALU_DEP_1) | instskip(SKIP_4) | instid1(SALU_CYCLE_1)
	v_rcp_iflag_f32_e32 v1, v1
	s_waitcnt_depctr 0xfff
	v_mul_f32_e32 v1, 0x4f7ffffe, v1
	s_waitcnt lgkmcnt(0)
	s_bfe_u32 s5, s5, 0xb0005
	v_mad_u64_u32 v[3:4], null, s15, s5, v[2:3]
	s_delay_alu instid0(VALU_DEP_2) | instskip(NEXT) | instid1(VALU_DEP_1)
	v_cvt_u32_f32_e32 v1, v1
	v_mul_lo_u32 v5, s7, v1
	s_delay_alu instid0(VALU_DEP_1) | instskip(NEXT) | instid1(VALU_DEP_4)
	v_mul_hi_u32 v4, v1, v5
	v_sub_nc_u32_e32 v5, 0, v3
	s_delay_alu instid0(VALU_DEP_1) | instskip(NEXT) | instid1(VALU_DEP_3)
	v_max_i32_e32 v5, v3, v5
	v_add_nc_u32_e32 v1, v1, v4
	s_delay_alu instid0(VALU_DEP_1) | instskip(NEXT) | instid1(VALU_DEP_1)
	v_mul_hi_u32 v1, v5, v1
	v_mul_lo_u32 v4, v1, s6
	s_delay_alu instid0(VALU_DEP_1) | instskip(SKIP_1) | instid1(VALU_DEP_2)
	v_sub_nc_u32_e32 v4, v5, v4
	v_add_nc_u32_e32 v5, 1, v1
	v_subrev_nc_u32_e32 v6, s6, v4
	v_cmp_le_u32_e32 vcc_lo, s6, v4
	s_delay_alu instid0(VALU_DEP_2) | instskip(SKIP_1) | instid1(VALU_DEP_2)
	v_dual_cndmask_b32 v4, v4, v6 :: v_dual_cndmask_b32 v1, v1, v5
	v_xor_b32_e32 v5, s14, v3
	v_cmp_le_u32_e32 vcc_lo, s6, v4
	s_delay_alu instid0(VALU_DEP_3) | instskip(NEXT) | instid1(VALU_DEP_3)
	v_add_nc_u32_e32 v6, 1, v1
	v_ashrrev_i32_e32 v5, 31, v5
	s_delay_alu instid0(VALU_DEP_2) | instskip(NEXT) | instid1(VALU_DEP_1)
	v_cndmask_b32_e32 v1, v1, v6, vcc_lo
	v_xor_b32_e32 v1, v1, v5
	s_delay_alu instid0(VALU_DEP_1) | instskip(NEXT) | instid1(VALU_DEP_1)
	v_sub_nc_u32_e32 v1, v1, v5
	v_cmp_gt_i32_e32 vcc_lo, s2, v1
	s_and_saveexec_b32 s2, vcc_lo
	s_cbranch_execz .LBB88_44
; %bb.1:
	v_mul_lo_u32 v4, v1, s14
	s_load_b64 s[12:13], s[0:1], 0x0
	v_and_b32_e32 v6, 31, v0
	v_lshlrev_b32_e32 v16, 11, v2
	v_lshlrev_b32_e32 v7, 10, v3
	s_lshl_b32 s20, s3, 2
	s_delay_alu instid0(SALU_CYCLE_1) | instskip(NEXT) | instid1(VALU_DEP_4)
	s_mul_i32 s15, s20, s5
	v_sub_nc_u32_e32 v4, v3, v4
	s_delay_alu instid0(VALU_DEP_1) | instskip(NEXT) | instid1(VALU_DEP_1)
	v_lshlrev_b32_e32 v18, 2, v4
	v_add_nc_u32_e32 v4, 4, v18
	v_sub_nc_u32_e32 v5, s4, v18
	s_delay_alu instid0(VALU_DEP_2) | instskip(NEXT) | instid1(VALU_DEP_2)
	v_cmp_lt_i32_e32 vcc_lo, s4, v4
	v_cndmask_b32_e32 v19, 4, v5, vcc_lo
	v_lshlrev_b32_e32 v5, 4, v6
	s_delay_alu instid0(VALU_DEP_2)
	v_cmp_lt_i32_e32 vcc_lo, 0, v19
	s_and_saveexec_b32 s4, vcc_lo
	s_cbranch_execz .LBB88_4
; %bb.2:
	s_add_i32 s2, s18, s17
	s_lshl_b32 s5, s14, 2
	s_add_i32 s2, s2, s16
	s_mov_b32 s6, 0
	s_sub_i32 s2, s2, s5
	s_mov_b32 s5, 0
	v_mul_lo_u32 v3, s2, v1
	s_add_i32 s2, s15, 0
	s_delay_alu instid0(SALU_CYCLE_1) | instskip(NEXT) | instid1(VALU_DEP_2)
	v_add3_u32 v8, s2, v16, v5
	v_lshl_add_u32 v3, v3, 8, v7
	s_delay_alu instid0(VALU_DEP_1)
	v_lshl_or_b32 v3, v6, 3, v3
	.p2align	6
.LBB88_3:                               ; =>This Inner Loop Header: Depth=1
	s_delay_alu instid0(VALU_DEP_1) | instskip(SKIP_1) | instid1(VALU_DEP_1)
	v_ashrrev_i32_e32 v4, 31, v3
	s_add_i32 s6, s6, 1
	v_lshlrev_b64 v[9:10], 1, v[3:4]
	v_add_nc_u32_e32 v3, 0x100, v3
	s_waitcnt lgkmcnt(0)
	s_delay_alu instid0(VALU_DEP_2) | instskip(NEXT) | instid1(VALU_DEP_1)
	v_add_co_u32 v9, s2, s12, v9
	v_add_co_ci_u32_e64 v10, s2, s13, v10, s2
	v_cmp_ge_i32_e64 s2, s6, v19
	global_load_b128 v[9:12], v[9:10], off
	s_or_b32 s5, s2, s5
	s_waitcnt vmcnt(0)
	ds_store_b128 v8, v[9:12]
	v_add_nc_u32_e32 v8, 0x200, v8
	s_and_not1_b32 exec_lo, exec_lo, s5
	s_cbranch_execnz .LBB88_3
.LBB88_4:
	s_or_b32 exec_lo, exec_lo, s4
	s_load_b256 s[4:11], s[0:1], 0x18
	v_mul_lo_u32 v2, v2, s3
	s_add_i32 s0, s20, 15
	s_mov_b32 s20, exec_lo
	s_ashr_i32 s1, s0, 31
	s_delay_alu instid0(SALU_CYCLE_1) | instskip(NEXT) | instid1(SALU_CYCLE_1)
	s_lshr_b32 s1, s1, 28
	s_add_i32 s0, s0, s1
	s_delay_alu instid0(VALU_DEP_1) | instskip(SKIP_1) | instid1(SALU_CYCLE_1)
	v_lshlrev_b32_e32 v4, 2, v2
	s_ashr_i32 s2, s0, 4
	v_cmpx_gt_i32_e64 s2, v6
	s_cbranch_execz .LBB88_7
; %bb.5:
	v_ashrrev_i32_e32 v2, 31, v1
	v_and_b32_e32 v0, 31, v0
	s_delay_alu instid0(VALU_DEP_2) | instskip(NEXT) | instid1(VALU_DEP_2)
	v_lshlrev_b64 v[2:3], 3, v[1:2]
	v_lshlrev_b32_e32 v0, 4, v0
	s_waitcnt lgkmcnt(0)
	s_delay_alu instid0(VALU_DEP_2) | instskip(NEXT) | instid1(VALU_DEP_1)
	v_add_co_u32 v2, s0, s10, v2
	v_add_co_ci_u32_e64 v3, s0, s11, v3, s0
	s_ashr_i32 s0, s3, 31
	global_load_b64 v[2:3], v[2:3], off
	s_waitcnt vmcnt(0)
	v_mul_lo_u32 v3, v3, s3
	v_mul_lo_u32 v10, v2, s0
	v_mad_u64_u32 v[8:9], null, v2, s3, 0
	s_delay_alu instid0(VALU_DEP_1) | instskip(NEXT) | instid1(VALU_DEP_1)
	v_add3_u32 v9, v9, v10, v3
	v_lshlrev_b64 v[2:3], 2, v[8:9]
	v_mov_b32_e32 v8, v6
	s_delay_alu instid0(VALU_DEP_2) | instskip(NEXT) | instid1(VALU_DEP_1)
	v_add_co_u32 v2, s0, v2, v0
	v_add_co_ci_u32_e64 v3, s0, 0, v3, s0
	v_add3_u32 v0, v4, v5, 0
	s_delay_alu instid0(VALU_DEP_3) | instskip(NEXT) | instid1(VALU_DEP_1)
	v_add_co_u32 v2, s0, s8, v2
	v_add_co_ci_u32_e64 v3, s0, s9, v3, s0
	s_mov_b32 s8, 0
	.p2align	6
.LBB88_6:                               ; =>This Inner Loop Header: Depth=1
	global_load_b128 v[9:12], v[2:3], off
	v_add_nc_u32_e32 v8, 32, v8
	v_add_co_u32 v2, s0, 0x200, v2
	s_delay_alu instid0(VALU_DEP_1) | instskip(NEXT) | instid1(VALU_DEP_3)
	v_add_co_ci_u32_e64 v3, s0, 0, v3, s0
	v_cmp_le_i32_e64 s1, s2, v8
	s_delay_alu instid0(VALU_DEP_1)
	s_or_b32 s8, s1, s8
	s_waitcnt vmcnt(0)
	ds_store_b128 v0, v[9:12]
	v_add_nc_u32_e32 v0, 0x200, v0
	s_and_not1_b32 exec_lo, exec_lo, s8
	s_cbranch_execnz .LBB88_6
.LBB88_7:
	s_or_b32 exec_lo, exec_lo, s20
	s_delay_alu instid0(SALU_CYCLE_1)
	s_and_b32 exec_lo, exec_lo, vcc_lo
	s_cbranch_execz .LBB88_44
; %bb.8:
	s_waitcnt lgkmcnt(0)
	s_clause 0x1
	global_load_b128 v[8:11], v5, s[4:5]
	global_load_b128 v[12:15], v5, s[6:7]
	v_mbcnt_lo_u32_b32 v0, -1, 0
	s_lshr_b32 s0, s3, 31
	v_add3_u32 v20, 0, v4, v5
	s_add_i32 s0, s3, s0
	v_add_nc_u32_e32 v2, s15, v16
	v_xor_b32_e32 v3, 16, v0
	s_lshl_b32 s0, s0, 1
	v_xor_b32_e32 v4, 8, v0
	s_and_b32 s0, s0, -4
	v_xor_b32_e32 v16, 4, v0
	v_add_nc_u32_e32 v21, s0, v20
	v_cmp_gt_i32_e64 s0, 32, v3
	v_xor_b32_e32 v17, 2, v0
	s_add_i32 s2, s18, s17
	s_lshl_b32 s4, s14, 2
	s_add_i32 s2, s2, s16
	v_cndmask_b32_e64 v3, v0, v3, s0
	v_cmp_gt_i32_e64 s0, 32, v4
	s_sub_i32 s2, s2, s4
	v_xor_b32_e32 v22, 1, v0
	v_mul_lo_u32 v1, s2, v1
	s_ashr_i32 s1, s3, 31
	v_cndmask_b32_e64 v4, v0, v4, s0
	v_cmp_gt_i32_e64 s0, 32, v16
	s_lshr_b32 s1, s1, 29
	v_add3_u32 v35, v2, v5, 0
	s_add_i32 s1, s3, s1
	v_lshlrev_b32_e32 v23, 2, v4
	v_cndmask_b32_e64 v16, v0, v16, s0
	v_cmp_gt_i32_e64 s0, 32, v17
	v_lshl_add_u32 v1, v1, 8, v7
	s_ashr_i32 s1, s1, 3
	s_mov_b32 s2, 0
	v_cmp_gt_i32_e32 vcc_lo, s1, v6
	v_cndmask_b32_e64 v17, v0, v17, s0
	v_cmp_gt_i32_e64 s0, 32, v22
	v_lshlrev_b32_e32 v24, 2, v16
	v_lshl_or_b32 v16, v6, 3, v1
	s_mov_b32 s3, 0
	v_lshlrev_b32_e32 v25, 2, v17
	v_cndmask_b32_e64 v0, v0, v22, s0
	v_lshlrev_b32_e32 v22, 2, v3
	s_delay_alu instid0(VALU_DEP_2)
	v_lshlrev_b32_e32 v26, 2, v0
	s_waitcnt vmcnt(1)
	v_lshrrev_b32_e32 v27, 16, v8
	v_lshrrev_b32_e32 v28, 16, v9
	;; [unrolled: 1-line block ×4, first 2 shown]
	s_waitcnt vmcnt(0)
	v_lshrrev_b32_e32 v31, 16, v12
	v_lshrrev_b32_e32 v32, 16, v13
	;; [unrolled: 1-line block ×4, first 2 shown]
	s_branch .LBB88_10
.LBB88_9:                               ;   in Loop: Header=BB88_10 Depth=1
	s_or_b32 exec_lo, exec_lo, s1
	v_ashrrev_i32_e32 v17, 31, v16
	s_add_i32 s3, s3, 1
	v_perm_b32 v3, v43, v42, 0x7060302
	v_cmp_ge_i32_e64 s0, s3, v19
	v_perm_b32 v2, v41, v40, 0x7060302
	v_lshlrev_b64 v[4:5], 1, v[16:17]
	v_perm_b32 v1, v39, v38, 0x7060302
	v_perm_b32 v0, v37, v36, 0x7060302
	v_add_nc_u32_e32 v16, 0x100, v16
	v_add_nc_u32_e32 v35, 0x200, v35
	s_or_b32 s2, s0, s2
	v_add_co_u32 v4, s1, s12, v4
	s_delay_alu instid0(VALU_DEP_1)
	v_add_co_ci_u32_e64 v5, s1, s13, v5, s1
	global_store_b128 v[4:5], v[0:3], off
	s_and_not1_b32 exec_lo, exec_lo, s2
	s_cbranch_execz .LBB88_44
.LBB88_10:                              ; =>This Inner Loop Header: Depth=1
	ds_load_b128 v[0:3], v35
	s_waitcnt lgkmcnt(0)
	v_lshlrev_b32_e32 v6, 16, v1
	v_and_b32_e32 v4, 0xffff0000, v0
	v_and_b32_e32 v7, 0xffff0000, v1
	v_lshlrev_b32_e32 v0, 16, v0
	v_lshlrev_b32_e32 v17, 16, v2
	s_delay_alu instid0(VALU_DEP_4) | instskip(SKIP_3) | instid1(VALU_DEP_4)
	v_dual_mul_f32 v5, v4, v4 :: v_dual_and_b32 v36, 0xffff0000, v2
	v_lshlrev_b32_e32 v37, 16, v3
	v_and_b32_e32 v38, 0xffff0000, v3
	v_add_nc_u32_e32 v3, s3, v18
	v_fmac_f32_e32 v5, v0, v0
	s_delay_alu instid0(VALU_DEP_2) | instskip(NEXT) | instid1(VALU_DEP_2)
	v_cmp_gt_i32_e64 s1, s16, v3
	v_fmac_f32_e32 v5, v6, v6
	s_delay_alu instid0(VALU_DEP_2) | instskip(SKIP_1) | instid1(VALU_DEP_3)
	v_cndmask_b32_e64 v40, v14, v10, s1
	v_cndmask_b32_e64 v42, v15, v11, s1
	v_fmac_f32_e32 v5, v7, v7
	v_cndmask_b32_e64 v3, v31, v27, s1
	v_cndmask_b32_e64 v39, v32, v28, s1
	;; [unrolled: 1-line block ×4, first 2 shown]
	v_dual_fmac_f32 v5, v17, v17 :: v_dual_lshlrev_b32 v40, 16, v40
	s_delay_alu instid0(VALU_DEP_4) | instskip(NEXT) | instid1(VALU_DEP_4)
	v_lshlrev_b32_e32 v39, 16, v39
	v_lshlrev_b32_e32 v41, 16, v41
	s_delay_alu instid0(VALU_DEP_3) | instskip(NEXT) | instid1(VALU_DEP_1)
	v_dual_fmac_f32 v5, v36, v36 :: v_dual_lshlrev_b32 v42, 16, v42
	v_fmac_f32_e32 v5, v37, v37
	s_delay_alu instid0(VALU_DEP_1)
	v_fmac_f32_e32 v5, v38, v38
	ds_bpermute_b32 v1, v22, v5
	s_waitcnt lgkmcnt(0)
	v_add_f32_e32 v1, v5, v1
	v_cndmask_b32_e64 v5, v13, v9, s1
	ds_bpermute_b32 v2, v23, v1
	v_lshlrev_b32_e32 v5, 16, v5
	s_waitcnt lgkmcnt(0)
	v_add_f32_e32 v1, v1, v2
	ds_bpermute_b32 v2, v24, v1
	s_waitcnt lgkmcnt(0)
	v_add_f32_e32 v1, v1, v2
	ds_bpermute_b32 v2, v25, v1
	;; [unrolled: 3-line block ×3, first 2 shown]
	s_waitcnt lgkmcnt(0)
	v_add_f32_e32 v1, v1, v2
	s_delay_alu instid0(VALU_DEP_1) | instskip(NEXT) | instid1(VALU_DEP_1)
	v_fma_f32 v1, 0x3b800000, v1, s19
	v_mul_f32_e32 v2, 0x4b800000, v1
	v_cmp_gt_f32_e64 s0, 0x800000, v1
	s_delay_alu instid0(VALU_DEP_1) | instskip(SKIP_1) | instid1(VALU_DEP_2)
	v_cndmask_b32_e64 v1, v1, v2, s0
	v_cndmask_b32_e64 v2, v12, v8, s1
	v_rsq_f32_e32 v1, v1
	s_waitcnt_depctr 0xfff
	v_dual_mul_f32 v43, 0x45800000, v1 :: v_dual_lshlrev_b32 v2, 16, v2
	s_delay_alu instid0(VALU_DEP_1) | instskip(NEXT) | instid1(VALU_DEP_1)
	v_cndmask_b32_e64 v1, v1, v43, s0
	v_dual_mul_f32 v42, v1, v42 :: v_dual_lshlrev_b32 v43, 16, v44
	s_delay_alu instid0(VALU_DEP_3)
	v_mul_f32_e32 v2, v1, v2
	v_mul_f32_e32 v5, v1, v5
	v_lshlrev_b32_e32 v3, 16, v3
	v_mul_f32_e32 v39, v1, v39
	v_mul_f32_e32 v40, v1, v40
	;; [unrolled: 1-line block ×3, first 2 shown]
	v_dual_mul_f32 v43, v1, v43 :: v_dual_mul_f32 v0, v2, v0
	v_mul_f32_e32 v2, v5, v6
	v_mul_f32_e32 v3, v1, v3
	s_delay_alu instid0(VALU_DEP_4) | instskip(NEXT) | instid1(VALU_DEP_2)
	v_dual_mul_f32 v5, v41, v36 :: v_dual_mul_f32 v6, v42, v37
	v_mul_f32_e32 v1, v3, v4
	v_dual_mul_f32 v3, v39, v7 :: v_dual_mul_f32 v4, v40, v17
	v_mul_f32_e32 v7, v43, v38
	s_and_saveexec_b32 s0, vcc_lo
	s_cbranch_execz .LBB88_12
; %bb.11:                               ;   in Loop: Header=BB88_10 Depth=1
	ds_load_2addr_b32 v[37:38], v21 offset1:1
	ds_load_2addr_b32 v[41:42], v21 offset0:2 offset1:3
	ds_load_2addr_b32 v[44:45], v20 offset1:1
	ds_load_2addr_b32 v[46:47], v20 offset0:2 offset1:3
	s_waitcnt lgkmcnt(3)
	v_dual_mul_f32 v17, v1, v37 :: v_dual_mul_f32 v40, v3, v38
	v_mul_f32_e32 v37, v0, v37
	s_waitcnt lgkmcnt(2)
	v_dual_mul_f32 v39, v2, v38 :: v_dual_mul_f32 v48, v5, v41
	v_mul_f32_e32 v41, v4, v41
	v_mul_f32_e32 v43, v6, v42
	s_waitcnt lgkmcnt(1)
	v_fma_f32 v36, v0, v44, -v17
	v_fmac_f32_e32 v37, v1, v44
	v_fma_f32 v38, v2, v45, -v40
	v_fmac_f32_e32 v39, v3, v45
	s_waitcnt lgkmcnt(0)
	v_fma_f32 v40, v4, v46, -v48
	v_fmac_f32_e32 v41, v5, v46
	v_fmac_f32_e32 v43, v7, v47
	v_mul_f32_e32 v49, v7, v42
	s_delay_alu instid0(VALU_DEP_1) | instskip(SKIP_3) | instid1(VALU_DEP_4)
	v_fma_f32 v42, v6, v47, -v49
	v_dual_mov_b32 v0, v36 :: v_dual_mov_b32 v1, v37
	v_dual_mov_b32 v2, v38 :: v_dual_mov_b32 v3, v39
	;; [unrolled: 1-line block ×4, first 2 shown]
.LBB88_12:                              ;   in Loop: Header=BB88_10 Depth=1
	s_or_b32 exec_lo, exec_lo, s0
	v_and_b32_e32 v17, 0x7f800000, v0
                                        ; implicit-def: $vgpr36
	s_delay_alu instid0(VALU_DEP_1) | instskip(NEXT) | instid1(VALU_DEP_1)
	v_cmp_ne_u32_e64 s0, 0x7f800000, v17
	s_and_saveexec_b32 s1, s0
	s_delay_alu instid0(SALU_CYCLE_1)
	s_xor_b32 s0, exec_lo, s1
; %bb.13:                               ;   in Loop: Header=BB88_10 Depth=1
	v_bfe_u32 v17, v0, 16, 1
	s_delay_alu instid0(VALU_DEP_1)
	v_add3_u32 v36, v0, v17, 0x7fff
; %bb.14:                               ;   in Loop: Header=BB88_10 Depth=1
	s_and_not1_saveexec_b32 s1, s0
; %bb.15:                               ;   in Loop: Header=BB88_10 Depth=1
	v_and_b32_e32 v17, 0xffff, v0
	v_or_b32_e32 v36, 0x10000, v0
	s_delay_alu instid0(VALU_DEP_2) | instskip(NEXT) | instid1(VALU_DEP_1)
	v_cmp_eq_u32_e64 s0, 0, v17
	v_cndmask_b32_e64 v36, v36, v0, s0
; %bb.16:                               ;   in Loop: Header=BB88_10 Depth=1
	s_or_b32 exec_lo, exec_lo, s1
	v_and_b32_e32 v0, 0x7f800000, v1
                                        ; implicit-def: $vgpr37
	s_delay_alu instid0(VALU_DEP_1) | instskip(NEXT) | instid1(VALU_DEP_1)
	v_cmp_ne_u32_e64 s0, 0x7f800000, v0
	s_and_saveexec_b32 s1, s0
	s_delay_alu instid0(SALU_CYCLE_1)
	s_xor_b32 s0, exec_lo, s1
; %bb.17:                               ;   in Loop: Header=BB88_10 Depth=1
	v_bfe_u32 v0, v1, 16, 1
	s_delay_alu instid0(VALU_DEP_1)
	v_add3_u32 v37, v1, v0, 0x7fff
; %bb.18:                               ;   in Loop: Header=BB88_10 Depth=1
	s_and_not1_saveexec_b32 s1, s0
; %bb.19:                               ;   in Loop: Header=BB88_10 Depth=1
	v_and_b32_e32 v0, 0xffff, v1
	v_or_b32_e32 v17, 0x10000, v1
	s_delay_alu instid0(VALU_DEP_2) | instskip(NEXT) | instid1(VALU_DEP_1)
	v_cmp_eq_u32_e64 s0, 0, v0
	v_cndmask_b32_e64 v37, v17, v1, s0
; %bb.20:                               ;   in Loop: Header=BB88_10 Depth=1
	s_or_b32 exec_lo, exec_lo, s1
	v_and_b32_e32 v0, 0x7f800000, v2
                                        ; implicit-def: $vgpr38
	s_delay_alu instid0(VALU_DEP_1) | instskip(NEXT) | instid1(VALU_DEP_1)
	v_cmp_ne_u32_e64 s0, 0x7f800000, v0
	s_and_saveexec_b32 s1, s0
	s_delay_alu instid0(SALU_CYCLE_1)
	s_xor_b32 s0, exec_lo, s1
; %bb.21:                               ;   in Loop: Header=BB88_10 Depth=1
	v_bfe_u32 v0, v2, 16, 1
	s_delay_alu instid0(VALU_DEP_1)
	v_add3_u32 v38, v2, v0, 0x7fff
; %bb.22:                               ;   in Loop: Header=BB88_10 Depth=1
	s_and_not1_saveexec_b32 s1, s0
; %bb.23:                               ;   in Loop: Header=BB88_10 Depth=1
	v_and_b32_e32 v0, 0xffff, v2
	v_or_b32_e32 v1, 0x10000, v2
	s_delay_alu instid0(VALU_DEP_2) | instskip(NEXT) | instid1(VALU_DEP_1)
	v_cmp_eq_u32_e64 s0, 0, v0
	v_cndmask_b32_e64 v38, v1, v2, s0
; %bb.24:                               ;   in Loop: Header=BB88_10 Depth=1
	s_or_b32 exec_lo, exec_lo, s1
	v_and_b32_e32 v0, 0x7f800000, v3
                                        ; implicit-def: $vgpr39
	s_delay_alu instid0(VALU_DEP_1) | instskip(NEXT) | instid1(VALU_DEP_1)
	v_cmp_ne_u32_e64 s0, 0x7f800000, v0
	s_and_saveexec_b32 s1, s0
	s_delay_alu instid0(SALU_CYCLE_1)
	s_xor_b32 s0, exec_lo, s1
; %bb.25:                               ;   in Loop: Header=BB88_10 Depth=1
	v_bfe_u32 v0, v3, 16, 1
	s_delay_alu instid0(VALU_DEP_1)
	v_add3_u32 v39, v3, v0, 0x7fff
; %bb.26:                               ;   in Loop: Header=BB88_10 Depth=1
	s_and_not1_saveexec_b32 s1, s0
; %bb.27:                               ;   in Loop: Header=BB88_10 Depth=1
	v_and_b32_e32 v0, 0xffff, v3
	v_or_b32_e32 v1, 0x10000, v3
	s_delay_alu instid0(VALU_DEP_2) | instskip(NEXT) | instid1(VALU_DEP_1)
	v_cmp_eq_u32_e64 s0, 0, v0
	v_cndmask_b32_e64 v39, v1, v3, s0
; %bb.28:                               ;   in Loop: Header=BB88_10 Depth=1
	s_or_b32 exec_lo, exec_lo, s1
	v_and_b32_e32 v0, 0x7f800000, v4
                                        ; implicit-def: $vgpr40
	s_delay_alu instid0(VALU_DEP_1) | instskip(NEXT) | instid1(VALU_DEP_1)
	v_cmp_ne_u32_e64 s0, 0x7f800000, v0
	s_and_saveexec_b32 s1, s0
	s_delay_alu instid0(SALU_CYCLE_1)
	s_xor_b32 s0, exec_lo, s1
; %bb.29:                               ;   in Loop: Header=BB88_10 Depth=1
	v_bfe_u32 v0, v4, 16, 1
	s_delay_alu instid0(VALU_DEP_1)
	v_add3_u32 v40, v4, v0, 0x7fff
; %bb.30:                               ;   in Loop: Header=BB88_10 Depth=1
	s_and_not1_saveexec_b32 s1, s0
; %bb.31:                               ;   in Loop: Header=BB88_10 Depth=1
	v_and_b32_e32 v0, 0xffff, v4
	v_or_b32_e32 v1, 0x10000, v4
	s_delay_alu instid0(VALU_DEP_2) | instskip(NEXT) | instid1(VALU_DEP_1)
	v_cmp_eq_u32_e64 s0, 0, v0
	v_cndmask_b32_e64 v40, v1, v4, s0
; %bb.32:                               ;   in Loop: Header=BB88_10 Depth=1
	s_or_b32 exec_lo, exec_lo, s1
	v_and_b32_e32 v0, 0x7f800000, v5
                                        ; implicit-def: $vgpr41
	s_delay_alu instid0(VALU_DEP_1) | instskip(NEXT) | instid1(VALU_DEP_1)
	v_cmp_ne_u32_e64 s0, 0x7f800000, v0
	s_and_saveexec_b32 s1, s0
	s_delay_alu instid0(SALU_CYCLE_1)
	s_xor_b32 s0, exec_lo, s1
; %bb.33:                               ;   in Loop: Header=BB88_10 Depth=1
	v_bfe_u32 v0, v5, 16, 1
	s_delay_alu instid0(VALU_DEP_1)
	v_add3_u32 v41, v5, v0, 0x7fff
; %bb.34:                               ;   in Loop: Header=BB88_10 Depth=1
	s_and_not1_saveexec_b32 s1, s0
; %bb.35:                               ;   in Loop: Header=BB88_10 Depth=1
	v_and_b32_e32 v0, 0xffff, v5
	v_or_b32_e32 v1, 0x10000, v5
	s_delay_alu instid0(VALU_DEP_2) | instskip(NEXT) | instid1(VALU_DEP_1)
	v_cmp_eq_u32_e64 s0, 0, v0
	v_cndmask_b32_e64 v41, v1, v5, s0
; %bb.36:                               ;   in Loop: Header=BB88_10 Depth=1
	s_or_b32 exec_lo, exec_lo, s1
	v_and_b32_e32 v0, 0x7f800000, v6
                                        ; implicit-def: $vgpr42
	s_delay_alu instid0(VALU_DEP_1) | instskip(NEXT) | instid1(VALU_DEP_1)
	v_cmp_ne_u32_e64 s0, 0x7f800000, v0
	s_and_saveexec_b32 s1, s0
	s_delay_alu instid0(SALU_CYCLE_1)
	s_xor_b32 s0, exec_lo, s1
; %bb.37:                               ;   in Loop: Header=BB88_10 Depth=1
	v_bfe_u32 v0, v6, 16, 1
	s_delay_alu instid0(VALU_DEP_1)
	v_add3_u32 v42, v6, v0, 0x7fff
; %bb.38:                               ;   in Loop: Header=BB88_10 Depth=1
	s_and_not1_saveexec_b32 s1, s0
; %bb.39:                               ;   in Loop: Header=BB88_10 Depth=1
	v_and_b32_e32 v0, 0xffff, v6
	v_or_b32_e32 v1, 0x10000, v6
	s_delay_alu instid0(VALU_DEP_2) | instskip(NEXT) | instid1(VALU_DEP_1)
	v_cmp_eq_u32_e64 s0, 0, v0
	v_cndmask_b32_e64 v42, v1, v6, s0
; %bb.40:                               ;   in Loop: Header=BB88_10 Depth=1
	s_or_b32 exec_lo, exec_lo, s1
	v_and_b32_e32 v0, 0x7f800000, v7
                                        ; implicit-def: $vgpr43
	s_delay_alu instid0(VALU_DEP_1) | instskip(NEXT) | instid1(VALU_DEP_1)
	v_cmp_ne_u32_e64 s0, 0x7f800000, v0
	s_and_saveexec_b32 s1, s0
	s_delay_alu instid0(SALU_CYCLE_1)
	s_xor_b32 s0, exec_lo, s1
; %bb.41:                               ;   in Loop: Header=BB88_10 Depth=1
	v_bfe_u32 v0, v7, 16, 1
	s_delay_alu instid0(VALU_DEP_1)
	v_add3_u32 v43, v7, v0, 0x7fff
                                        ; implicit-def: $vgpr0_vgpr1_vgpr2_vgpr3_vgpr4_vgpr5_vgpr6_vgpr7
; %bb.42:                               ;   in Loop: Header=BB88_10 Depth=1
	s_and_not1_saveexec_b32 s1, s0
	s_cbranch_execz .LBB88_9
; %bb.43:                               ;   in Loop: Header=BB88_10 Depth=1
	v_and_b32_e32 v0, 0xffff, v7
	v_or_b32_e32 v1, 0x10000, v7
	s_delay_alu instid0(VALU_DEP_2) | instskip(NEXT) | instid1(VALU_DEP_1)
	v_cmp_eq_u32_e64 s0, 0, v0
	v_cndmask_b32_e64 v43, v1, v7, s0
	s_branch .LBB88_9
.LBB88_44:
	s_nop 0
	s_sendmsg sendmsg(MSG_DEALLOC_VGPRS)
	s_endpgm
	.section	.rodata,"a",@progbits
	.p2align	6, 0x0
	.amdhsa_kernel _ZN12tensorrt_llm7kernels32fusedQKNormRopeKernelNTokenHeadsIN3c108BFloat16EfLi256ELb1ELi4EEEvPviiifPKvS6_S6_PKlii
		.amdhsa_group_segment_fixed_size 0
		.amdhsa_private_segment_fixed_size 0
		.amdhsa_kernarg_size 320
		.amdhsa_user_sgpr_count 15
		.amdhsa_user_sgpr_dispatch_ptr 0
		.amdhsa_user_sgpr_queue_ptr 0
		.amdhsa_user_sgpr_kernarg_segment_ptr 1
		.amdhsa_user_sgpr_dispatch_id 0
		.amdhsa_user_sgpr_private_segment_size 0
		.amdhsa_wavefront_size32 1
		.amdhsa_uses_dynamic_stack 0
		.amdhsa_enable_private_segment 0
		.amdhsa_system_sgpr_workgroup_id_x 1
		.amdhsa_system_sgpr_workgroup_id_y 0
		.amdhsa_system_sgpr_workgroup_id_z 0
		.amdhsa_system_sgpr_workgroup_info 0
		.amdhsa_system_vgpr_workitem_id 0
		.amdhsa_next_free_vgpr 50
		.amdhsa_next_free_sgpr 21
		.amdhsa_reserve_vcc 1
		.amdhsa_float_round_mode_32 0
		.amdhsa_float_round_mode_16_64 0
		.amdhsa_float_denorm_mode_32 3
		.amdhsa_float_denorm_mode_16_64 3
		.amdhsa_dx10_clamp 1
		.amdhsa_ieee_mode 1
		.amdhsa_fp16_overflow 0
		.amdhsa_workgroup_processor_mode 1
		.amdhsa_memory_ordered 1
		.amdhsa_forward_progress 0
		.amdhsa_shared_vgpr_count 0
		.amdhsa_exception_fp_ieee_invalid_op 0
		.amdhsa_exception_fp_denorm_src 0
		.amdhsa_exception_fp_ieee_div_zero 0
		.amdhsa_exception_fp_ieee_overflow 0
		.amdhsa_exception_fp_ieee_underflow 0
		.amdhsa_exception_fp_ieee_inexact 0
		.amdhsa_exception_int_div_zero 0
	.end_amdhsa_kernel
	.section	.text._ZN12tensorrt_llm7kernels32fusedQKNormRopeKernelNTokenHeadsIN3c108BFloat16EfLi256ELb1ELi4EEEvPviiifPKvS6_S6_PKlii,"axG",@progbits,_ZN12tensorrt_llm7kernels32fusedQKNormRopeKernelNTokenHeadsIN3c108BFloat16EfLi256ELb1ELi4EEEvPviiifPKvS6_S6_PKlii,comdat
.Lfunc_end88:
	.size	_ZN12tensorrt_llm7kernels32fusedQKNormRopeKernelNTokenHeadsIN3c108BFloat16EfLi256ELb1ELi4EEEvPviiifPKvS6_S6_PKlii, .Lfunc_end88-_ZN12tensorrt_llm7kernels32fusedQKNormRopeKernelNTokenHeadsIN3c108BFloat16EfLi256ELb1ELi4EEEvPviiifPKvS6_S6_PKlii
                                        ; -- End function
	.section	.AMDGPU.csdata,"",@progbits
; Kernel info:
; codeLenInByte = 2776
; NumSgprs: 23
; NumVgprs: 50
; ScratchSize: 0
; MemoryBound: 0
; FloatMode: 240
; IeeeMode: 1
; LDSByteSize: 0 bytes/workgroup (compile time only)
; SGPRBlocks: 2
; VGPRBlocks: 6
; NumSGPRsForWavesPerEU: 23
; NumVGPRsForWavesPerEU: 50
; Occupancy: 16
; WaveLimiterHint : 0
; COMPUTE_PGM_RSRC2:SCRATCH_EN: 0
; COMPUTE_PGM_RSRC2:USER_SGPR: 15
; COMPUTE_PGM_RSRC2:TRAP_HANDLER: 0
; COMPUTE_PGM_RSRC2:TGID_X_EN: 1
; COMPUTE_PGM_RSRC2:TGID_Y_EN: 0
; COMPUTE_PGM_RSRC2:TGID_Z_EN: 0
; COMPUTE_PGM_RSRC2:TIDIG_COMP_CNT: 0
	.section	.text._ZN12tensorrt_llm7kernels32fusedQKNormRopeKernelNTokenHeadsIN3c108BFloat16EfLi256ELb0ELi4EEEvPviiifPKvS6_S6_PKlii,"axG",@progbits,_ZN12tensorrt_llm7kernels32fusedQKNormRopeKernelNTokenHeadsIN3c108BFloat16EfLi256ELb0ELi4EEEvPviiifPKvS6_S6_PKlii,comdat
	.protected	_ZN12tensorrt_llm7kernels32fusedQKNormRopeKernelNTokenHeadsIN3c108BFloat16EfLi256ELb0ELi4EEEvPviiifPKvS6_S6_PKlii ; -- Begin function _ZN12tensorrt_llm7kernels32fusedQKNormRopeKernelNTokenHeadsIN3c108BFloat16EfLi256ELb0ELi4EEEvPviiifPKvS6_S6_PKlii
	.globl	_ZN12tensorrt_llm7kernels32fusedQKNormRopeKernelNTokenHeadsIN3c108BFloat16EfLi256ELb0ELi4EEEvPviiifPKvS6_S6_PKlii
	.p2align	8
	.type	_ZN12tensorrt_llm7kernels32fusedQKNormRopeKernelNTokenHeadsIN3c108BFloat16EfLi256ELb0ELi4EEEvPviiifPKvS6_S6_PKlii,@function
_ZN12tensorrt_llm7kernels32fusedQKNormRopeKernelNTokenHeadsIN3c108BFloat16EfLi256ELb0ELi4EEEvPviiifPKvS6_S6_PKlii: ; @_ZN12tensorrt_llm7kernels32fusedQKNormRopeKernelNTokenHeadsIN3c108BFloat16EfLi256ELb0ELi4EEEvPviiifPKvS6_S6_PKlii
; %bb.0:
	s_clause 0x1
	s_load_b128 s[16:19], s[0:1], 0x8
	s_load_b64 s[2:3], s[0:1], 0x38
	v_lshrrev_b32_e32 v2, 5, v0
	s_waitcnt lgkmcnt(0)
	s_add_i32 s4, s17, s16
	s_delay_alu instid0(SALU_CYCLE_1) | instskip(NEXT) | instid1(SALU_CYCLE_1)
	s_add_i32 s5, s4, 3
	s_ashr_i32 s6, s5, 31
	s_delay_alu instid0(SALU_CYCLE_1) | instskip(NEXT) | instid1(SALU_CYCLE_1)
	s_lshr_b32 s6, s6, 30
	s_add_i32 s5, s5, s6
	s_delay_alu instid0(SALU_CYCLE_1) | instskip(SKIP_2) | instid1(SALU_CYCLE_1)
	s_ashr_i32 s14, s5, 2
	s_load_b32 s5, s[0:1], 0x4c
	s_abs_i32 s6, s14
	v_cvt_f32_u32_e32 v1, s6
	s_sub_i32 s7, 0, s6
	s_delay_alu instid0(VALU_DEP_1) | instskip(SKIP_4) | instid1(SALU_CYCLE_1)
	v_rcp_iflag_f32_e32 v1, v1
	s_waitcnt_depctr 0xfff
	v_mul_f32_e32 v1, 0x4f7ffffe, v1
	s_waitcnt lgkmcnt(0)
	s_bfe_u32 s5, s5, 0xb0005
	v_mad_u64_u32 v[3:4], null, s15, s5, v[2:3]
	s_delay_alu instid0(VALU_DEP_2) | instskip(NEXT) | instid1(VALU_DEP_1)
	v_cvt_u32_f32_e32 v1, v1
	v_mul_lo_u32 v5, s7, v1
	s_delay_alu instid0(VALU_DEP_1) | instskip(NEXT) | instid1(VALU_DEP_4)
	v_mul_hi_u32 v4, v1, v5
	v_sub_nc_u32_e32 v5, 0, v3
	s_delay_alu instid0(VALU_DEP_1) | instskip(NEXT) | instid1(VALU_DEP_3)
	v_max_i32_e32 v5, v3, v5
	v_add_nc_u32_e32 v1, v1, v4
	s_delay_alu instid0(VALU_DEP_1) | instskip(NEXT) | instid1(VALU_DEP_1)
	v_mul_hi_u32 v1, v5, v1
	v_mul_lo_u32 v4, v1, s6
	s_delay_alu instid0(VALU_DEP_1) | instskip(SKIP_1) | instid1(VALU_DEP_2)
	v_sub_nc_u32_e32 v4, v5, v4
	v_add_nc_u32_e32 v5, 1, v1
	v_subrev_nc_u32_e32 v6, s6, v4
	v_cmp_le_u32_e32 vcc_lo, s6, v4
	s_delay_alu instid0(VALU_DEP_2) | instskip(SKIP_1) | instid1(VALU_DEP_2)
	v_dual_cndmask_b32 v4, v4, v6 :: v_dual_cndmask_b32 v1, v1, v5
	v_xor_b32_e32 v5, s14, v3
	v_cmp_le_u32_e32 vcc_lo, s6, v4
	s_delay_alu instid0(VALU_DEP_3) | instskip(NEXT) | instid1(VALU_DEP_3)
	v_add_nc_u32_e32 v6, 1, v1
	v_ashrrev_i32_e32 v5, 31, v5
	s_delay_alu instid0(VALU_DEP_2) | instskip(NEXT) | instid1(VALU_DEP_1)
	v_cndmask_b32_e32 v1, v1, v6, vcc_lo
	v_xor_b32_e32 v1, v1, v5
	s_delay_alu instid0(VALU_DEP_1) | instskip(NEXT) | instid1(VALU_DEP_1)
	v_sub_nc_u32_e32 v1, v1, v5
	v_cmp_gt_i32_e32 vcc_lo, s2, v1
	s_and_saveexec_b32 s2, vcc_lo
	s_cbranch_execz .LBB89_44
; %bb.1:
	v_mul_lo_u32 v4, v1, s14
	s_load_b64 s[12:13], s[0:1], 0x0
	v_and_b32_e32 v6, 31, v0
	v_lshlrev_b32_e32 v16, 11, v2
	v_lshlrev_b32_e32 v7, 10, v3
	s_lshl_b32 s20, s3, 2
	s_delay_alu instid0(SALU_CYCLE_1) | instskip(NEXT) | instid1(VALU_DEP_4)
	s_mul_i32 s15, s20, s5
	v_sub_nc_u32_e32 v4, v3, v4
	s_delay_alu instid0(VALU_DEP_1) | instskip(NEXT) | instid1(VALU_DEP_1)
	v_lshlrev_b32_e32 v18, 2, v4
	v_add_nc_u32_e32 v4, 4, v18
	v_sub_nc_u32_e32 v5, s4, v18
	s_delay_alu instid0(VALU_DEP_2) | instskip(NEXT) | instid1(VALU_DEP_2)
	v_cmp_lt_i32_e32 vcc_lo, s4, v4
	v_cndmask_b32_e32 v19, 4, v5, vcc_lo
	v_lshlrev_b32_e32 v5, 4, v6
	s_delay_alu instid0(VALU_DEP_2)
	v_cmp_lt_i32_e32 vcc_lo, 0, v19
	s_and_saveexec_b32 s4, vcc_lo
	s_cbranch_execz .LBB89_4
; %bb.2:
	s_add_i32 s2, s18, s17
	s_lshl_b32 s5, s14, 2
	s_add_i32 s2, s2, s16
	s_mov_b32 s6, 0
	s_sub_i32 s2, s2, s5
	s_mov_b32 s5, 0
	v_mul_lo_u32 v3, s2, v1
	s_add_i32 s2, s15, 0
	s_delay_alu instid0(SALU_CYCLE_1) | instskip(NEXT) | instid1(VALU_DEP_2)
	v_add3_u32 v8, s2, v16, v5
	v_lshl_add_u32 v3, v3, 8, v7
	s_delay_alu instid0(VALU_DEP_1)
	v_lshl_or_b32 v3, v6, 3, v3
	.p2align	6
.LBB89_3:                               ; =>This Inner Loop Header: Depth=1
	s_delay_alu instid0(VALU_DEP_1) | instskip(SKIP_1) | instid1(VALU_DEP_1)
	v_ashrrev_i32_e32 v4, 31, v3
	s_add_i32 s6, s6, 1
	v_lshlrev_b64 v[9:10], 1, v[3:4]
	v_add_nc_u32_e32 v3, 0x100, v3
	s_waitcnt lgkmcnt(0)
	s_delay_alu instid0(VALU_DEP_2) | instskip(NEXT) | instid1(VALU_DEP_1)
	v_add_co_u32 v9, s2, s12, v9
	v_add_co_ci_u32_e64 v10, s2, s13, v10, s2
	v_cmp_ge_i32_e64 s2, s6, v19
	global_load_b128 v[9:12], v[9:10], off
	s_or_b32 s5, s2, s5
	s_waitcnt vmcnt(0)
	ds_store_b128 v8, v[9:12]
	v_add_nc_u32_e32 v8, 0x200, v8
	s_and_not1_b32 exec_lo, exec_lo, s5
	s_cbranch_execnz .LBB89_3
.LBB89_4:
	s_or_b32 exec_lo, exec_lo, s4
	s_load_b256 s[4:11], s[0:1], 0x18
	s_add_i32 s0, s20, 15
	v_mul_lo_u32 v4, v2, s3
	s_ashr_i32 s1, s0, 31
	s_mov_b32 s20, exec_lo
	s_lshr_b32 s1, s1, 28
	s_delay_alu instid0(SALU_CYCLE_1) | instskip(NEXT) | instid1(SALU_CYCLE_1)
	s_add_i32 s0, s0, s1
	s_ashr_i32 s2, s0, 4
	s_delay_alu instid0(SALU_CYCLE_1)
	v_cmpx_gt_i32_e64 s2, v6
	s_cbranch_execz .LBB89_7
; %bb.5:
	v_ashrrev_i32_e32 v2, 31, v1
	v_and_b32_e32 v0, 31, v0
	s_delay_alu instid0(VALU_DEP_2) | instskip(NEXT) | instid1(VALU_DEP_2)
	v_lshlrev_b64 v[2:3], 3, v[1:2]
	v_lshlrev_b32_e32 v0, 4, v0
	s_waitcnt lgkmcnt(0)
	s_delay_alu instid0(VALU_DEP_2) | instskip(NEXT) | instid1(VALU_DEP_1)
	v_add_co_u32 v2, s0, s10, v2
	v_add_co_ci_u32_e64 v3, s0, s11, v3, s0
	s_ashr_i32 s0, s3, 31
	global_load_b64 v[2:3], v[2:3], off
	s_waitcnt vmcnt(0)
	v_mul_lo_u32 v3, v3, s3
	v_mul_lo_u32 v10, v2, s0
	v_mad_u64_u32 v[8:9], null, v2, s3, 0
	s_delay_alu instid0(VALU_DEP_1) | instskip(NEXT) | instid1(VALU_DEP_1)
	v_add3_u32 v9, v9, v10, v3
	v_lshlrev_b64 v[2:3], 2, v[8:9]
	v_lshlrev_b32_e32 v8, 2, v4
	s_delay_alu instid0(VALU_DEP_2) | instskip(NEXT) | instid1(VALU_DEP_1)
	v_add_co_u32 v2, s0, v2, v0
	v_add_co_ci_u32_e64 v3, s0, 0, v3, s0
	s_delay_alu instid0(VALU_DEP_3) | instskip(NEXT) | instid1(VALU_DEP_3)
	v_add3_u32 v0, v8, v5, 0
	v_add_co_u32 v2, s0, s8, v2
	s_delay_alu instid0(VALU_DEP_1)
	v_add_co_ci_u32_e64 v3, s0, s9, v3, s0
	v_mov_b32_e32 v8, v6
	s_mov_b32 s8, 0
	.p2align	6
.LBB89_6:                               ; =>This Inner Loop Header: Depth=1
	global_load_b128 v[9:12], v[2:3], off
	v_add_nc_u32_e32 v8, 32, v8
	v_add_co_u32 v2, s0, 0x200, v2
	s_delay_alu instid0(VALU_DEP_1) | instskip(NEXT) | instid1(VALU_DEP_3)
	v_add_co_ci_u32_e64 v3, s0, 0, v3, s0
	v_cmp_le_i32_e64 s1, s2, v8
	s_delay_alu instid0(VALU_DEP_1)
	s_or_b32 s8, s1, s8
	s_waitcnt vmcnt(0)
	ds_store_b128 v0, v[9:12]
	v_add_nc_u32_e32 v0, 0x200, v0
	s_and_not1_b32 exec_lo, exec_lo, s8
	s_cbranch_execnz .LBB89_6
.LBB89_7:
	s_or_b32 exec_lo, exec_lo, s20
	s_delay_alu instid0(SALU_CYCLE_1)
	s_and_b32 exec_lo, exec_lo, vcc_lo
	s_cbranch_execz .LBB89_44
; %bb.8:
	s_waitcnt lgkmcnt(0)
	s_clause 0x1
	global_load_b128 v[8:11], v5, s[4:5]
	global_load_b128 v[12:15], v5, s[6:7]
	v_mbcnt_lo_u32_b32 v2, -1, 0
	s_lshr_b32 s0, s3, 31
	s_ashr_i32 s1, s3, 31
	s_abs_i32 s2, s3
	s_add_i32 s0, s3, s0
	s_lshr_b32 s6, s1, 29
	s_lshr_b32 s1, s1, 28
	v_lshl_add_u32 v0, v4, 2, 0
	v_add_nc_u32_e32 v50, s15, v16
	v_cvt_f32_u32_e32 v16, s2
	v_xor_b32_e32 v20, 16, v2
	s_lshl_b32 s0, s0, 1
	s_add_i32 s1, s3, s1
	s_and_b32 s0, s0, -4
	s_ashr_i32 s1, s1, 4
	v_rcp_iflag_f32_e32 v16, v16
	v_xor_b32_e32 v21, 8, v2
	v_add_nc_u32_e32 v41, s0, v0
	v_xor_b32_e32 v25, s1, v2
	v_cmp_gt_i32_e64 s0, s1, v6
	v_cmp_gt_i32_e64 s1, 32, v20
	v_xor_b32_e32 v22, 4, v2
	s_sub_i32 s7, 0, s2
	v_xor_b32_e32 v23, 2, v2
	s_add_i32 s4, s18, s17
	v_cndmask_b32_e64 v20, v2, v20, s1
	v_cmp_gt_i32_e64 s1, 32, v21
	s_lshl_b32 s5, s14, 2
	s_add_i32 s4, s4, s16
	s_add_i32 s6, s3, s6
	s_sub_i32 s3, s4, s5
	v_cndmask_b32_e64 v21, v2, v21, s1
	v_mul_f32_e32 v16, 0x4f7ffffe, v16
	v_cmp_gt_i32_e64 s1, 32, v22
	v_xor_b32_e32 v24, 1, v2
	v_mul_lo_u32 v1, s3, v1
	v_lshlrev_b32_e32 v21, 2, v21
	v_cvt_u32_f32_e32 v16, v16
	v_cndmask_b32_e64 v22, v2, v22, s1
	v_cmp_gt_i32_e64 s1, 32, v23
	v_or_b32_e32 v3, 2, v5
	v_or_b32_e32 v4, 4, v5
	v_mul_lo_u32 v30, s7, v16
	v_lshl_add_u32 v1, v1, 8, v7
	v_cndmask_b32_e64 v23, v2, v23, s1
	v_cmp_gt_i32_e64 s1, 32, v24
	v_or_b32_e32 v17, 6, v5
	v_or_b32_e32 v27, 10, v5
	s_ashr_i32 s4, s6, 3
	v_or_b32_e32 v26, 8, v5
	v_mul_hi_u32 v30, v16, v30
	v_cndmask_b32_e64 v24, v2, v24, s1
	v_cmp_gt_i32_e64 s1, 32, v25
	v_or_b32_e32 v28, 12, v5
	v_cmp_gt_i32_e32 vcc_lo, s4, v6
	v_or_b32_e32 v29, 14, v5
	v_lshlrev_b32_e32 v20, 2, v20
	v_cndmask_b32_e64 v2, v2, v25, s1
	v_add_nc_u32_e32 v7, v16, v30
	v_lshl_or_b32 v16, v6, 3, v1
	v_lshlrev_b32_e32 v22, 2, v22
	v_lshlrev_b32_e32 v23, 2, v23
	;; [unrolled: 1-line block ×3, first 2 shown]
	v_mul_hi_u32 v1, v5, v7
	v_mul_hi_u32 v2, v3, v7
	;; [unrolled: 1-line block ×8, first 2 shown]
	v_mul_lo_u32 v1, v1, s2
	v_mul_lo_u32 v2, v2, s2
	v_mul_lo_u32 v6, v6, s2
	v_mul_lo_u32 v30, v30, s2
	v_mul_lo_u32 v32, v32, s2
	v_mul_lo_u32 v31, v31, s2
	v_mul_lo_u32 v33, v33, s2
	v_mul_lo_u32 v7, v7, s2
	v_sub_nc_u32_e32 v1, v5, v1
	v_sub_nc_u32_e32 v2, v3, v2
	;; [unrolled: 1-line block ×5, first 2 shown]
	v_subrev_nc_u32_e32 v27, s2, v1
	v_cmp_le_u32_e64 s1, s2, v1
	v_sub_nc_u32_e32 v6, v26, v31
	v_sub_nc_u32_e32 v26, v28, v33
	v_subrev_nc_u32_e32 v28, s2, v2
	v_sub_nc_u32_e32 v7, v29, v7
	v_cndmask_b32_e64 v1, v1, v27, s1
	v_cmp_le_u32_e64 s1, s2, v2
	v_subrev_nc_u32_e32 v29, s2, v3
	v_subrev_nc_u32_e32 v30, s2, v4
	;; [unrolled: 1-line block ×4, first 2 shown]
	v_cndmask_b32_e64 v2, v2, v28, s1
	v_cmp_le_u32_e64 s1, s2, v3
	v_subrev_nc_u32_e32 v33, s2, v26
	v_subrev_nc_u32_e32 v34, s2, v7
	;; [unrolled: 1-line block ×4, first 2 shown]
	v_cndmask_b32_e64 v3, v3, v29, s1
	v_cmp_le_u32_e64 s1, s2, v4
	v_lshlrev_b32_e32 v24, 2, v24
	v_add3_u32 v50, v50, v5, 0
	s_mov_b32 s3, 0
	v_subrev_nc_u32_e32 v29, s2, v3
	v_cndmask_b32_e64 v4, v4, v30, s1
	v_cmp_le_u32_e64 s1, s2, v6
	s_mov_b32 s4, 0
	s_delay_alu instid0(VALU_DEP_2) | instskip(NEXT) | instid1(VALU_DEP_2)
	v_subrev_nc_u32_e32 v30, s2, v4
	v_cndmask_b32_e64 v6, v6, v31, s1
	v_cmp_le_u32_e64 s1, s2, v17
	s_delay_alu instid0(VALU_DEP_2) | instskip(NEXT) | instid1(VALU_DEP_2)
	v_subrev_nc_u32_e32 v31, s2, v6
	v_cndmask_b32_e64 v17, v17, v32, s1
	v_cmp_le_u32_e64 s1, s2, v26
	;; [unrolled: 4-line block ×5, first 2 shown]
	s_delay_alu instid0(VALU_DEP_2) | instskip(NEXT) | instid1(VALU_DEP_2)
	v_lshlrev_b32_e32 v1, 1, v1
	v_cndmask_b32_e64 v2, v2, v28, s1
	v_cmp_le_u32_e64 s1, s2, v3
	s_delay_alu instid0(VALU_DEP_3) | instskip(NEXT) | instid1(VALU_DEP_3)
	v_and_b32_e32 v1, -4, v1
	v_lshlrev_b32_e32 v2, 1, v2
	s_delay_alu instid0(VALU_DEP_3) | instskip(SKIP_1) | instid1(VALU_DEP_4)
	v_cndmask_b32_e64 v3, v3, v29, s1
	v_cmp_le_u32_e64 s1, s2, v4
	v_add_nc_u32_e32 v27, v41, v1
	s_delay_alu instid0(VALU_DEP_4) | instskip(NEXT) | instid1(VALU_DEP_4)
	v_and_b32_e32 v2, -4, v2
	v_lshlrev_b32_e32 v3, 1, v3
	s_delay_alu instid0(VALU_DEP_4) | instskip(SKIP_1) | instid1(VALU_DEP_4)
	v_cndmask_b32_e64 v4, v4, v30, s1
	v_cmp_le_u32_e64 s1, s2, v6
	v_add_nc_u32_e32 v28, v0, v2
	s_delay_alu instid0(VALU_DEP_4) | instskip(NEXT) | instid1(VALU_DEP_4)
	v_and_b32_e32 v3, -4, v3
	v_lshlrev_b32_e32 v4, 1, v4
	s_delay_alu instid0(VALU_DEP_4)
	v_cndmask_b32_e64 v6, v6, v31, s1
	v_cmp_le_u32_e64 s1, s2, v17
	v_add_nc_u32_e32 v29, v41, v2
	v_add_nc_u32_e32 v30, v0, v3
	v_and_b32_e32 v4, -4, v4
	v_lshlrev_b32_e32 v6, 1, v6
	v_cndmask_b32_e64 v17, v17, v32, s1
	v_cmp_le_u32_e64 s1, s2, v26
	v_add_nc_u32_e32 v31, v41, v3
	v_add_nc_u32_e32 v32, v0, v4
	v_and_b32_e32 v6, -4, v6
	v_lshlrev_b32_e32 v17, 1, v17
	;; [unrolled: 6-line block ×3, first 2 shown]
	v_cndmask_b32_e64 v7, v7, v34, s1
	v_add_nc_u32_e32 v34, v0, v6
	s_delay_alu instid0(VALU_DEP_4) | instskip(NEXT) | instid1(VALU_DEP_4)
	v_add_nc_u32_e32 v36, v0, v17
	v_and_b32_e32 v39, -4, v26
	s_delay_alu instid0(VALU_DEP_4) | instskip(SKIP_2) | instid1(VALU_DEP_4)
	v_lshlrev_b32_e32 v7, 1, v7
	v_add_nc_u32_e32 v26, v0, v1
	v_add_nc_u32_e32 v37, v41, v17
	;; [unrolled: 1-line block ×3, first 2 shown]
	s_delay_alu instid0(VALU_DEP_4) | instskip(SKIP_1) | instid1(VALU_DEP_2)
	v_and_b32_e32 v7, -4, v7
	v_add_nc_u32_e32 v39, v41, v39
	v_add_nc_u32_e32 v40, v0, v7
	v_add_nc_u32_e32 v41, v41, v7
	s_waitcnt vmcnt(1)
	v_lshrrev_b32_e32 v42, 16, v8
	v_lshrrev_b32_e32 v43, 16, v9
	;; [unrolled: 1-line block ×4, first 2 shown]
	s_waitcnt vmcnt(0)
	v_lshrrev_b32_e32 v46, 16, v12
	v_lshrrev_b32_e32 v47, 16, v13
	;; [unrolled: 1-line block ×4, first 2 shown]
	s_branch .LBB89_10
.LBB89_9:                               ;   in Loop: Header=BB89_10 Depth=1
	s_or_b32 exec_lo, exec_lo, s2
	v_ashrrev_i32_e32 v17, 31, v16
	s_add_i32 s4, s4, 1
	v_perm_b32 v3, v58, v57, 0x7060302
	v_cmp_ge_i32_e64 s1, s4, v19
	v_perm_b32 v2, v56, v55, 0x7060302
	v_lshlrev_b64 v[4:5], 1, v[16:17]
	v_perm_b32 v1, v54, v53, 0x7060302
	v_perm_b32 v0, v52, v51, 0x7060302
	v_add_nc_u32_e32 v16, 0x100, v16
	v_add_nc_u32_e32 v50, 0x200, v50
	s_or_b32 s3, s1, s3
	v_add_co_u32 v4, s2, s12, v4
	s_delay_alu instid0(VALU_DEP_1)
	v_add_co_ci_u32_e64 v5, s2, s13, v5, s2
	global_store_b128 v[4:5], v[0:3], off
	s_and_not1_b32 exec_lo, exec_lo, s3
	s_cbranch_execz .LBB89_44
.LBB89_10:                              ; =>This Inner Loop Header: Depth=1
	ds_load_b128 v[0:3], v50
	s_waitcnt lgkmcnt(0)
	v_lshlrev_b32_e32 v6, 16, v1
	v_and_b32_e32 v4, 0xffff0000, v0
	v_and_b32_e32 v7, 0xffff0000, v1
	v_lshlrev_b32_e32 v0, 16, v0
	v_and_b32_e32 v53, 0xffff0000, v3
	s_delay_alu instid0(VALU_DEP_4) | instskip(SKIP_2) | instid1(VALU_DEP_3)
	v_dual_mul_f32 v5, v4, v4 :: v_dual_lshlrev_b32 v52, 16, v3
	v_add_nc_u32_e32 v3, s4, v18
	v_lshlrev_b32_e32 v17, 16, v2
	v_fmac_f32_e32 v5, v0, v0
	s_delay_alu instid0(VALU_DEP_3) | instskip(NEXT) | instid1(VALU_DEP_2)
	v_cmp_gt_i32_e64 s2, s16, v3
	v_fmac_f32_e32 v5, v6, v6
	s_delay_alu instid0(VALU_DEP_2) | instskip(SKIP_3) | instid1(VALU_DEP_4)
	v_cndmask_b32_e64 v56, v48, v44, s2
	v_cndmask_b32_e64 v54, v47, v43, s2
	;; [unrolled: 1-line block ×4, first 2 shown]
	v_dual_fmac_f32 v5, v7, v7 :: v_dual_lshlrev_b32 v56, 16, v56
	v_and_b32_e32 v51, 0xffff0000, v2
	v_cndmask_b32_e64 v55, v14, v10, s2
	v_cndmask_b32_e64 v57, v15, v11, s2
	s_delay_alu instid0(VALU_DEP_4) | instskip(NEXT) | instid1(VALU_DEP_2)
	v_dual_fmac_f32 v5, v17, v17 :: v_dual_lshlrev_b32 v54, 16, v54
	v_lshlrev_b32_e32 v57, 16, v57
	s_delay_alu instid0(VALU_DEP_2) | instskip(NEXT) | instid1(VALU_DEP_1)
	v_fmac_f32_e32 v5, v51, v51
	v_fmac_f32_e32 v5, v52, v52
	s_delay_alu instid0(VALU_DEP_1)
	v_fmac_f32_e32 v5, v53, v53
	ds_bpermute_b32 v1, v20, v5
	s_waitcnt lgkmcnt(0)
	v_add_f32_e32 v1, v5, v1
	v_cndmask_b32_e64 v5, v13, v9, s2
	ds_bpermute_b32 v2, v21, v1
	v_lshlrev_b32_e32 v5, 16, v5
	s_waitcnt lgkmcnt(0)
	v_add_f32_e32 v1, v1, v2
	ds_bpermute_b32 v2, v22, v1
	s_waitcnt lgkmcnt(0)
	v_add_f32_e32 v1, v1, v2
	ds_bpermute_b32 v2, v23, v1
	;; [unrolled: 3-line block ×3, first 2 shown]
	s_waitcnt lgkmcnt(0)
	v_add_f32_e32 v1, v1, v2
	s_delay_alu instid0(VALU_DEP_1) | instskip(NEXT) | instid1(VALU_DEP_1)
	v_fma_f32 v1, 0x3b800000, v1, s19
	v_mul_f32_e32 v2, 0x4b800000, v1
	v_cmp_gt_f32_e64 s1, 0x800000, v1
	s_delay_alu instid0(VALU_DEP_1) | instskip(SKIP_1) | instid1(VALU_DEP_2)
	v_cndmask_b32_e64 v1, v1, v2, s1
	v_cndmask_b32_e64 v2, v12, v8, s2
	v_rsq_f32_e32 v1, v1
	s_delay_alu instid0(VALU_DEP_1) | instskip(SKIP_2) | instid1(VALU_DEP_1)
	v_lshlrev_b32_e32 v2, 16, v2
	s_waitcnt_depctr 0xfff
	v_mul_f32_e32 v58, 0x45800000, v1
	v_cndmask_b32_e64 v1, v1, v58, s1
	v_lshlrev_b32_e32 v58, 16, v59
	s_delay_alu instid0(VALU_DEP_2) | instskip(NEXT) | instid1(VALU_DEP_2)
	v_dual_mul_f32 v2, v1, v2 :: v_dual_lshlrev_b32 v3, 16, v3
	v_mul_f32_e32 v58, v1, v58
	v_mul_f32_e32 v5, v1, v5
	v_lshlrev_b32_e32 v55, 16, v55
	s_delay_alu instid0(VALU_DEP_4)
	v_mul_f32_e32 v3, v1, v3
	v_mul_f32_e32 v54, v1, v54
	;; [unrolled: 1-line block ×3, first 2 shown]
	v_dual_mul_f32 v57, v1, v57 :: v_dual_mul_f32 v0, v2, v0
	v_mul_f32_e32 v2, v5, v6
	v_mul_f32_e32 v55, v1, v55
	;; [unrolled: 1-line block ×4, first 2 shown]
	v_dual_mul_f32 v5, v56, v51 :: v_dual_mul_f32 v6, v57, v52
	s_delay_alu instid0(VALU_DEP_4)
	v_mul_f32_e32 v4, v55, v17
	v_mul_f32_e32 v7, v58, v53
	s_and_saveexec_b32 s1, vcc_lo
	s_cbranch_execz .LBB89_12
; %bb.11:                               ;   in Loop: Header=BB89_10 Depth=1
	ds_bpermute_b32 v17, v25, v0
	ds_bpermute_b32 v51, v25, v1
	;; [unrolled: 1-line block ×3, first 2 shown]
	; wave barrier
	ds_load_b32 v55, v26
	ds_load_b32 v53, v27
	;; [unrolled: 1-line block ×8, first 2 shown]
	ds_bpermute_b32 v63, v25, v5
	ds_bpermute_b32 v54, v25, v3
	;; [unrolled: 1-line block ×5, first 2 shown]
	ds_load_b32 v68, v34
	ds_load_b32 v69, v35
	;; [unrolled: 1-line block ×8, first 2 shown]
	; wave barrier
	s_waitcnt lgkmcnt(23)
	v_cndmask_b32_e64 v17, v17, -v17, s0
	s_waitcnt lgkmcnt(22)
	v_cndmask_b32_e64 v66, v51, -v51, s0
	s_waitcnt lgkmcnt(21)
	v_cndmask_b32_e64 v67, v52, -v52, s0
	s_waitcnt lgkmcnt(19)
	v_mul_f32_e32 v51, v17, v53
	s_waitcnt lgkmcnt(15)
	s_delay_alu instid0(VALU_DEP_2) | instskip(SKIP_2) | instid1(VALU_DEP_2)
	v_dual_mul_f32 v52, v66, v57 :: v_dual_mul_f32 v53, v67, v59
	s_waitcnt lgkmcnt(9)
	v_cndmask_b32_e64 v17, v64, -v64, s0
	v_dual_fmac_f32 v52, v1, v56 :: v_dual_fmac_f32 v53, v2, v58
	v_cndmask_b32_e64 v2, v63, -v63, s0
	v_cndmask_b32_e64 v1, v62, -v62, s0
	s_waitcnt lgkmcnt(8)
	v_cndmask_b32_e64 v58, v65, -v65, s0
	s_waitcnt lgkmcnt(3)
	v_dual_mul_f32 v57, v17, v72 :: v_dual_mul_f32 v56, v2, v71
	s_waitcnt lgkmcnt(2)
	s_delay_alu instid0(VALU_DEP_2)
	v_dual_fmac_f32 v51, v0, v55 :: v_dual_mul_f32 v58, v58, v73
	v_cndmask_b32_e64 v0, v54, -v54, s0
	s_waitcnt lgkmcnt(1)
	v_fmac_f32_e32 v57, v6, v74
	v_fmac_f32_e32 v56, v5, v70
	s_waitcnt lgkmcnt(0)
	v_fmac_f32_e32 v58, v7, v75
	v_mul_f32_e32 v54, v0, v61
	s_delay_alu instid0(VALU_DEP_1) | instskip(NEXT) | instid1(VALU_DEP_1)
	v_dual_mul_f32 v55, v1, v69 :: v_dual_fmac_f32 v54, v3, v60
	v_fmac_f32_e32 v55, v4, v68
	v_dual_mov_b32 v0, v51 :: v_dual_mov_b32 v1, v52
	s_delay_alu instid0(VALU_DEP_3) | instskip(NEXT) | instid1(VALU_DEP_3)
	v_dual_mov_b32 v2, v53 :: v_dual_mov_b32 v3, v54
	v_dual_mov_b32 v4, v55 :: v_dual_mov_b32 v5, v56
	;; [unrolled: 1-line block ×3, first 2 shown]
.LBB89_12:                              ;   in Loop: Header=BB89_10 Depth=1
	s_or_b32 exec_lo, exec_lo, s1
	v_and_b32_e32 v17, 0x7f800000, v0
                                        ; implicit-def: $vgpr51
	s_delay_alu instid0(VALU_DEP_1) | instskip(NEXT) | instid1(VALU_DEP_1)
	v_cmp_ne_u32_e64 s1, 0x7f800000, v17
	s_and_saveexec_b32 s2, s1
	s_delay_alu instid0(SALU_CYCLE_1)
	s_xor_b32 s1, exec_lo, s2
; %bb.13:                               ;   in Loop: Header=BB89_10 Depth=1
	v_bfe_u32 v17, v0, 16, 1
	s_delay_alu instid0(VALU_DEP_1)
	v_add3_u32 v51, v0, v17, 0x7fff
; %bb.14:                               ;   in Loop: Header=BB89_10 Depth=1
	s_and_not1_saveexec_b32 s2, s1
; %bb.15:                               ;   in Loop: Header=BB89_10 Depth=1
	v_and_b32_e32 v17, 0xffff, v0
	v_or_b32_e32 v51, 0x10000, v0
	s_delay_alu instid0(VALU_DEP_2) | instskip(NEXT) | instid1(VALU_DEP_1)
	v_cmp_eq_u32_e64 s1, 0, v17
	v_cndmask_b32_e64 v51, v51, v0, s1
; %bb.16:                               ;   in Loop: Header=BB89_10 Depth=1
	s_or_b32 exec_lo, exec_lo, s2
	v_and_b32_e32 v0, 0x7f800000, v1
                                        ; implicit-def: $vgpr52
	s_delay_alu instid0(VALU_DEP_1) | instskip(NEXT) | instid1(VALU_DEP_1)
	v_cmp_ne_u32_e64 s1, 0x7f800000, v0
	s_and_saveexec_b32 s2, s1
	s_delay_alu instid0(SALU_CYCLE_1)
	s_xor_b32 s1, exec_lo, s2
; %bb.17:                               ;   in Loop: Header=BB89_10 Depth=1
	v_bfe_u32 v0, v1, 16, 1
	s_delay_alu instid0(VALU_DEP_1)
	v_add3_u32 v52, v1, v0, 0x7fff
; %bb.18:                               ;   in Loop: Header=BB89_10 Depth=1
	s_and_not1_saveexec_b32 s2, s1
; %bb.19:                               ;   in Loop: Header=BB89_10 Depth=1
	v_and_b32_e32 v0, 0xffff, v1
	v_or_b32_e32 v17, 0x10000, v1
	s_delay_alu instid0(VALU_DEP_2) | instskip(NEXT) | instid1(VALU_DEP_1)
	v_cmp_eq_u32_e64 s1, 0, v0
	v_cndmask_b32_e64 v52, v17, v1, s1
; %bb.20:                               ;   in Loop: Header=BB89_10 Depth=1
	s_or_b32 exec_lo, exec_lo, s2
	v_and_b32_e32 v0, 0x7f800000, v2
                                        ; implicit-def: $vgpr53
	s_delay_alu instid0(VALU_DEP_1) | instskip(NEXT) | instid1(VALU_DEP_1)
	v_cmp_ne_u32_e64 s1, 0x7f800000, v0
	s_and_saveexec_b32 s2, s1
	s_delay_alu instid0(SALU_CYCLE_1)
	s_xor_b32 s1, exec_lo, s2
; %bb.21:                               ;   in Loop: Header=BB89_10 Depth=1
	v_bfe_u32 v0, v2, 16, 1
	s_delay_alu instid0(VALU_DEP_1)
	v_add3_u32 v53, v2, v0, 0x7fff
; %bb.22:                               ;   in Loop: Header=BB89_10 Depth=1
	s_and_not1_saveexec_b32 s2, s1
; %bb.23:                               ;   in Loop: Header=BB89_10 Depth=1
	v_and_b32_e32 v0, 0xffff, v2
	v_or_b32_e32 v1, 0x10000, v2
	s_delay_alu instid0(VALU_DEP_2) | instskip(NEXT) | instid1(VALU_DEP_1)
	v_cmp_eq_u32_e64 s1, 0, v0
	v_cndmask_b32_e64 v53, v1, v2, s1
; %bb.24:                               ;   in Loop: Header=BB89_10 Depth=1
	s_or_b32 exec_lo, exec_lo, s2
	v_and_b32_e32 v0, 0x7f800000, v3
                                        ; implicit-def: $vgpr54
	s_delay_alu instid0(VALU_DEP_1) | instskip(NEXT) | instid1(VALU_DEP_1)
	v_cmp_ne_u32_e64 s1, 0x7f800000, v0
	s_and_saveexec_b32 s2, s1
	s_delay_alu instid0(SALU_CYCLE_1)
	s_xor_b32 s1, exec_lo, s2
; %bb.25:                               ;   in Loop: Header=BB89_10 Depth=1
	v_bfe_u32 v0, v3, 16, 1
	s_delay_alu instid0(VALU_DEP_1)
	v_add3_u32 v54, v3, v0, 0x7fff
; %bb.26:                               ;   in Loop: Header=BB89_10 Depth=1
	s_and_not1_saveexec_b32 s2, s1
; %bb.27:                               ;   in Loop: Header=BB89_10 Depth=1
	v_and_b32_e32 v0, 0xffff, v3
	v_or_b32_e32 v1, 0x10000, v3
	s_delay_alu instid0(VALU_DEP_2) | instskip(NEXT) | instid1(VALU_DEP_1)
	v_cmp_eq_u32_e64 s1, 0, v0
	v_cndmask_b32_e64 v54, v1, v3, s1
; %bb.28:                               ;   in Loop: Header=BB89_10 Depth=1
	s_or_b32 exec_lo, exec_lo, s2
	v_and_b32_e32 v0, 0x7f800000, v4
                                        ; implicit-def: $vgpr55
	s_delay_alu instid0(VALU_DEP_1) | instskip(NEXT) | instid1(VALU_DEP_1)
	v_cmp_ne_u32_e64 s1, 0x7f800000, v0
	s_and_saveexec_b32 s2, s1
	s_delay_alu instid0(SALU_CYCLE_1)
	s_xor_b32 s1, exec_lo, s2
; %bb.29:                               ;   in Loop: Header=BB89_10 Depth=1
	v_bfe_u32 v0, v4, 16, 1
	s_delay_alu instid0(VALU_DEP_1)
	v_add3_u32 v55, v4, v0, 0x7fff
; %bb.30:                               ;   in Loop: Header=BB89_10 Depth=1
	s_and_not1_saveexec_b32 s2, s1
; %bb.31:                               ;   in Loop: Header=BB89_10 Depth=1
	v_and_b32_e32 v0, 0xffff, v4
	v_or_b32_e32 v1, 0x10000, v4
	s_delay_alu instid0(VALU_DEP_2) | instskip(NEXT) | instid1(VALU_DEP_1)
	v_cmp_eq_u32_e64 s1, 0, v0
	v_cndmask_b32_e64 v55, v1, v4, s1
; %bb.32:                               ;   in Loop: Header=BB89_10 Depth=1
	s_or_b32 exec_lo, exec_lo, s2
	v_and_b32_e32 v0, 0x7f800000, v5
                                        ; implicit-def: $vgpr56
	s_delay_alu instid0(VALU_DEP_1) | instskip(NEXT) | instid1(VALU_DEP_1)
	v_cmp_ne_u32_e64 s1, 0x7f800000, v0
	s_and_saveexec_b32 s2, s1
	s_delay_alu instid0(SALU_CYCLE_1)
	s_xor_b32 s1, exec_lo, s2
; %bb.33:                               ;   in Loop: Header=BB89_10 Depth=1
	v_bfe_u32 v0, v5, 16, 1
	s_delay_alu instid0(VALU_DEP_1)
	v_add3_u32 v56, v5, v0, 0x7fff
; %bb.34:                               ;   in Loop: Header=BB89_10 Depth=1
	s_and_not1_saveexec_b32 s2, s1
; %bb.35:                               ;   in Loop: Header=BB89_10 Depth=1
	v_and_b32_e32 v0, 0xffff, v5
	v_or_b32_e32 v1, 0x10000, v5
	s_delay_alu instid0(VALU_DEP_2) | instskip(NEXT) | instid1(VALU_DEP_1)
	v_cmp_eq_u32_e64 s1, 0, v0
	v_cndmask_b32_e64 v56, v1, v5, s1
; %bb.36:                               ;   in Loop: Header=BB89_10 Depth=1
	s_or_b32 exec_lo, exec_lo, s2
	v_and_b32_e32 v0, 0x7f800000, v6
                                        ; implicit-def: $vgpr57
	s_delay_alu instid0(VALU_DEP_1) | instskip(NEXT) | instid1(VALU_DEP_1)
	v_cmp_ne_u32_e64 s1, 0x7f800000, v0
	s_and_saveexec_b32 s2, s1
	s_delay_alu instid0(SALU_CYCLE_1)
	s_xor_b32 s1, exec_lo, s2
; %bb.37:                               ;   in Loop: Header=BB89_10 Depth=1
	v_bfe_u32 v0, v6, 16, 1
	s_delay_alu instid0(VALU_DEP_1)
	v_add3_u32 v57, v6, v0, 0x7fff
; %bb.38:                               ;   in Loop: Header=BB89_10 Depth=1
	s_and_not1_saveexec_b32 s2, s1
; %bb.39:                               ;   in Loop: Header=BB89_10 Depth=1
	v_and_b32_e32 v0, 0xffff, v6
	v_or_b32_e32 v1, 0x10000, v6
	s_delay_alu instid0(VALU_DEP_2) | instskip(NEXT) | instid1(VALU_DEP_1)
	v_cmp_eq_u32_e64 s1, 0, v0
	v_cndmask_b32_e64 v57, v1, v6, s1
; %bb.40:                               ;   in Loop: Header=BB89_10 Depth=1
	s_or_b32 exec_lo, exec_lo, s2
	v_and_b32_e32 v0, 0x7f800000, v7
                                        ; implicit-def: $vgpr58
	s_delay_alu instid0(VALU_DEP_1) | instskip(NEXT) | instid1(VALU_DEP_1)
	v_cmp_ne_u32_e64 s1, 0x7f800000, v0
	s_and_saveexec_b32 s2, s1
	s_delay_alu instid0(SALU_CYCLE_1)
	s_xor_b32 s1, exec_lo, s2
; %bb.41:                               ;   in Loop: Header=BB89_10 Depth=1
	v_bfe_u32 v0, v7, 16, 1
	s_delay_alu instid0(VALU_DEP_1)
	v_add3_u32 v58, v7, v0, 0x7fff
                                        ; implicit-def: $vgpr0_vgpr1_vgpr2_vgpr3_vgpr4_vgpr5_vgpr6_vgpr7
; %bb.42:                               ;   in Loop: Header=BB89_10 Depth=1
	s_and_not1_saveexec_b32 s2, s1
	s_cbranch_execz .LBB89_9
; %bb.43:                               ;   in Loop: Header=BB89_10 Depth=1
	v_and_b32_e32 v0, 0xffff, v7
	v_or_b32_e32 v1, 0x10000, v7
	s_delay_alu instid0(VALU_DEP_2) | instskip(NEXT) | instid1(VALU_DEP_1)
	v_cmp_eq_u32_e64 s1, 0, v0
	v_cndmask_b32_e64 v58, v1, v7, s1
	s_branch .LBB89_9
.LBB89_44:
	s_nop 0
	s_sendmsg sendmsg(MSG_DEALLOC_VGPRS)
	s_endpgm
	.section	.rodata,"a",@progbits
	.p2align	6, 0x0
	.amdhsa_kernel _ZN12tensorrt_llm7kernels32fusedQKNormRopeKernelNTokenHeadsIN3c108BFloat16EfLi256ELb0ELi4EEEvPviiifPKvS6_S6_PKlii
		.amdhsa_group_segment_fixed_size 0
		.amdhsa_private_segment_fixed_size 0
		.amdhsa_kernarg_size 320
		.amdhsa_user_sgpr_count 15
		.amdhsa_user_sgpr_dispatch_ptr 0
		.amdhsa_user_sgpr_queue_ptr 0
		.amdhsa_user_sgpr_kernarg_segment_ptr 1
		.amdhsa_user_sgpr_dispatch_id 0
		.amdhsa_user_sgpr_private_segment_size 0
		.amdhsa_wavefront_size32 1
		.amdhsa_uses_dynamic_stack 0
		.amdhsa_enable_private_segment 0
		.amdhsa_system_sgpr_workgroup_id_x 1
		.amdhsa_system_sgpr_workgroup_id_y 0
		.amdhsa_system_sgpr_workgroup_id_z 0
		.amdhsa_system_sgpr_workgroup_info 0
		.amdhsa_system_vgpr_workitem_id 0
		.amdhsa_next_free_vgpr 76
		.amdhsa_next_free_sgpr 21
		.amdhsa_reserve_vcc 1
		.amdhsa_float_round_mode_32 0
		.amdhsa_float_round_mode_16_64 0
		.amdhsa_float_denorm_mode_32 3
		.amdhsa_float_denorm_mode_16_64 3
		.amdhsa_dx10_clamp 1
		.amdhsa_ieee_mode 1
		.amdhsa_fp16_overflow 0
		.amdhsa_workgroup_processor_mode 1
		.amdhsa_memory_ordered 1
		.amdhsa_forward_progress 0
		.amdhsa_shared_vgpr_count 0
		.amdhsa_exception_fp_ieee_invalid_op 0
		.amdhsa_exception_fp_denorm_src 0
		.amdhsa_exception_fp_ieee_div_zero 0
		.amdhsa_exception_fp_ieee_overflow 0
		.amdhsa_exception_fp_ieee_underflow 0
		.amdhsa_exception_fp_ieee_inexact 0
		.amdhsa_exception_int_div_zero 0
	.end_amdhsa_kernel
	.section	.text._ZN12tensorrt_llm7kernels32fusedQKNormRopeKernelNTokenHeadsIN3c108BFloat16EfLi256ELb0ELi4EEEvPviiifPKvS6_S6_PKlii,"axG",@progbits,_ZN12tensorrt_llm7kernels32fusedQKNormRopeKernelNTokenHeadsIN3c108BFloat16EfLi256ELb0ELi4EEEvPviiifPKvS6_S6_PKlii,comdat
.Lfunc_end89:
	.size	_ZN12tensorrt_llm7kernels32fusedQKNormRopeKernelNTokenHeadsIN3c108BFloat16EfLi256ELb0ELi4EEEvPviiifPKvS6_S6_PKlii, .Lfunc_end89-_ZN12tensorrt_llm7kernels32fusedQKNormRopeKernelNTokenHeadsIN3c108BFloat16EfLi256ELb0ELi4EEEvPviiifPKvS6_S6_PKlii
                                        ; -- End function
	.section	.AMDGPU.csdata,"",@progbits
; Kernel info:
; codeLenInByte = 3816
; NumSgprs: 23
; NumVgprs: 76
; ScratchSize: 0
; MemoryBound: 0
; FloatMode: 240
; IeeeMode: 1
; LDSByteSize: 0 bytes/workgroup (compile time only)
; SGPRBlocks: 2
; VGPRBlocks: 9
; NumSGPRsForWavesPerEU: 23
; NumVGPRsForWavesPerEU: 76
; Occupancy: 16
; WaveLimiterHint : 0
; COMPUTE_PGM_RSRC2:SCRATCH_EN: 0
; COMPUTE_PGM_RSRC2:USER_SGPR: 15
; COMPUTE_PGM_RSRC2:TRAP_HANDLER: 0
; COMPUTE_PGM_RSRC2:TGID_X_EN: 1
; COMPUTE_PGM_RSRC2:TGID_Y_EN: 0
; COMPUTE_PGM_RSRC2:TGID_Z_EN: 0
; COMPUTE_PGM_RSRC2:TIDIG_COMP_CNT: 0
	.section	.text._ZN12tensorrt_llm7kernels32fusedQKNormRopeKernelNTokenHeadsIN3c108BFloat16EfLi64ELb1ELi8EEEvPviiifPKvS6_S6_PKlii,"axG",@progbits,_ZN12tensorrt_llm7kernels32fusedQKNormRopeKernelNTokenHeadsIN3c108BFloat16EfLi64ELb1ELi8EEEvPviiifPKvS6_S6_PKlii,comdat
	.protected	_ZN12tensorrt_llm7kernels32fusedQKNormRopeKernelNTokenHeadsIN3c108BFloat16EfLi64ELb1ELi8EEEvPviiifPKvS6_S6_PKlii ; -- Begin function _ZN12tensorrt_llm7kernels32fusedQKNormRopeKernelNTokenHeadsIN3c108BFloat16EfLi64ELb1ELi8EEEvPviiifPKvS6_S6_PKlii
	.globl	_ZN12tensorrt_llm7kernels32fusedQKNormRopeKernelNTokenHeadsIN3c108BFloat16EfLi64ELb1ELi8EEEvPviiifPKvS6_S6_PKlii
	.p2align	8
	.type	_ZN12tensorrt_llm7kernels32fusedQKNormRopeKernelNTokenHeadsIN3c108BFloat16EfLi64ELb1ELi8EEEvPviiifPKvS6_S6_PKlii,@function
_ZN12tensorrt_llm7kernels32fusedQKNormRopeKernelNTokenHeadsIN3c108BFloat16EfLi64ELb1ELi8EEEvPviiifPKvS6_S6_PKlii: ; @_ZN12tensorrt_llm7kernels32fusedQKNormRopeKernelNTokenHeadsIN3c108BFloat16EfLi64ELb1ELi8EEEvPviiifPKvS6_S6_PKlii
; %bb.0:
	s_clause 0x1
	s_load_b128 s[16:19], s[0:1], 0x8
	s_load_b64 s[2:3], s[0:1], 0x38
	v_lshrrev_b32_e32 v2, 5, v0
	s_waitcnt lgkmcnt(0)
	s_add_i32 s4, s17, s16
	s_delay_alu instid0(SALU_CYCLE_1) | instskip(NEXT) | instid1(SALU_CYCLE_1)
	s_add_i32 s5, s4, 7
	s_ashr_i32 s6, s5, 31
	s_delay_alu instid0(SALU_CYCLE_1) | instskip(NEXT) | instid1(SALU_CYCLE_1)
	s_lshr_b32 s6, s6, 29
	s_add_i32 s5, s5, s6
	s_delay_alu instid0(SALU_CYCLE_1) | instskip(SKIP_2) | instid1(SALU_CYCLE_1)
	s_ashr_i32 s14, s5, 3
	s_load_b32 s5, s[0:1], 0x4c
	s_abs_i32 s6, s14
	v_cvt_f32_u32_e32 v1, s6
	s_sub_i32 s7, 0, s6
	s_delay_alu instid0(VALU_DEP_1) | instskip(SKIP_4) | instid1(SALU_CYCLE_1)
	v_rcp_iflag_f32_e32 v1, v1
	s_waitcnt_depctr 0xfff
	v_mul_f32_e32 v1, 0x4f7ffffe, v1
	s_waitcnt lgkmcnt(0)
	s_bfe_u32 s5, s5, 0xb0005
	v_mad_u64_u32 v[3:4], null, s15, s5, v[2:3]
	s_delay_alu instid0(VALU_DEP_2) | instskip(NEXT) | instid1(VALU_DEP_1)
	v_cvt_u32_f32_e32 v1, v1
	v_mul_lo_u32 v5, s7, v1
	s_delay_alu instid0(VALU_DEP_1) | instskip(NEXT) | instid1(VALU_DEP_4)
	v_mul_hi_u32 v4, v1, v5
	v_sub_nc_u32_e32 v5, 0, v3
	s_delay_alu instid0(VALU_DEP_1) | instskip(NEXT) | instid1(VALU_DEP_3)
	v_max_i32_e32 v5, v3, v5
	v_add_nc_u32_e32 v1, v1, v4
	s_delay_alu instid0(VALU_DEP_1) | instskip(NEXT) | instid1(VALU_DEP_1)
	v_mul_hi_u32 v1, v5, v1
	v_mul_lo_u32 v4, v1, s6
	s_delay_alu instid0(VALU_DEP_1) | instskip(SKIP_1) | instid1(VALU_DEP_2)
	v_sub_nc_u32_e32 v4, v5, v4
	v_add_nc_u32_e32 v5, 1, v1
	v_subrev_nc_u32_e32 v6, s6, v4
	v_cmp_le_u32_e32 vcc_lo, s6, v4
	s_delay_alu instid0(VALU_DEP_2) | instskip(SKIP_1) | instid1(VALU_DEP_2)
	v_dual_cndmask_b32 v4, v4, v6 :: v_dual_cndmask_b32 v1, v1, v5
	v_xor_b32_e32 v5, s14, v3
	v_cmp_le_u32_e32 vcc_lo, s6, v4
	s_delay_alu instid0(VALU_DEP_3) | instskip(NEXT) | instid1(VALU_DEP_3)
	v_add_nc_u32_e32 v6, 1, v1
	v_ashrrev_i32_e32 v5, 31, v5
	s_delay_alu instid0(VALU_DEP_2) | instskip(NEXT) | instid1(VALU_DEP_1)
	v_cndmask_b32_e32 v1, v1, v6, vcc_lo
	v_xor_b32_e32 v1, v1, v5
	s_delay_alu instid0(VALU_DEP_1) | instskip(NEXT) | instid1(VALU_DEP_1)
	v_sub_nc_u32_e32 v1, v1, v5
	v_cmp_gt_i32_e32 vcc_lo, s2, v1
	s_and_saveexec_b32 s2, vcc_lo
	s_cbranch_execz .LBB90_20
; %bb.1:
	v_mul_lo_u32 v4, v1, s14
	s_load_b64 s[12:13], s[0:1], 0x0
	v_and_b32_e32 v0, 31, v0
	v_lshlrev_b32_e32 v10, 10, v2
	v_lshlrev_b32_e32 v8, 9, v3
	s_lshl_b32 s20, s3, 2
	s_delay_alu instid0(VALU_DEP_3) | instskip(SKIP_2) | instid1(VALU_DEP_1)
	v_lshlrev_b32_e32 v7, 2, v0
	v_sub_nc_u32_e32 v4, v3, v4
	s_mul_i32 s15, s20, s5
	v_lshlrev_b32_e32 v5, 3, v4
	s_delay_alu instid0(VALU_DEP_1) | instskip(SKIP_1) | instid1(VALU_DEP_2)
	v_add_nc_u32_e32 v4, 8, v5
	v_sub_nc_u32_e32 v6, s4, v5
	v_cmp_lt_i32_e32 vcc_lo, s4, v4
	s_delay_alu instid0(VALU_DEP_2) | instskip(NEXT) | instid1(VALU_DEP_1)
	v_cndmask_b32_e32 v6, 8, v6, vcc_lo
	v_cmp_lt_i32_e32 vcc_lo, 0, v6
	s_and_saveexec_b32 s4, vcc_lo
	s_cbranch_execz .LBB90_4
; %bb.2:
	s_add_i32 s2, s18, s17
	s_lshl_b32 s5, s14, 3
	s_add_i32 s2, s2, s16
	s_mov_b32 s6, 0
	s_sub_i32 s2, s2, s5
	s_mov_b32 s5, 0
	v_mul_lo_u32 v3, s2, v1
	s_add_i32 s2, s15, 0
	s_delay_alu instid0(SALU_CYCLE_1) | instskip(NEXT) | instid1(VALU_DEP_2)
	v_add3_u32 v9, s2, v10, v7
	v_lshl_add_u32 v3, v3, 6, v8
	s_delay_alu instid0(VALU_DEP_1)
	v_lshl_or_b32 v3, v0, 1, v3
	.p2align	6
.LBB90_3:                               ; =>This Inner Loop Header: Depth=1
	s_delay_alu instid0(VALU_DEP_1) | instskip(SKIP_1) | instid1(VALU_DEP_1)
	v_ashrrev_i32_e32 v4, 31, v3
	s_add_i32 s6, s6, 1
	v_lshlrev_b64 v[11:12], 1, v[3:4]
	v_add_nc_u32_e32 v3, 64, v3
	s_waitcnt lgkmcnt(0)
	s_delay_alu instid0(VALU_DEP_2) | instskip(NEXT) | instid1(VALU_DEP_1)
	v_add_co_u32 v11, s2, s12, v11
	v_add_co_ci_u32_e64 v12, s2, s13, v12, s2
	v_cmp_ge_i32_e64 s2, s6, v6
	global_load_b32 v4, v[11:12], off
	s_or_b32 s5, s2, s5
	s_waitcnt vmcnt(0)
	ds_store_b32 v9, v4
	v_add_nc_u32_e32 v9, 0x80, v9
	s_and_not1_b32 exec_lo, exec_lo, s5
	s_cbranch_execnz .LBB90_3
.LBB90_4:
	s_or_b32 exec_lo, exec_lo, s4
	s_load_b256 s[4:11], s[0:1], 0x18
	v_mul_lo_u32 v2, v2, s3
	s_add_i32 s0, s20, 15
	s_mov_b32 s20, exec_lo
	s_ashr_i32 s1, s0, 31
	s_delay_alu instid0(SALU_CYCLE_1) | instskip(NEXT) | instid1(SALU_CYCLE_1)
	s_lshr_b32 s1, s1, 28
	s_add_i32 s0, s0, s1
	s_delay_alu instid0(VALU_DEP_1) | instskip(SKIP_1) | instid1(SALU_CYCLE_1)
	v_lshlrev_b32_e32 v9, 2, v2
	s_ashr_i32 s2, s0, 4
	v_cmpx_gt_i32_e64 s2, v0
	s_cbranch_execz .LBB90_7
; %bb.5:
	v_ashrrev_i32_e32 v2, 31, v1
	s_delay_alu instid0(VALU_DEP_1) | instskip(SKIP_1) | instid1(VALU_DEP_1)
	v_lshlrev_b64 v[2:3], 3, v[1:2]
	s_waitcnt lgkmcnt(0)
	v_add_co_u32 v2, s0, s10, v2
	s_delay_alu instid0(VALU_DEP_1)
	v_add_co_ci_u32_e64 v3, s0, s11, v3, s0
	s_ashr_i32 s0, s3, 31
	global_load_b64 v[2:3], v[2:3], off
	s_waitcnt vmcnt(0)
	v_mul_lo_u32 v11, v3, s3
	v_mul_lo_u32 v12, v2, s0
	v_mad_u64_u32 v[3:4], null, v2, s3, 0
	s_delay_alu instid0(VALU_DEP_1) | instskip(SKIP_1) | instid1(VALU_DEP_2)
	v_add3_u32 v4, v4, v12, v11
	v_mov_b32_e32 v11, v0
	v_lshlrev_b64 v[2:3], 2, v[3:4]
	v_lshlrev_b32_e32 v4, 4, v0
	s_delay_alu instid0(VALU_DEP_1) | instskip(NEXT) | instid1(VALU_DEP_1)
	v_add_co_u32 v2, s0, v2, v4
	v_add_co_ci_u32_e64 v3, s0, 0, v3, s0
	v_add3_u32 v4, v9, v4, 0
	s_delay_alu instid0(VALU_DEP_3) | instskip(NEXT) | instid1(VALU_DEP_1)
	v_add_co_u32 v2, s0, s8, v2
	v_add_co_ci_u32_e64 v3, s0, s9, v3, s0
	s_mov_b32 s8, 0
	.p2align	6
.LBB90_6:                               ; =>This Inner Loop Header: Depth=1
	global_load_b128 v[12:15], v[2:3], off
	v_add_nc_u32_e32 v11, 32, v11
	v_add_co_u32 v2, s0, 0x200, v2
	s_delay_alu instid0(VALU_DEP_1) | instskip(NEXT) | instid1(VALU_DEP_3)
	v_add_co_ci_u32_e64 v3, s0, 0, v3, s0
	v_cmp_le_i32_e64 s1, s2, v11
	s_delay_alu instid0(VALU_DEP_1)
	s_or_b32 s8, s1, s8
	s_waitcnt vmcnt(0)
	ds_store_b128 v4, v[12:15]
	v_add_nc_u32_e32 v4, 0x200, v4
	s_and_not1_b32 exec_lo, exec_lo, s8
	s_cbranch_execnz .LBB90_6
.LBB90_7:
	s_or_b32 exec_lo, exec_lo, s20
	s_delay_alu instid0(SALU_CYCLE_1)
	s_and_b32 exec_lo, exec_lo, vcc_lo
	s_cbranch_execz .LBB90_20
; %bb.8:
	s_waitcnt lgkmcnt(0)
	s_clause 0x1
	global_load_b32 v3, v7, s[4:5]
	global_load_b32 v4, v7, s[6:7]
	v_mbcnt_lo_u32_b32 v2, -1, 0
	s_lshr_b32 s0, s3, 31
	v_add3_u32 v9, 0, v9, v7
	s_add_i32 s0, s3, s0
	v_add_nc_u32_e32 v17, s15, v10
	v_xor_b32_e32 v11, 16, v2
	s_ashr_i32 s0, s0, 1
	v_xor_b32_e32 v12, 8, v2
	v_cmp_gt_i32_e32 vcc_lo, s0, v0
	v_lshl_add_u32 v10, s0, 2, v9
	v_cmp_gt_i32_e64 s0, 32, v11
	v_xor_b32_e32 v13, 4, v2
	v_xor_b32_e32 v14, 2, v2
	s_add_i32 s1, s18, s17
	s_lshl_b32 s2, s14, 3
	v_cndmask_b32_e64 v11, v2, v11, s0
	v_cmp_gt_i32_e64 s0, 32, v12
	s_add_i32 s1, s1, s16
	v_xor_b32_e32 v15, 1, v2
	s_sub_i32 s1, s1, s2
	v_add3_u32 v7, v17, v7, 0
	v_cndmask_b32_e64 v12, v2, v12, s0
	v_cmp_gt_i32_e64 s0, 32, v13
	v_mul_lo_u32 v1, s1, v1
	s_mov_b32 s2, 0
	s_mov_b32 s3, 0
	s_delay_alu instid0(VALU_DEP_2) | instskip(SKIP_1) | instid1(VALU_DEP_3)
	v_cndmask_b32_e64 v13, v2, v13, s0
	v_cmp_gt_i32_e64 s0, 32, v14
	v_lshl_add_u32 v1, v1, 6, v8
	v_lshlrev_b32_e32 v8, 2, v11
	s_delay_alu instid0(VALU_DEP_3)
	v_cndmask_b32_e64 v14, v2, v14, s0
	v_cmp_gt_i32_e64 s0, 32, v15
	v_lshlrev_b32_e32 v11, 2, v12
	v_lshlrev_b32_e32 v12, 2, v13
	v_lshl_or_b32 v0, v0, 1, v1
	v_lshlrev_b32_e32 v13, 2, v14
	v_cndmask_b32_e64 v2, v2, v15, s0
	s_delay_alu instid0(VALU_DEP_1)
	v_lshlrev_b32_e32 v14, 2, v2
	s_waitcnt vmcnt(1)
	v_lshrrev_b32_e32 v15, 16, v3
	s_waitcnt vmcnt(0)
	v_lshrrev_b32_e32 v16, 16, v4
	s_branch .LBB90_10
.LBB90_9:                               ;   in Loop: Header=BB90_10 Depth=1
	s_or_b32 exec_lo, exec_lo, s1
	v_ashrrev_i32_e32 v1, 31, v0
	v_lshrrev_b32_e32 v17, 16, v17
	s_add_i32 s3, s3, 1
	v_add_nc_u32_e32 v7, 0x80, v7
	v_cmp_ge_i32_e64 s0, s3, v6
	v_lshlrev_b64 v[1:2], 1, v[0:1]
	v_and_or_b32 v17, 0xffff0000, v18, v17
	v_add_nc_u32_e32 v0, 64, v0
	s_delay_alu instid0(VALU_DEP_4) | instskip(NEXT) | instid1(VALU_DEP_3)
	s_or_b32 s2, s0, s2
	v_add_co_u32 v1, s1, s12, v1
	s_delay_alu instid0(VALU_DEP_1)
	v_add_co_ci_u32_e64 v2, s1, s13, v2, s1
	global_store_b32 v[1:2], v17, off
	s_and_not1_b32 exec_lo, exec_lo, s2
	s_cbranch_execz .LBB90_20
.LBB90_10:                              ; =>This Inner Loop Header: Depth=1
	ds_load_b32 v1, v7
	s_waitcnt lgkmcnt(0)
	v_lshlrev_b32_e32 v2, 16, v1
	v_and_b32_e32 v17, 0xffff0000, v1
	s_delay_alu instid0(VALU_DEP_2) | instskip(NEXT) | instid1(VALU_DEP_1)
	v_mul_f32_e32 v1, v2, v2
	v_fmac_f32_e32 v1, v17, v17
	ds_bpermute_b32 v18, v8, v1
	s_waitcnt lgkmcnt(0)
	v_add_f32_e32 v1, v1, v18
	ds_bpermute_b32 v18, v11, v1
	s_waitcnt lgkmcnt(0)
	v_add_f32_e32 v1, v1, v18
	;; [unrolled: 3-line block ×5, first 2 shown]
	s_delay_alu instid0(VALU_DEP_1) | instskip(NEXT) | instid1(VALU_DEP_1)
	v_fma_f32 v1, 0x3c800000, v1, s19
	v_mul_f32_e32 v18, 0x4b800000, v1
	v_cmp_gt_f32_e64 s0, 0x800000, v1
	s_delay_alu instid0(VALU_DEP_1) | instskip(SKIP_1) | instid1(VALU_DEP_2)
	v_cndmask_b32_e64 v1, v1, v18, s0
	v_add_nc_u32_e32 v18, s3, v5
	v_rsq_f32_e32 v1, v1
	s_delay_alu instid0(VALU_DEP_1) | instskip(NEXT) | instid1(VALU_DEP_1)
	v_cmp_gt_i32_e64 s1, s16, v18
	v_cndmask_b32_e64 v18, v4, v3, s1
	v_cndmask_b32_e64 v20, v16, v15, s1
	s_waitcnt_depctr 0xfff
	v_dual_mul_f32 v19, 0x45800000, v1 :: v_dual_lshlrev_b32 v18, 16, v18
	s_delay_alu instid0(VALU_DEP_1) | instskip(NEXT) | instid1(VALU_DEP_1)
	v_cndmask_b32_e64 v1, v1, v19, s0
	v_dual_mul_f32 v18, v1, v18 :: v_dual_lshlrev_b32 v19, 16, v20
	s_delay_alu instid0(VALU_DEP_1) | instskip(NEXT) | instid1(VALU_DEP_1)
	v_mul_f32_e32 v19, v1, v19
	v_dual_mul_f32 v1, v18, v2 :: v_dual_mul_f32 v2, v19, v17
	s_and_saveexec_b32 s0, vcc_lo
	s_cbranch_execz .LBB90_12
; %bb.11:                               ;   in Loop: Header=BB90_10 Depth=1
	ds_load_b32 v17, v10
	ds_load_b32 v19, v9
	s_waitcnt lgkmcnt(1)
	v_mul_f32_e32 v18, v1, v17
	s_waitcnt lgkmcnt(0)
	s_delay_alu instid0(VALU_DEP_1) | instskip(SKIP_1) | instid1(VALU_DEP_1)
	v_fmac_f32_e32 v18, v2, v19
	v_mul_f32_e32 v20, v2, v17
	v_fma_f32 v17, v1, v19, -v20
	s_delay_alu instid0(VALU_DEP_1)
	v_dual_mov_b32 v1, v17 :: v_dual_mov_b32 v2, v18
.LBB90_12:                              ;   in Loop: Header=BB90_10 Depth=1
	s_or_b32 exec_lo, exec_lo, s0
	s_delay_alu instid0(VALU_DEP_1) | instskip(NEXT) | instid1(VALU_DEP_1)
	v_and_b32_e32 v17, 0x7f800000, v1
	v_cmp_ne_u32_e64 s0, 0x7f800000, v17
                                        ; implicit-def: $vgpr17
	s_delay_alu instid0(VALU_DEP_1) | instskip(NEXT) | instid1(SALU_CYCLE_1)
	s_and_saveexec_b32 s1, s0
	s_xor_b32 s0, exec_lo, s1
; %bb.13:                               ;   in Loop: Header=BB90_10 Depth=1
	v_bfe_u32 v17, v1, 16, 1
	s_delay_alu instid0(VALU_DEP_1)
	v_add3_u32 v17, v1, v17, 0x7fff
; %bb.14:                               ;   in Loop: Header=BB90_10 Depth=1
	s_and_not1_saveexec_b32 s1, s0
; %bb.15:                               ;   in Loop: Header=BB90_10 Depth=1
	v_and_b32_e32 v17, 0xffff, v1
	v_or_b32_e32 v18, 0x10000, v1
	s_delay_alu instid0(VALU_DEP_2) | instskip(NEXT) | instid1(VALU_DEP_1)
	v_cmp_eq_u32_e64 s0, 0, v17
	v_cndmask_b32_e64 v17, v18, v1, s0
; %bb.16:                               ;   in Loop: Header=BB90_10 Depth=1
	s_or_b32 exec_lo, exec_lo, s1
	v_and_b32_e32 v1, 0x7f800000, v2
                                        ; implicit-def: $vgpr18
	s_delay_alu instid0(VALU_DEP_1) | instskip(NEXT) | instid1(VALU_DEP_1)
	v_cmp_ne_u32_e64 s0, 0x7f800000, v1
	s_and_saveexec_b32 s1, s0
	s_delay_alu instid0(SALU_CYCLE_1)
	s_xor_b32 s0, exec_lo, s1
; %bb.17:                               ;   in Loop: Header=BB90_10 Depth=1
	v_bfe_u32 v1, v2, 16, 1
	s_delay_alu instid0(VALU_DEP_1)
	v_add3_u32 v18, v2, v1, 0x7fff
                                        ; implicit-def: $vgpr1_vgpr2
; %bb.18:                               ;   in Loop: Header=BB90_10 Depth=1
	s_and_not1_saveexec_b32 s1, s0
	s_cbranch_execz .LBB90_9
; %bb.19:                               ;   in Loop: Header=BB90_10 Depth=1
	v_and_b32_e32 v1, 0xffff, v2
	v_or_b32_e32 v18, 0x10000, v2
	s_delay_alu instid0(VALU_DEP_2) | instskip(NEXT) | instid1(VALU_DEP_1)
	v_cmp_eq_u32_e64 s0, 0, v1
	v_cndmask_b32_e64 v18, v18, v2, s0
	s_branch .LBB90_9
.LBB90_20:
	s_nop 0
	s_sendmsg sendmsg(MSG_DEALLOC_VGPRS)
	s_endpgm
	.section	.rodata,"a",@progbits
	.p2align	6, 0x0
	.amdhsa_kernel _ZN12tensorrt_llm7kernels32fusedQKNormRopeKernelNTokenHeadsIN3c108BFloat16EfLi64ELb1ELi8EEEvPviiifPKvS6_S6_PKlii
		.amdhsa_group_segment_fixed_size 0
		.amdhsa_private_segment_fixed_size 0
		.amdhsa_kernarg_size 320
		.amdhsa_user_sgpr_count 15
		.amdhsa_user_sgpr_dispatch_ptr 0
		.amdhsa_user_sgpr_queue_ptr 0
		.amdhsa_user_sgpr_kernarg_segment_ptr 1
		.amdhsa_user_sgpr_dispatch_id 0
		.amdhsa_user_sgpr_private_segment_size 0
		.amdhsa_wavefront_size32 1
		.amdhsa_uses_dynamic_stack 0
		.amdhsa_enable_private_segment 0
		.amdhsa_system_sgpr_workgroup_id_x 1
		.amdhsa_system_sgpr_workgroup_id_y 0
		.amdhsa_system_sgpr_workgroup_id_z 0
		.amdhsa_system_sgpr_workgroup_info 0
		.amdhsa_system_vgpr_workitem_id 0
		.amdhsa_next_free_vgpr 21
		.amdhsa_next_free_sgpr 21
		.amdhsa_reserve_vcc 1
		.amdhsa_float_round_mode_32 0
		.amdhsa_float_round_mode_16_64 0
		.amdhsa_float_denorm_mode_32 3
		.amdhsa_float_denorm_mode_16_64 3
		.amdhsa_dx10_clamp 1
		.amdhsa_ieee_mode 1
		.amdhsa_fp16_overflow 0
		.amdhsa_workgroup_processor_mode 1
		.amdhsa_memory_ordered 1
		.amdhsa_forward_progress 0
		.amdhsa_shared_vgpr_count 0
		.amdhsa_exception_fp_ieee_invalid_op 0
		.amdhsa_exception_fp_denorm_src 0
		.amdhsa_exception_fp_ieee_div_zero 0
		.amdhsa_exception_fp_ieee_overflow 0
		.amdhsa_exception_fp_ieee_underflow 0
		.amdhsa_exception_fp_ieee_inexact 0
		.amdhsa_exception_int_div_zero 0
	.end_amdhsa_kernel
	.section	.text._ZN12tensorrt_llm7kernels32fusedQKNormRopeKernelNTokenHeadsIN3c108BFloat16EfLi64ELb1ELi8EEEvPviiifPKvS6_S6_PKlii,"axG",@progbits,_ZN12tensorrt_llm7kernels32fusedQKNormRopeKernelNTokenHeadsIN3c108BFloat16EfLi64ELb1ELi8EEEvPviiifPKvS6_S6_PKlii,comdat
.Lfunc_end90:
	.size	_ZN12tensorrt_llm7kernels32fusedQKNormRopeKernelNTokenHeadsIN3c108BFloat16EfLi64ELb1ELi8EEEvPviiifPKvS6_S6_PKlii, .Lfunc_end90-_ZN12tensorrt_llm7kernels32fusedQKNormRopeKernelNTokenHeadsIN3c108BFloat16EfLi64ELb1ELi8EEEvPviiifPKvS6_S6_PKlii
                                        ; -- End function
	.section	.AMDGPU.csdata,"",@progbits
; Kernel info:
; codeLenInByte = 1772
; NumSgprs: 23
; NumVgprs: 21
; ScratchSize: 0
; MemoryBound: 0
; FloatMode: 240
; IeeeMode: 1
; LDSByteSize: 0 bytes/workgroup (compile time only)
; SGPRBlocks: 2
; VGPRBlocks: 2
; NumSGPRsForWavesPerEU: 23
; NumVGPRsForWavesPerEU: 21
; Occupancy: 16
; WaveLimiterHint : 0
; COMPUTE_PGM_RSRC2:SCRATCH_EN: 0
; COMPUTE_PGM_RSRC2:USER_SGPR: 15
; COMPUTE_PGM_RSRC2:TRAP_HANDLER: 0
; COMPUTE_PGM_RSRC2:TGID_X_EN: 1
; COMPUTE_PGM_RSRC2:TGID_Y_EN: 0
; COMPUTE_PGM_RSRC2:TGID_Z_EN: 0
; COMPUTE_PGM_RSRC2:TIDIG_COMP_CNT: 0
	.section	.text._ZN12tensorrt_llm7kernels32fusedQKNormRopeKernelNTokenHeadsIN3c108BFloat16EfLi64ELb0ELi8EEEvPviiifPKvS6_S6_PKlii,"axG",@progbits,_ZN12tensorrt_llm7kernels32fusedQKNormRopeKernelNTokenHeadsIN3c108BFloat16EfLi64ELb0ELi8EEEvPviiifPKvS6_S6_PKlii,comdat
	.protected	_ZN12tensorrt_llm7kernels32fusedQKNormRopeKernelNTokenHeadsIN3c108BFloat16EfLi64ELb0ELi8EEEvPviiifPKvS6_S6_PKlii ; -- Begin function _ZN12tensorrt_llm7kernels32fusedQKNormRopeKernelNTokenHeadsIN3c108BFloat16EfLi64ELb0ELi8EEEvPviiifPKvS6_S6_PKlii
	.globl	_ZN12tensorrt_llm7kernels32fusedQKNormRopeKernelNTokenHeadsIN3c108BFloat16EfLi64ELb0ELi8EEEvPviiifPKvS6_S6_PKlii
	.p2align	8
	.type	_ZN12tensorrt_llm7kernels32fusedQKNormRopeKernelNTokenHeadsIN3c108BFloat16EfLi64ELb0ELi8EEEvPviiifPKvS6_S6_PKlii,@function
_ZN12tensorrt_llm7kernels32fusedQKNormRopeKernelNTokenHeadsIN3c108BFloat16EfLi64ELb0ELi8EEEvPviiifPKvS6_S6_PKlii: ; @_ZN12tensorrt_llm7kernels32fusedQKNormRopeKernelNTokenHeadsIN3c108BFloat16EfLi64ELb0ELi8EEEvPviiifPKvS6_S6_PKlii
; %bb.0:
	s_clause 0x1
	s_load_b128 s[16:19], s[0:1], 0x8
	s_load_b64 s[2:3], s[0:1], 0x38
	v_lshrrev_b32_e32 v2, 5, v0
	s_waitcnt lgkmcnt(0)
	s_add_i32 s4, s17, s16
	s_delay_alu instid0(SALU_CYCLE_1) | instskip(NEXT) | instid1(SALU_CYCLE_1)
	s_add_i32 s5, s4, 7
	s_ashr_i32 s6, s5, 31
	s_delay_alu instid0(SALU_CYCLE_1) | instskip(NEXT) | instid1(SALU_CYCLE_1)
	s_lshr_b32 s6, s6, 29
	s_add_i32 s5, s5, s6
	s_delay_alu instid0(SALU_CYCLE_1) | instskip(SKIP_2) | instid1(SALU_CYCLE_1)
	s_ashr_i32 s14, s5, 3
	s_load_b32 s5, s[0:1], 0x4c
	s_abs_i32 s6, s14
	v_cvt_f32_u32_e32 v1, s6
	s_sub_i32 s7, 0, s6
	s_delay_alu instid0(VALU_DEP_1) | instskip(SKIP_4) | instid1(SALU_CYCLE_1)
	v_rcp_iflag_f32_e32 v1, v1
	s_waitcnt_depctr 0xfff
	v_mul_f32_e32 v1, 0x4f7ffffe, v1
	s_waitcnt lgkmcnt(0)
	s_bfe_u32 s5, s5, 0xb0005
	v_mad_u64_u32 v[3:4], null, s15, s5, v[2:3]
	s_delay_alu instid0(VALU_DEP_2) | instskip(NEXT) | instid1(VALU_DEP_1)
	v_cvt_u32_f32_e32 v1, v1
	v_mul_lo_u32 v5, s7, v1
	s_delay_alu instid0(VALU_DEP_1) | instskip(NEXT) | instid1(VALU_DEP_4)
	v_mul_hi_u32 v4, v1, v5
	v_sub_nc_u32_e32 v5, 0, v3
	s_delay_alu instid0(VALU_DEP_1) | instskip(NEXT) | instid1(VALU_DEP_3)
	v_max_i32_e32 v5, v3, v5
	v_add_nc_u32_e32 v1, v1, v4
	s_delay_alu instid0(VALU_DEP_1) | instskip(NEXT) | instid1(VALU_DEP_1)
	v_mul_hi_u32 v1, v5, v1
	v_mul_lo_u32 v4, v1, s6
	s_delay_alu instid0(VALU_DEP_1) | instskip(SKIP_1) | instid1(VALU_DEP_2)
	v_sub_nc_u32_e32 v4, v5, v4
	v_add_nc_u32_e32 v5, 1, v1
	v_subrev_nc_u32_e32 v6, s6, v4
	v_cmp_le_u32_e32 vcc_lo, s6, v4
	s_delay_alu instid0(VALU_DEP_2) | instskip(SKIP_1) | instid1(VALU_DEP_2)
	v_dual_cndmask_b32 v4, v4, v6 :: v_dual_cndmask_b32 v1, v1, v5
	v_xor_b32_e32 v5, s14, v3
	v_cmp_le_u32_e32 vcc_lo, s6, v4
	s_delay_alu instid0(VALU_DEP_3) | instskip(NEXT) | instid1(VALU_DEP_3)
	v_add_nc_u32_e32 v6, 1, v1
	v_ashrrev_i32_e32 v5, 31, v5
	s_delay_alu instid0(VALU_DEP_2) | instskip(NEXT) | instid1(VALU_DEP_1)
	v_cndmask_b32_e32 v1, v1, v6, vcc_lo
	v_xor_b32_e32 v1, v1, v5
	s_delay_alu instid0(VALU_DEP_1) | instskip(NEXT) | instid1(VALU_DEP_1)
	v_sub_nc_u32_e32 v1, v1, v5
	v_cmp_gt_i32_e32 vcc_lo, s2, v1
	s_and_saveexec_b32 s2, vcc_lo
	s_cbranch_execz .LBB91_20
; %bb.1:
	v_mul_lo_u32 v4, v1, s14
	s_load_b64 s[12:13], s[0:1], 0x0
	v_and_b32_e32 v0, 31, v0
	v_lshlrev_b32_e32 v9, 10, v2
	v_lshlrev_b32_e32 v8, 9, v3
	s_lshl_b32 s20, s3, 2
	s_delay_alu instid0(VALU_DEP_3) | instskip(SKIP_2) | instid1(VALU_DEP_1)
	v_lshlrev_b32_e32 v7, 2, v0
	v_sub_nc_u32_e32 v4, v3, v4
	s_mul_i32 s15, s20, s5
	v_lshlrev_b32_e32 v5, 3, v4
	s_delay_alu instid0(VALU_DEP_1) | instskip(SKIP_1) | instid1(VALU_DEP_2)
	v_add_nc_u32_e32 v4, 8, v5
	v_sub_nc_u32_e32 v6, s4, v5
	v_cmp_lt_i32_e32 vcc_lo, s4, v4
	s_delay_alu instid0(VALU_DEP_2) | instskip(NEXT) | instid1(VALU_DEP_1)
	v_cndmask_b32_e32 v6, 8, v6, vcc_lo
	v_cmp_lt_i32_e32 vcc_lo, 0, v6
	s_and_saveexec_b32 s4, vcc_lo
	s_cbranch_execz .LBB91_4
; %bb.2:
	s_add_i32 s2, s18, s17
	s_lshl_b32 s5, s14, 3
	s_add_i32 s2, s2, s16
	s_mov_b32 s6, 0
	s_sub_i32 s2, s2, s5
	s_mov_b32 s5, 0
	v_mul_lo_u32 v3, s2, v1
	s_add_i32 s2, s15, 0
	s_delay_alu instid0(SALU_CYCLE_1) | instskip(NEXT) | instid1(VALU_DEP_2)
	v_add3_u32 v10, s2, v9, v7
	v_lshl_add_u32 v3, v3, 6, v8
	s_delay_alu instid0(VALU_DEP_1)
	v_lshl_or_b32 v3, v0, 1, v3
	.p2align	6
.LBB91_3:                               ; =>This Inner Loop Header: Depth=1
	s_delay_alu instid0(VALU_DEP_1) | instskip(SKIP_1) | instid1(VALU_DEP_1)
	v_ashrrev_i32_e32 v4, 31, v3
	s_add_i32 s6, s6, 1
	v_lshlrev_b64 v[11:12], 1, v[3:4]
	v_add_nc_u32_e32 v3, 64, v3
	s_waitcnt lgkmcnt(0)
	s_delay_alu instid0(VALU_DEP_2) | instskip(NEXT) | instid1(VALU_DEP_1)
	v_add_co_u32 v11, s2, s12, v11
	v_add_co_ci_u32_e64 v12, s2, s13, v12, s2
	v_cmp_ge_i32_e64 s2, s6, v6
	global_load_b32 v4, v[11:12], off
	s_or_b32 s5, s2, s5
	s_waitcnt vmcnt(0)
	ds_store_b32 v10, v4
	v_add_nc_u32_e32 v10, 0x80, v10
	s_and_not1_b32 exec_lo, exec_lo, s5
	s_cbranch_execnz .LBB91_3
.LBB91_4:
	s_or_b32 exec_lo, exec_lo, s4
	s_load_b256 s[4:11], s[0:1], 0x18
	s_add_i32 s0, s20, 15
	v_mul_lo_u32 v10, v2, s3
	s_ashr_i32 s1, s0, 31
	s_mov_b32 s20, exec_lo
	s_lshr_b32 s1, s1, 28
	s_delay_alu instid0(SALU_CYCLE_1) | instskip(NEXT) | instid1(SALU_CYCLE_1)
	s_add_i32 s0, s0, s1
	s_ashr_i32 s2, s0, 4
	s_delay_alu instid0(SALU_CYCLE_1)
	v_cmpx_gt_i32_e64 s2, v0
	s_cbranch_execz .LBB91_7
; %bb.5:
	v_ashrrev_i32_e32 v2, 31, v1
	s_delay_alu instid0(VALU_DEP_1) | instskip(SKIP_1) | instid1(VALU_DEP_1)
	v_lshlrev_b64 v[2:3], 3, v[1:2]
	s_waitcnt lgkmcnt(0)
	v_add_co_u32 v2, s0, s10, v2
	s_delay_alu instid0(VALU_DEP_1)
	v_add_co_ci_u32_e64 v3, s0, s11, v3, s0
	s_ashr_i32 s0, s3, 31
	global_load_b64 v[2:3], v[2:3], off
	s_waitcnt vmcnt(0)
	v_mul_lo_u32 v11, v3, s3
	v_mul_lo_u32 v12, v2, s0
	v_mad_u64_u32 v[3:4], null, v2, s3, 0
	s_delay_alu instid0(VALU_DEP_1) | instskip(SKIP_1) | instid1(VALU_DEP_2)
	v_add3_u32 v4, v4, v12, v11
	v_lshlrev_b32_e32 v11, 2, v10
	v_lshlrev_b64 v[2:3], 2, v[3:4]
	v_lshlrev_b32_e32 v4, 4, v0
	s_delay_alu instid0(VALU_DEP_1) | instskip(NEXT) | instid1(VALU_DEP_1)
	v_add_co_u32 v2, s0, v2, v4
	v_add_co_ci_u32_e64 v3, s0, 0, v3, s0
	v_add3_u32 v4, v11, v4, 0
	v_mov_b32_e32 v11, v0
	s_delay_alu instid0(VALU_DEP_4) | instskip(NEXT) | instid1(VALU_DEP_1)
	v_add_co_u32 v2, s0, s8, v2
	v_add_co_ci_u32_e64 v3, s0, s9, v3, s0
	s_mov_b32 s8, 0
	.p2align	6
.LBB91_6:                               ; =>This Inner Loop Header: Depth=1
	global_load_b128 v[12:15], v[2:3], off
	v_add_nc_u32_e32 v11, 32, v11
	v_add_co_u32 v2, s0, 0x200, v2
	s_delay_alu instid0(VALU_DEP_1) | instskip(NEXT) | instid1(VALU_DEP_3)
	v_add_co_ci_u32_e64 v3, s0, 0, v3, s0
	v_cmp_le_i32_e64 s1, s2, v11
	s_delay_alu instid0(VALU_DEP_1)
	s_or_b32 s8, s1, s8
	s_waitcnt vmcnt(0)
	ds_store_b128 v4, v[12:15]
	v_add_nc_u32_e32 v4, 0x200, v4
	s_and_not1_b32 exec_lo, exec_lo, s8
	s_cbranch_execnz .LBB91_6
.LBB91_7:
	s_or_b32 exec_lo, exec_lo, s20
	s_delay_alu instid0(SALU_CYCLE_1)
	s_and_b32 exec_lo, exec_lo, vcc_lo
	s_cbranch_execz .LBB91_20
; %bb.8:
	s_waitcnt lgkmcnt(0)
	s_clause 0x1
	global_load_b32 v3, v7, s[4:5]
	global_load_b32 v4, v7, s[6:7]
	s_abs_i32 s2, s3
	v_or_b32_e32 v12, 2, v7
	v_cvt_f32_u32_e32 v2, s2
	s_sub_i32 s0, 0, s2
	v_lshl_add_u32 v16, v10, 2, 0
	v_mbcnt_lo_u32_b32 v10, -1, 0
	s_add_i32 s1, s18, s17
	v_rcp_iflag_f32_e32 v2, v2
	v_add_nc_u32_e32 v20, s15, v9
	s_lshl_b32 s4, s14, 3
	s_add_i32 s1, s1, s16
	v_xor_b32_e32 v13, 8, v10
	s_sub_i32 s1, s1, s4
	v_xor_b32_e32 v14, 4, v10
	v_mul_lo_u32 v1, s1, v1
	v_xor_b32_e32 v15, 2, v10
	v_xor_b32_e32 v17, 1, v10
	v_mul_f32_e32 v2, 0x4f7ffffe, v2
	s_mov_b32 s4, 0
	s_delay_alu instid0(VALU_DEP_4) | instskip(NEXT) | instid1(VALU_DEP_2)
	v_lshl_add_u32 v1, v1, 6, v8
	v_cvt_u32_f32_e32 v2, v2
	s_delay_alu instid0(VALU_DEP_1) | instskip(SKIP_1) | instid1(SALU_CYCLE_1)
	v_mul_lo_u32 v11, s0, v2
	s_lshr_b32 s0, s3, 31
	s_add_i32 s0, s3, s0
	s_mov_b32 s3, 0
	s_ashr_i32 s0, s0, 1
	s_delay_alu instid0(SALU_CYCLE_1) | instskip(NEXT) | instid1(VALU_DEP_2)
	v_lshl_add_u32 v18, s0, 2, v16
	v_mul_hi_u32 v11, v2, v11
	v_cmp_gt_i32_e32 vcc_lo, s0, v0
	s_lshr_b32 s0, s0, 1
	s_delay_alu instid0(SALU_CYCLE_1) | instskip(SKIP_4) | instid1(VALU_DEP_2)
	v_xor_b32_e32 v19, s0, v10
	v_cmp_gt_u32_e64 s0, s0, v0
	v_lshl_or_b32 v0, v0, 1, v1
	v_add_nc_u32_e32 v2, v2, v11
	v_xor_b32_e32 v11, 16, v10
	v_mul_hi_u32 v9, v7, v2
	v_mul_hi_u32 v2, v12, v2
	s_delay_alu instid0(VALU_DEP_3) | instskip(NEXT) | instid1(VALU_DEP_1)
	v_cmp_gt_i32_e64 s1, 32, v11
	v_cndmask_b32_e64 v11, v10, v11, s1
	s_delay_alu instid0(VALU_DEP_4) | instskip(NEXT) | instid1(VALU_DEP_4)
	v_mul_lo_u32 v9, v9, s2
	v_mul_lo_u32 v2, v2, s2
	v_cmp_gt_i32_e64 s1, 32, v13
	s_delay_alu instid0(VALU_DEP_4) | instskip(NEXT) | instid1(VALU_DEP_4)
	v_lshlrev_b32_e32 v8, 2, v11
	v_sub_nc_u32_e32 v9, v7, v9
	s_delay_alu instid0(VALU_DEP_4) | instskip(NEXT) | instid1(VALU_DEP_4)
	v_sub_nc_u32_e32 v2, v12, v2
	v_cndmask_b32_e64 v12, v10, v13, s1
	v_cmp_gt_i32_e64 s1, 32, v14
	v_add3_u32 v7, v20, v7, 0
	v_subrev_nc_u32_e32 v13, s2, v9
	v_subrev_nc_u32_e32 v21, s2, v2
	s_delay_alu instid0(VALU_DEP_4) | instskip(SKIP_1) | instid1(VALU_DEP_1)
	v_cndmask_b32_e64 v14, v10, v14, s1
	v_cmp_le_u32_e64 s1, s2, v9
	v_cndmask_b32_e64 v9, v9, v13, s1
	v_cmp_le_u32_e64 s1, s2, v2
	s_delay_alu instid0(VALU_DEP_1) | instskip(SKIP_1) | instid1(VALU_DEP_2)
	v_cndmask_b32_e64 v2, v2, v21, s1
	v_cmp_gt_i32_e64 s1, 32, v15
	v_subrev_nc_u32_e32 v21, s2, v2
	s_delay_alu instid0(VALU_DEP_2) | instskip(SKIP_1) | instid1(VALU_DEP_2)
	v_cndmask_b32_e64 v13, v10, v15, s1
	v_cmp_gt_i32_e64 s1, 32, v17
	v_lshlrev_b32_e32 v11, 2, v13
	s_delay_alu instid0(VALU_DEP_2) | instskip(SKIP_2) | instid1(VALU_DEP_2)
	v_cndmask_b32_e64 v15, v10, v17, s1
	v_cmp_gt_i32_e64 s1, 32, v19
	v_subrev_nc_u32_e32 v17, s2, v9
	v_cndmask_b32_e64 v19, v10, v19, s1
	v_cmp_le_u32_e64 s1, s2, v9
	v_lshlrev_b32_e32 v10, 2, v14
	s_delay_alu instid0(VALU_DEP_3) | instskip(NEXT) | instid1(VALU_DEP_3)
	v_lshlrev_b32_e32 v13, 2, v19
	v_cndmask_b32_e64 v9, v9, v17, s1
	v_cmp_le_u32_e64 s1, s2, v2
	s_delay_alu instid0(VALU_DEP_2) | instskip(NEXT) | instid1(VALU_DEP_2)
	v_lshlrev_b32_e32 v17, 1, v9
	v_cndmask_b32_e64 v2, v2, v21, s1
	v_lshlrev_b32_e32 v9, 2, v12
	v_lshlrev_b32_e32 v12, 2, v15
	s_delay_alu instid0(VALU_DEP_4) | instskip(NEXT) | instid1(VALU_DEP_4)
	v_and_b32_e32 v17, -4, v17
	v_lshlrev_b32_e32 v2, 1, v2
	s_delay_alu instid0(VALU_DEP_2) | instskip(NEXT) | instid1(VALU_DEP_2)
	v_add_nc_u32_e32 v14, v16, v17
	v_and_b32_e32 v2, -4, v2
	v_add_nc_u32_e32 v15, v18, v17
	s_delay_alu instid0(VALU_DEP_2)
	v_add_nc_u32_e32 v16, v16, v2
	v_add_nc_u32_e32 v17, v18, v2
	s_waitcnt vmcnt(1)
	v_lshrrev_b32_e32 v18, 16, v3
	s_waitcnt vmcnt(0)
	v_lshrrev_b32_e32 v19, 16, v4
	s_branch .LBB91_10
.LBB91_9:                               ;   in Loop: Header=BB91_10 Depth=1
	s_or_b32 exec_lo, exec_lo, s2
	v_ashrrev_i32_e32 v1, 31, v0
	v_lshrrev_b32_e32 v20, 16, v20
	s_add_i32 s4, s4, 1
	v_add_nc_u32_e32 v7, 0x80, v7
	v_cmp_ge_i32_e64 s1, s4, v6
	v_lshlrev_b64 v[1:2], 1, v[0:1]
	v_and_or_b32 v20, 0xffff0000, v21, v20
	v_add_nc_u32_e32 v0, 64, v0
	s_delay_alu instid0(VALU_DEP_4) | instskip(NEXT) | instid1(VALU_DEP_3)
	s_or_b32 s3, s1, s3
	v_add_co_u32 v1, s2, s12, v1
	s_delay_alu instid0(VALU_DEP_1)
	v_add_co_ci_u32_e64 v2, s2, s13, v2, s2
	global_store_b32 v[1:2], v20, off
	s_and_not1_b32 exec_lo, exec_lo, s3
	s_cbranch_execz .LBB91_20
.LBB91_10:                              ; =>This Inner Loop Header: Depth=1
	ds_load_b32 v1, v7
	s_waitcnt lgkmcnt(0)
	v_and_b32_e32 v20, 0xffff0000, v1
	v_lshlrev_b32_e32 v2, 16, v1
	s_delay_alu instid0(VALU_DEP_1) | instskip(NEXT) | instid1(VALU_DEP_1)
	v_mul_f32_e32 v1, v2, v2
	v_fmac_f32_e32 v1, v20, v20
	ds_bpermute_b32 v21, v8, v1
	s_waitcnt lgkmcnt(0)
	v_add_f32_e32 v1, v1, v21
	ds_bpermute_b32 v21, v9, v1
	s_waitcnt lgkmcnt(0)
	v_add_f32_e32 v1, v1, v21
	;; [unrolled: 3-line block ×5, first 2 shown]
	s_delay_alu instid0(VALU_DEP_1) | instskip(NEXT) | instid1(VALU_DEP_1)
	v_fma_f32 v1, 0x3c800000, v1, s19
	v_mul_f32_e32 v21, 0x4b800000, v1
	v_cmp_gt_f32_e64 s1, 0x800000, v1
	s_delay_alu instid0(VALU_DEP_1) | instskip(SKIP_1) | instid1(VALU_DEP_2)
	v_cndmask_b32_e64 v1, v1, v21, s1
	v_add_nc_u32_e32 v21, s4, v5
	v_rsq_f32_e32 v1, v1
	s_delay_alu instid0(VALU_DEP_1) | instskip(NEXT) | instid1(VALU_DEP_1)
	v_cmp_gt_i32_e64 s2, s16, v21
	v_cndmask_b32_e64 v21, v4, v3, s2
	v_cndmask_b32_e64 v23, v19, v18, s2
	s_waitcnt_depctr 0xfff
	v_mul_f32_e32 v22, 0x45800000, v1
	v_lshlrev_b32_e32 v21, 16, v21
	s_delay_alu instid0(VALU_DEP_2) | instskip(NEXT) | instid1(VALU_DEP_1)
	v_cndmask_b32_e64 v1, v1, v22, s1
	v_dual_mul_f32 v21, v1, v21 :: v_dual_lshlrev_b32 v22, 16, v23
	s_delay_alu instid0(VALU_DEP_1) | instskip(NEXT) | instid1(VALU_DEP_1)
	v_mul_f32_e32 v22, v1, v22
	v_dual_mul_f32 v1, v21, v2 :: v_dual_mul_f32 v2, v22, v20
	s_and_saveexec_b32 s1, vcc_lo
	s_cbranch_execz .LBB91_12
; %bb.11:                               ;   in Loop: Header=BB91_10 Depth=1
	ds_bpermute_b32 v20, v13, v1
	ds_bpermute_b32 v21, v13, v2
	; wave barrier
	ds_load_b32 v22, v15
	ds_load_b32 v23, v17
	;; [unrolled: 1-line block ×4, first 2 shown]
	; wave barrier
	s_waitcnt lgkmcnt(5)
	v_cndmask_b32_e64 v20, v20, -v20, s0
	s_waitcnt lgkmcnt(4)
	v_cndmask_b32_e64 v21, v21, -v21, s0
	s_waitcnt lgkmcnt(2)
	s_delay_alu instid0(VALU_DEP_1) | instskip(SKIP_1) | instid1(VALU_DEP_1)
	v_dual_mul_f32 v20, v20, v22 :: v_dual_mul_f32 v21, v21, v23
	s_waitcnt lgkmcnt(0)
	v_dual_fmac_f32 v20, v1, v24 :: v_dual_fmac_f32 v21, v2, v25
	s_delay_alu instid0(VALU_DEP_1)
	v_dual_mov_b32 v1, v20 :: v_dual_mov_b32 v2, v21
.LBB91_12:                              ;   in Loop: Header=BB91_10 Depth=1
	s_or_b32 exec_lo, exec_lo, s1
	s_delay_alu instid0(VALU_DEP_1) | instskip(NEXT) | instid1(VALU_DEP_1)
	v_and_b32_e32 v20, 0x7f800000, v1
	v_cmp_ne_u32_e64 s1, 0x7f800000, v20
                                        ; implicit-def: $vgpr20
	s_delay_alu instid0(VALU_DEP_1) | instskip(NEXT) | instid1(SALU_CYCLE_1)
	s_and_saveexec_b32 s2, s1
	s_xor_b32 s1, exec_lo, s2
; %bb.13:                               ;   in Loop: Header=BB91_10 Depth=1
	v_bfe_u32 v20, v1, 16, 1
	s_delay_alu instid0(VALU_DEP_1)
	v_add3_u32 v20, v1, v20, 0x7fff
; %bb.14:                               ;   in Loop: Header=BB91_10 Depth=1
	s_and_not1_saveexec_b32 s2, s1
; %bb.15:                               ;   in Loop: Header=BB91_10 Depth=1
	v_and_b32_e32 v20, 0xffff, v1
	v_or_b32_e32 v21, 0x10000, v1
	s_delay_alu instid0(VALU_DEP_2) | instskip(NEXT) | instid1(VALU_DEP_1)
	v_cmp_eq_u32_e64 s1, 0, v20
	v_cndmask_b32_e64 v20, v21, v1, s1
; %bb.16:                               ;   in Loop: Header=BB91_10 Depth=1
	s_or_b32 exec_lo, exec_lo, s2
	v_and_b32_e32 v1, 0x7f800000, v2
                                        ; implicit-def: $vgpr21
	s_delay_alu instid0(VALU_DEP_1) | instskip(NEXT) | instid1(VALU_DEP_1)
	v_cmp_ne_u32_e64 s1, 0x7f800000, v1
	s_and_saveexec_b32 s2, s1
	s_delay_alu instid0(SALU_CYCLE_1)
	s_xor_b32 s1, exec_lo, s2
; %bb.17:                               ;   in Loop: Header=BB91_10 Depth=1
	v_bfe_u32 v1, v2, 16, 1
	s_delay_alu instid0(VALU_DEP_1)
	v_add3_u32 v21, v2, v1, 0x7fff
                                        ; implicit-def: $vgpr1_vgpr2
; %bb.18:                               ;   in Loop: Header=BB91_10 Depth=1
	s_and_not1_saveexec_b32 s2, s1
	s_cbranch_execz .LBB91_9
; %bb.19:                               ;   in Loop: Header=BB91_10 Depth=1
	v_and_b32_e32 v1, 0xffff, v2
	v_or_b32_e32 v21, 0x10000, v2
	s_delay_alu instid0(VALU_DEP_2) | instskip(NEXT) | instid1(VALU_DEP_1)
	v_cmp_eq_u32_e64 s1, 0, v1
	v_cndmask_b32_e64 v21, v21, v2, s1
	s_branch .LBB91_9
.LBB91_20:
	s_nop 0
	s_sendmsg sendmsg(MSG_DEALLOC_VGPRS)
	s_endpgm
	.section	.rodata,"a",@progbits
	.p2align	6, 0x0
	.amdhsa_kernel _ZN12tensorrt_llm7kernels32fusedQKNormRopeKernelNTokenHeadsIN3c108BFloat16EfLi64ELb0ELi8EEEvPviiifPKvS6_S6_PKlii
		.amdhsa_group_segment_fixed_size 0
		.amdhsa_private_segment_fixed_size 0
		.amdhsa_kernarg_size 320
		.amdhsa_user_sgpr_count 15
		.amdhsa_user_sgpr_dispatch_ptr 0
		.amdhsa_user_sgpr_queue_ptr 0
		.amdhsa_user_sgpr_kernarg_segment_ptr 1
		.amdhsa_user_sgpr_dispatch_id 0
		.amdhsa_user_sgpr_private_segment_size 0
		.amdhsa_wavefront_size32 1
		.amdhsa_uses_dynamic_stack 0
		.amdhsa_enable_private_segment 0
		.amdhsa_system_sgpr_workgroup_id_x 1
		.amdhsa_system_sgpr_workgroup_id_y 0
		.amdhsa_system_sgpr_workgroup_id_z 0
		.amdhsa_system_sgpr_workgroup_info 0
		.amdhsa_system_vgpr_workitem_id 0
		.amdhsa_next_free_vgpr 26
		.amdhsa_next_free_sgpr 21
		.amdhsa_reserve_vcc 1
		.amdhsa_float_round_mode_32 0
		.amdhsa_float_round_mode_16_64 0
		.amdhsa_float_denorm_mode_32 3
		.amdhsa_float_denorm_mode_16_64 3
		.amdhsa_dx10_clamp 1
		.amdhsa_ieee_mode 1
		.amdhsa_fp16_overflow 0
		.amdhsa_workgroup_processor_mode 1
		.amdhsa_memory_ordered 1
		.amdhsa_forward_progress 0
		.amdhsa_shared_vgpr_count 0
		.amdhsa_exception_fp_ieee_invalid_op 0
		.amdhsa_exception_fp_denorm_src 0
		.amdhsa_exception_fp_ieee_div_zero 0
		.amdhsa_exception_fp_ieee_overflow 0
		.amdhsa_exception_fp_ieee_underflow 0
		.amdhsa_exception_fp_ieee_inexact 0
		.amdhsa_exception_int_div_zero 0
	.end_amdhsa_kernel
	.section	.text._ZN12tensorrt_llm7kernels32fusedQKNormRopeKernelNTokenHeadsIN3c108BFloat16EfLi64ELb0ELi8EEEvPviiifPKvS6_S6_PKlii,"axG",@progbits,_ZN12tensorrt_llm7kernels32fusedQKNormRopeKernelNTokenHeadsIN3c108BFloat16EfLi64ELb0ELi8EEEvPviiifPKvS6_S6_PKlii,comdat
.Lfunc_end91:
	.size	_ZN12tensorrt_llm7kernels32fusedQKNormRopeKernelNTokenHeadsIN3c108BFloat16EfLi64ELb0ELi8EEEvPviiifPKvS6_S6_PKlii, .Lfunc_end91-_ZN12tensorrt_llm7kernels32fusedQKNormRopeKernelNTokenHeadsIN3c108BFloat16EfLi64ELb0ELi8EEEvPviiifPKvS6_S6_PKlii
                                        ; -- End function
	.section	.AMDGPU.csdata,"",@progbits
; Kernel info:
; codeLenInByte = 2120
; NumSgprs: 23
; NumVgprs: 26
; ScratchSize: 0
; MemoryBound: 0
; FloatMode: 240
; IeeeMode: 1
; LDSByteSize: 0 bytes/workgroup (compile time only)
; SGPRBlocks: 2
; VGPRBlocks: 3
; NumSGPRsForWavesPerEU: 23
; NumVGPRsForWavesPerEU: 26
; Occupancy: 16
; WaveLimiterHint : 0
; COMPUTE_PGM_RSRC2:SCRATCH_EN: 0
; COMPUTE_PGM_RSRC2:USER_SGPR: 15
; COMPUTE_PGM_RSRC2:TRAP_HANDLER: 0
; COMPUTE_PGM_RSRC2:TGID_X_EN: 1
; COMPUTE_PGM_RSRC2:TGID_Y_EN: 0
; COMPUTE_PGM_RSRC2:TGID_Z_EN: 0
; COMPUTE_PGM_RSRC2:TIDIG_COMP_CNT: 0
	.section	.text._ZN12tensorrt_llm7kernels32fusedQKNormRopeKernelNTokenHeadsIN3c108BFloat16EfLi128ELb1ELi8EEEvPviiifPKvS6_S6_PKlii,"axG",@progbits,_ZN12tensorrt_llm7kernels32fusedQKNormRopeKernelNTokenHeadsIN3c108BFloat16EfLi128ELb1ELi8EEEvPviiifPKvS6_S6_PKlii,comdat
	.protected	_ZN12tensorrt_llm7kernels32fusedQKNormRopeKernelNTokenHeadsIN3c108BFloat16EfLi128ELb1ELi8EEEvPviiifPKvS6_S6_PKlii ; -- Begin function _ZN12tensorrt_llm7kernels32fusedQKNormRopeKernelNTokenHeadsIN3c108BFloat16EfLi128ELb1ELi8EEEvPviiifPKvS6_S6_PKlii
	.globl	_ZN12tensorrt_llm7kernels32fusedQKNormRopeKernelNTokenHeadsIN3c108BFloat16EfLi128ELb1ELi8EEEvPviiifPKvS6_S6_PKlii
	.p2align	8
	.type	_ZN12tensorrt_llm7kernels32fusedQKNormRopeKernelNTokenHeadsIN3c108BFloat16EfLi128ELb1ELi8EEEvPviiifPKvS6_S6_PKlii,@function
_ZN12tensorrt_llm7kernels32fusedQKNormRopeKernelNTokenHeadsIN3c108BFloat16EfLi128ELb1ELi8EEEvPviiifPKvS6_S6_PKlii: ; @_ZN12tensorrt_llm7kernels32fusedQKNormRopeKernelNTokenHeadsIN3c108BFloat16EfLi128ELb1ELi8EEEvPviiifPKvS6_S6_PKlii
; %bb.0:
	s_clause 0x1
	s_load_b128 s[16:19], s[0:1], 0x8
	s_load_b64 s[2:3], s[0:1], 0x38
	v_lshrrev_b32_e32 v2, 5, v0
	s_waitcnt lgkmcnt(0)
	s_add_i32 s4, s17, s16
	s_delay_alu instid0(SALU_CYCLE_1) | instskip(NEXT) | instid1(SALU_CYCLE_1)
	s_add_i32 s5, s4, 7
	s_ashr_i32 s6, s5, 31
	s_delay_alu instid0(SALU_CYCLE_1) | instskip(NEXT) | instid1(SALU_CYCLE_1)
	s_lshr_b32 s6, s6, 29
	s_add_i32 s5, s5, s6
	s_delay_alu instid0(SALU_CYCLE_1) | instskip(SKIP_2) | instid1(SALU_CYCLE_1)
	s_ashr_i32 s14, s5, 3
	s_load_b32 s5, s[0:1], 0x4c
	s_abs_i32 s6, s14
	v_cvt_f32_u32_e32 v1, s6
	s_sub_i32 s7, 0, s6
	s_delay_alu instid0(VALU_DEP_1) | instskip(SKIP_4) | instid1(SALU_CYCLE_1)
	v_rcp_iflag_f32_e32 v1, v1
	s_waitcnt_depctr 0xfff
	v_mul_f32_e32 v1, 0x4f7ffffe, v1
	s_waitcnt lgkmcnt(0)
	s_bfe_u32 s5, s5, 0xb0005
	v_mad_u64_u32 v[3:4], null, s15, s5, v[2:3]
	s_delay_alu instid0(VALU_DEP_2) | instskip(NEXT) | instid1(VALU_DEP_1)
	v_cvt_u32_f32_e32 v1, v1
	v_mul_lo_u32 v5, s7, v1
	s_delay_alu instid0(VALU_DEP_1) | instskip(NEXT) | instid1(VALU_DEP_4)
	v_mul_hi_u32 v4, v1, v5
	v_sub_nc_u32_e32 v5, 0, v3
	s_delay_alu instid0(VALU_DEP_1) | instskip(NEXT) | instid1(VALU_DEP_3)
	v_max_i32_e32 v5, v3, v5
	v_add_nc_u32_e32 v1, v1, v4
	s_delay_alu instid0(VALU_DEP_1) | instskip(NEXT) | instid1(VALU_DEP_1)
	v_mul_hi_u32 v1, v5, v1
	v_mul_lo_u32 v4, v1, s6
	s_delay_alu instid0(VALU_DEP_1) | instskip(SKIP_1) | instid1(VALU_DEP_2)
	v_sub_nc_u32_e32 v4, v5, v4
	v_add_nc_u32_e32 v5, 1, v1
	v_subrev_nc_u32_e32 v6, s6, v4
	v_cmp_le_u32_e32 vcc_lo, s6, v4
	s_delay_alu instid0(VALU_DEP_2) | instskip(SKIP_1) | instid1(VALU_DEP_2)
	v_dual_cndmask_b32 v4, v4, v6 :: v_dual_cndmask_b32 v1, v1, v5
	v_xor_b32_e32 v5, s14, v3
	v_cmp_le_u32_e32 vcc_lo, s6, v4
	s_delay_alu instid0(VALU_DEP_3) | instskip(NEXT) | instid1(VALU_DEP_3)
	v_add_nc_u32_e32 v6, 1, v1
	v_ashrrev_i32_e32 v5, 31, v5
	s_delay_alu instid0(VALU_DEP_2) | instskip(NEXT) | instid1(VALU_DEP_1)
	v_cndmask_b32_e32 v1, v1, v6, vcc_lo
	v_xor_b32_e32 v1, v1, v5
	s_delay_alu instid0(VALU_DEP_1) | instskip(NEXT) | instid1(VALU_DEP_1)
	v_sub_nc_u32_e32 v1, v1, v5
	v_cmp_gt_i32_e32 vcc_lo, s2, v1
	s_and_saveexec_b32 s2, vcc_lo
	s_cbranch_execz .LBB92_28
; %bb.1:
	v_mul_lo_u32 v4, v1, s14
	s_load_b64 s[12:13], s[0:1], 0x0
	v_and_b32_e32 v0, 31, v0
	v_lshlrev_b32_e32 v13, 11, v2
	v_lshlrev_b32_e32 v8, 10, v3
	s_lshl_b32 s20, s3, 2
	s_delay_alu instid0(VALU_DEP_3) | instskip(SKIP_2) | instid1(VALU_DEP_1)
	v_lshlrev_b32_e32 v9, 3, v0
	v_sub_nc_u32_e32 v4, v3, v4
	s_mul_i32 s15, s20, s5
	v_lshlrev_b32_e32 v10, 3, v4
	s_delay_alu instid0(VALU_DEP_1) | instskip(SKIP_1) | instid1(VALU_DEP_2)
	v_add_nc_u32_e32 v4, 8, v10
	v_sub_nc_u32_e32 v5, s4, v10
	v_cmp_lt_i32_e32 vcc_lo, s4, v4
	s_delay_alu instid0(VALU_DEP_2) | instskip(NEXT) | instid1(VALU_DEP_1)
	v_cndmask_b32_e32 v11, 8, v5, vcc_lo
	v_cmp_lt_i32_e32 vcc_lo, 0, v11
	s_and_saveexec_b32 s4, vcc_lo
	s_cbranch_execz .LBB92_4
; %bb.2:
	s_add_i32 s2, s18, s17
	s_lshl_b32 s5, s14, 3
	s_add_i32 s2, s2, s16
	s_mov_b32 s6, 0
	s_sub_i32 s2, s2, s5
	s_mov_b32 s5, 0
	v_mul_lo_u32 v3, s2, v1
	s_add_i32 s2, s15, 0
	s_delay_alu instid0(SALU_CYCLE_1) | instskip(NEXT) | instid1(VALU_DEP_2)
	v_add3_u32 v5, s2, v13, v9
	v_lshl_add_u32 v3, v3, 7, v8
	s_delay_alu instid0(VALU_DEP_1)
	v_lshl_or_b32 v3, v0, 2, v3
	.p2align	6
.LBB92_3:                               ; =>This Inner Loop Header: Depth=1
	s_delay_alu instid0(VALU_DEP_1) | instskip(SKIP_1) | instid1(VALU_DEP_1)
	v_ashrrev_i32_e32 v4, 31, v3
	s_add_i32 s6, s6, 1
	v_lshlrev_b64 v[6:7], 1, v[3:4]
	v_add_nc_u32_e32 v3, 0x80, v3
	s_waitcnt lgkmcnt(0)
	s_delay_alu instid0(VALU_DEP_2) | instskip(NEXT) | instid1(VALU_DEP_1)
	v_add_co_u32 v6, s2, s12, v6
	v_add_co_ci_u32_e64 v7, s2, s13, v7, s2
	v_cmp_ge_i32_e64 s2, s6, v11
	global_load_b64 v[6:7], v[6:7], off
	s_or_b32 s5, s2, s5
	s_waitcnt vmcnt(0)
	ds_store_b64 v5, v[6:7]
	v_add_nc_u32_e32 v5, 0x100, v5
	s_and_not1_b32 exec_lo, exec_lo, s5
	s_cbranch_execnz .LBB92_3
.LBB92_4:
	s_or_b32 exec_lo, exec_lo, s4
	s_load_b256 s[4:11], s[0:1], 0x18
	v_mul_lo_u32 v2, v2, s3
	s_add_i32 s0, s20, 15
	s_mov_b32 s20, exec_lo
	s_ashr_i32 s1, s0, 31
	s_delay_alu instid0(SALU_CYCLE_1) | instskip(NEXT) | instid1(SALU_CYCLE_1)
	s_lshr_b32 s1, s1, 28
	s_add_i32 s0, s0, s1
	s_delay_alu instid0(VALU_DEP_1) | instskip(SKIP_1) | instid1(SALU_CYCLE_1)
	v_lshlrev_b32_e32 v12, 2, v2
	s_ashr_i32 s2, s0, 4
	v_cmpx_gt_i32_e64 s2, v0
	s_cbranch_execz .LBB92_7
; %bb.5:
	v_ashrrev_i32_e32 v2, 31, v1
	s_delay_alu instid0(VALU_DEP_1) | instskip(SKIP_1) | instid1(VALU_DEP_1)
	v_lshlrev_b64 v[2:3], 3, v[1:2]
	s_waitcnt lgkmcnt(0)
	v_add_co_u32 v2, s0, s10, v2
	s_delay_alu instid0(VALU_DEP_1)
	v_add_co_ci_u32_e64 v3, s0, s11, v3, s0
	s_ashr_i32 s0, s3, 31
	global_load_b64 v[2:3], v[2:3], off
	s_waitcnt vmcnt(0)
	v_mul_lo_u32 v5, v3, s3
	v_mul_lo_u32 v6, v2, s0
	v_mad_u64_u32 v[3:4], null, v2, s3, 0
	s_delay_alu instid0(VALU_DEP_1) | instskip(SKIP_1) | instid1(VALU_DEP_2)
	v_add3_u32 v4, v4, v6, v5
	v_mov_b32_e32 v5, v0
	v_lshlrev_b64 v[2:3], 2, v[3:4]
	v_lshlrev_b32_e32 v4, 4, v0
	s_delay_alu instid0(VALU_DEP_1) | instskip(NEXT) | instid1(VALU_DEP_1)
	v_add_co_u32 v2, s0, v2, v4
	v_add_co_ci_u32_e64 v3, s0, 0, v3, s0
	v_add3_u32 v4, v12, v4, 0
	s_delay_alu instid0(VALU_DEP_3) | instskip(NEXT) | instid1(VALU_DEP_1)
	v_add_co_u32 v2, s0, s8, v2
	v_add_co_ci_u32_e64 v3, s0, s9, v3, s0
	s_mov_b32 s8, 0
	.p2align	6
.LBB92_6:                               ; =>This Inner Loop Header: Depth=1
	global_load_b128 v[14:17], v[2:3], off
	v_add_nc_u32_e32 v5, 32, v5
	v_add_co_u32 v2, s0, 0x200, v2
	s_delay_alu instid0(VALU_DEP_1) | instskip(NEXT) | instid1(VALU_DEP_3)
	v_add_co_ci_u32_e64 v3, s0, 0, v3, s0
	v_cmp_le_i32_e64 s1, s2, v5
	s_delay_alu instid0(VALU_DEP_1)
	s_or_b32 s8, s1, s8
	s_waitcnt vmcnt(0)
	ds_store_b128 v4, v[14:17]
	v_add_nc_u32_e32 v4, 0x200, v4
	s_and_not1_b32 exec_lo, exec_lo, s8
	s_cbranch_execnz .LBB92_6
.LBB92_7:
	s_or_b32 exec_lo, exec_lo, s20
	s_delay_alu instid0(SALU_CYCLE_1)
	s_and_b32 exec_lo, exec_lo, vcc_lo
	s_cbranch_execz .LBB92_28
; %bb.8:
	s_waitcnt lgkmcnt(0)
	s_clause 0x1
	global_load_b64 v[4:5], v9, s[4:5]
	global_load_b64 v[6:7], v9, s[6:7]
	v_mbcnt_lo_u32_b32 v2, -1, 0
	s_lshr_b32 s0, s3, 31
	v_add3_u32 v12, 0, v12, v9
	s_add_i32 s0, s3, s0
	v_add_nc_u32_e32 v3, s15, v13
	v_xor_b32_e32 v14, 16, v2
	s_lshl_b32 s0, s0, 1
	v_xor_b32_e32 v15, 8, v2
	s_and_b32 s0, s0, -4
	v_xor_b32_e32 v16, 4, v2
	v_add_nc_u32_e32 v13, s0, v12
	v_cmp_gt_i32_e64 s0, 32, v14
	v_xor_b32_e32 v17, 2, v2
	s_add_i32 s2, s18, s17
	s_lshl_b32 s4, s14, 3
	s_add_i32 s2, s2, s16
	v_cndmask_b32_e64 v14, v2, v14, s0
	v_cmp_gt_i32_e64 s0, 32, v15
	s_sub_i32 s2, s2, s4
	v_xor_b32_e32 v18, 1, v2
	v_mul_lo_u32 v1, s2, v1
	s_ashr_i32 s1, s3, 31
	v_cndmask_b32_e64 v15, v2, v15, s0
	v_cmp_gt_i32_e64 s0, 32, v16
	s_lshr_b32 s1, s1, 30
	v_lshlrev_b32_e32 v14, 2, v14
	s_add_i32 s1, s3, s1
	v_lshlrev_b32_e32 v15, 2, v15
	v_cndmask_b32_e64 v16, v2, v16, s0
	v_cmp_gt_i32_e64 s0, 32, v17
	v_lshl_add_u32 v1, v1, 7, v8
	s_ashr_i32 s1, s1, 2
	v_add3_u32 v23, v3, v9, 0
	v_cmp_gt_i32_e32 vcc_lo, s1, v0
	v_cndmask_b32_e64 v17, v2, v17, s0
	v_cmp_gt_i32_e64 s0, 32, v18
	v_lshlrev_b32_e32 v16, 2, v16
	v_lshl_or_b32 v8, v0, 2, v1
	s_mov_b32 s2, 0
	v_lshlrev_b32_e32 v17, 2, v17
	v_cndmask_b32_e64 v2, v2, v18, s0
	s_mov_b32 s3, 0
	s_delay_alu instid0(VALU_DEP_1)
	v_lshlrev_b32_e32 v18, 2, v2
	s_waitcnt vmcnt(1)
	v_lshrrev_b32_e32 v19, 16, v4
	v_lshrrev_b32_e32 v20, 16, v5
	s_waitcnt vmcnt(0)
	v_lshrrev_b32_e32 v21, 16, v6
	v_lshrrev_b32_e32 v22, 16, v7
	s_branch .LBB92_10
.LBB92_9:                               ;   in Loop: Header=BB92_10 Depth=1
	s_or_b32 exec_lo, exec_lo, s1
	v_ashrrev_i32_e32 v9, 31, v8
	v_lshrrev_b32_e32 v2, 16, v26
	v_and_b32_e32 v3, 0xffff0000, v27
	s_add_i32 s3, s3, 1
	v_add_nc_u32_e32 v23, 0x100, v23
	v_lshlrev_b64 v[0:1], 1, v[8:9]
	v_lshrrev_b32_e32 v9, 16, v24
	v_cmp_ge_i32_e64 s0, s3, v11
	v_or_b32_e32 v2, v3, v2
	v_add_nc_u32_e32 v8, 0x80, v8
	v_add_co_u32 v26, s1, s12, v0
	s_delay_alu instid0(VALU_DEP_1)
	v_add_co_ci_u32_e64 v27, s1, s13, v1, s1
	v_and_or_b32 v1, 0xffff0000, v25, v9
	s_or_b32 s2, s0, s2
	global_store_b64 v[26:27], v[1:2], off
	s_and_not1_b32 exec_lo, exec_lo, s2
	s_cbranch_execz .LBB92_28
.LBB92_10:                              ; =>This Inner Loop Header: Depth=1
	ds_load_b64 v[0:1], v23
	s_waitcnt lgkmcnt(0)
	v_lshlrev_b32_e32 v3, 16, v0
	v_and_b32_e32 v2, 0xffff0000, v0
	v_alignbit_b32 v0, v1, v0, 16
	v_and_b32_e32 v25, 0xffff0000, v1
	s_delay_alu instid0(VALU_DEP_2) | instskip(NEXT) | instid1(VALU_DEP_1)
	v_dual_mul_f32 v9, v2, v2 :: v_dual_and_b32 v24, 0xffff0000, v0
	v_fmac_f32_e32 v9, v3, v3
	s_delay_alu instid0(VALU_DEP_1) | instskip(NEXT) | instid1(VALU_DEP_1)
	v_fmac_f32_e32 v9, v24, v24
	v_fmac_f32_e32 v9, v25, v25
	ds_bpermute_b32 v0, v14, v9
	s_waitcnt lgkmcnt(0)
	v_add_f32_e32 v0, v9, v0
	ds_bpermute_b32 v1, v15, v0
	s_waitcnt lgkmcnt(0)
	v_add_f32_e32 v0, v0, v1
	ds_bpermute_b32 v1, v16, v0
	s_waitcnt lgkmcnt(0)
	v_add_f32_e32 v0, v0, v1
	ds_bpermute_b32 v1, v17, v0
	s_waitcnt lgkmcnt(0)
	v_add_f32_e32 v0, v0, v1
	ds_bpermute_b32 v1, v18, v0
	s_waitcnt lgkmcnt(0)
	v_add_f32_e32 v0, v0, v1
	s_delay_alu instid0(VALU_DEP_1) | instskip(NEXT) | instid1(VALU_DEP_1)
	v_fma_f32 v0, 0x3c000000, v0, s19
	v_mul_f32_e32 v1, 0x4b800000, v0
	v_cmp_gt_f32_e64 s0, 0x800000, v0
	s_delay_alu instid0(VALU_DEP_1) | instskip(SKIP_1) | instid1(VALU_DEP_2)
	v_cndmask_b32_e64 v0, v0, v1, s0
	v_add_nc_u32_e32 v1, s3, v10
	v_rsq_f32_e32 v0, v0
	s_delay_alu instid0(VALU_DEP_1) | instskip(NEXT) | instid1(VALU_DEP_1)
	v_cmp_gt_i32_e64 s1, s16, v1
	v_cndmask_b32_e64 v26, v21, v19, s1
	v_cndmask_b32_e64 v27, v7, v5, s1
	;; [unrolled: 1-line block ×4, first 2 shown]
	s_waitcnt_depctr 0xfff
	v_mul_f32_e32 v9, 0x45800000, v0
	s_delay_alu instid0(VALU_DEP_1) | instskip(SKIP_3) | instid1(VALU_DEP_3)
	v_cndmask_b32_e64 v0, v0, v9, s0
	v_lshlrev_b32_e32 v9, 16, v26
	v_lshlrev_b32_e32 v26, 16, v27
	v_lshlrev_b32_e32 v27, 16, v28
	v_mul_f32_e32 v9, v0, v9
	s_delay_alu instid0(VALU_DEP_3) | instskip(NEXT) | instid1(VALU_DEP_3)
	v_dual_mul_f32 v26, v0, v26 :: v_dual_lshlrev_b32 v1, 16, v1
	v_mul_f32_e32 v27, v0, v27
	s_delay_alu instid0(VALU_DEP_2) | instskip(NEXT) | instid1(VALU_DEP_1)
	v_mul_f32_e32 v1, v0, v1
	v_mul_f32_e32 v0, v1, v3
	s_delay_alu instid0(VALU_DEP_4) | instskip(NEXT) | instid1(VALU_DEP_4)
	v_dual_mul_f32 v1, v9, v2 :: v_dual_mul_f32 v2, v26, v24
	v_mul_f32_e32 v3, v27, v25
	s_and_saveexec_b32 s0, vcc_lo
	s_cbranch_execz .LBB92_12
; %bb.11:                               ;   in Loop: Header=BB92_10 Depth=1
	ds_load_2addr_b32 v[25:26], v13 offset1:1
	ds_load_2addr_b32 v[28:29], v12 offset1:1
	s_waitcnt lgkmcnt(1)
	v_dual_mul_f32 v9, v1, v25 :: v_dual_mul_f32 v30, v3, v26
	v_mul_f32_e32 v25, v0, v25
	v_mul_f32_e32 v27, v2, v26
	s_waitcnt lgkmcnt(0)
	s_delay_alu instid0(VALU_DEP_3) | instskip(SKIP_3) | instid1(VALU_DEP_4)
	v_fma_f32 v24, v0, v28, -v9
	v_fma_f32 v26, v2, v29, -v30
	v_fmac_f32_e32 v25, v1, v28
	v_fmac_f32_e32 v27, v3, v29
	v_mov_b32_e32 v0, v24
	s_delay_alu instid0(VALU_DEP_3) | instskip(NEXT) | instid1(VALU_DEP_3)
	v_dual_mov_b32 v2, v26 :: v_dual_mov_b32 v1, v25
	v_mov_b32_e32 v3, v27
.LBB92_12:                              ;   in Loop: Header=BB92_10 Depth=1
	s_or_b32 exec_lo, exec_lo, s0
	s_delay_alu instid0(VALU_DEP_3) | instskip(NEXT) | instid1(VALU_DEP_1)
	v_and_b32_e32 v9, 0x7f800000, v0
                                        ; implicit-def: $vgpr24
	v_cmp_ne_u32_e64 s0, 0x7f800000, v9
	s_delay_alu instid0(VALU_DEP_1) | instskip(NEXT) | instid1(SALU_CYCLE_1)
	s_and_saveexec_b32 s1, s0
	s_xor_b32 s0, exec_lo, s1
; %bb.13:                               ;   in Loop: Header=BB92_10 Depth=1
	v_bfe_u32 v9, v0, 16, 1
	s_delay_alu instid0(VALU_DEP_1)
	v_add3_u32 v24, v0, v9, 0x7fff
; %bb.14:                               ;   in Loop: Header=BB92_10 Depth=1
	s_and_not1_saveexec_b32 s1, s0
; %bb.15:                               ;   in Loop: Header=BB92_10 Depth=1
	v_and_b32_e32 v9, 0xffff, v0
	v_or_b32_e32 v24, 0x10000, v0
	s_delay_alu instid0(VALU_DEP_2) | instskip(NEXT) | instid1(VALU_DEP_1)
	v_cmp_eq_u32_e64 s0, 0, v9
	v_cndmask_b32_e64 v24, v24, v0, s0
; %bb.16:                               ;   in Loop: Header=BB92_10 Depth=1
	s_or_b32 exec_lo, exec_lo, s1
	v_and_b32_e32 v0, 0x7f800000, v1
                                        ; implicit-def: $vgpr25
	s_delay_alu instid0(VALU_DEP_1) | instskip(NEXT) | instid1(VALU_DEP_1)
	v_cmp_ne_u32_e64 s0, 0x7f800000, v0
	s_and_saveexec_b32 s1, s0
	s_delay_alu instid0(SALU_CYCLE_1)
	s_xor_b32 s0, exec_lo, s1
; %bb.17:                               ;   in Loop: Header=BB92_10 Depth=1
	v_bfe_u32 v0, v1, 16, 1
	s_delay_alu instid0(VALU_DEP_1)
	v_add3_u32 v25, v1, v0, 0x7fff
; %bb.18:                               ;   in Loop: Header=BB92_10 Depth=1
	s_and_not1_saveexec_b32 s1, s0
; %bb.19:                               ;   in Loop: Header=BB92_10 Depth=1
	v_and_b32_e32 v0, 0xffff, v1
	v_or_b32_e32 v9, 0x10000, v1
	s_delay_alu instid0(VALU_DEP_2) | instskip(NEXT) | instid1(VALU_DEP_1)
	v_cmp_eq_u32_e64 s0, 0, v0
	v_cndmask_b32_e64 v25, v9, v1, s0
; %bb.20:                               ;   in Loop: Header=BB92_10 Depth=1
	s_or_b32 exec_lo, exec_lo, s1
	v_and_b32_e32 v0, 0x7f800000, v2
                                        ; implicit-def: $vgpr26
	s_delay_alu instid0(VALU_DEP_1) | instskip(NEXT) | instid1(VALU_DEP_1)
	v_cmp_ne_u32_e64 s0, 0x7f800000, v0
	s_and_saveexec_b32 s1, s0
	s_delay_alu instid0(SALU_CYCLE_1)
	s_xor_b32 s0, exec_lo, s1
; %bb.21:                               ;   in Loop: Header=BB92_10 Depth=1
	v_bfe_u32 v0, v2, 16, 1
	s_delay_alu instid0(VALU_DEP_1)
	v_add3_u32 v26, v2, v0, 0x7fff
; %bb.22:                               ;   in Loop: Header=BB92_10 Depth=1
	s_and_not1_saveexec_b32 s1, s0
; %bb.23:                               ;   in Loop: Header=BB92_10 Depth=1
	v_and_b32_e32 v0, 0xffff, v2
	v_or_b32_e32 v1, 0x10000, v2
	s_delay_alu instid0(VALU_DEP_2) | instskip(NEXT) | instid1(VALU_DEP_1)
	v_cmp_eq_u32_e64 s0, 0, v0
	v_cndmask_b32_e64 v26, v1, v2, s0
; %bb.24:                               ;   in Loop: Header=BB92_10 Depth=1
	s_or_b32 exec_lo, exec_lo, s1
	v_and_b32_e32 v0, 0x7f800000, v3
                                        ; implicit-def: $vgpr27
	s_delay_alu instid0(VALU_DEP_1) | instskip(NEXT) | instid1(VALU_DEP_1)
	v_cmp_ne_u32_e64 s0, 0x7f800000, v0
	s_and_saveexec_b32 s1, s0
	s_delay_alu instid0(SALU_CYCLE_1)
	s_xor_b32 s0, exec_lo, s1
; %bb.25:                               ;   in Loop: Header=BB92_10 Depth=1
	v_bfe_u32 v0, v3, 16, 1
	s_delay_alu instid0(VALU_DEP_1)
	v_add3_u32 v27, v3, v0, 0x7fff
                                        ; implicit-def: $vgpr0_vgpr1_vgpr2_vgpr3
; %bb.26:                               ;   in Loop: Header=BB92_10 Depth=1
	s_and_not1_saveexec_b32 s1, s0
	s_cbranch_execz .LBB92_9
; %bb.27:                               ;   in Loop: Header=BB92_10 Depth=1
	v_and_b32_e32 v0, 0xffff, v3
	v_or_b32_e32 v1, 0x10000, v3
	s_delay_alu instid0(VALU_DEP_2) | instskip(NEXT) | instid1(VALU_DEP_1)
	v_cmp_eq_u32_e64 s0, 0, v0
	v_cndmask_b32_e64 v27, v1, v3, s0
	s_branch .LBB92_9
.LBB92_28:
	s_nop 0
	s_sendmsg sendmsg(MSG_DEALLOC_VGPRS)
	s_endpgm
	.section	.rodata,"a",@progbits
	.p2align	6, 0x0
	.amdhsa_kernel _ZN12tensorrt_llm7kernels32fusedQKNormRopeKernelNTokenHeadsIN3c108BFloat16EfLi128ELb1ELi8EEEvPviiifPKvS6_S6_PKlii
		.amdhsa_group_segment_fixed_size 0
		.amdhsa_private_segment_fixed_size 0
		.amdhsa_kernarg_size 320
		.amdhsa_user_sgpr_count 15
		.amdhsa_user_sgpr_dispatch_ptr 0
		.amdhsa_user_sgpr_queue_ptr 0
		.amdhsa_user_sgpr_kernarg_segment_ptr 1
		.amdhsa_user_sgpr_dispatch_id 0
		.amdhsa_user_sgpr_private_segment_size 0
		.amdhsa_wavefront_size32 1
		.amdhsa_uses_dynamic_stack 0
		.amdhsa_enable_private_segment 0
		.amdhsa_system_sgpr_workgroup_id_x 1
		.amdhsa_system_sgpr_workgroup_id_y 0
		.amdhsa_system_sgpr_workgroup_id_z 0
		.amdhsa_system_sgpr_workgroup_info 0
		.amdhsa_system_vgpr_workitem_id 0
		.amdhsa_next_free_vgpr 31
		.amdhsa_next_free_sgpr 21
		.amdhsa_reserve_vcc 1
		.amdhsa_float_round_mode_32 0
		.amdhsa_float_round_mode_16_64 0
		.amdhsa_float_denorm_mode_32 3
		.amdhsa_float_denorm_mode_16_64 3
		.amdhsa_dx10_clamp 1
		.amdhsa_ieee_mode 1
		.amdhsa_fp16_overflow 0
		.amdhsa_workgroup_processor_mode 1
		.amdhsa_memory_ordered 1
		.amdhsa_forward_progress 0
		.amdhsa_shared_vgpr_count 0
		.amdhsa_exception_fp_ieee_invalid_op 0
		.amdhsa_exception_fp_denorm_src 0
		.amdhsa_exception_fp_ieee_div_zero 0
		.amdhsa_exception_fp_ieee_overflow 0
		.amdhsa_exception_fp_ieee_underflow 0
		.amdhsa_exception_fp_ieee_inexact 0
		.amdhsa_exception_int_div_zero 0
	.end_amdhsa_kernel
	.section	.text._ZN12tensorrt_llm7kernels32fusedQKNormRopeKernelNTokenHeadsIN3c108BFloat16EfLi128ELb1ELi8EEEvPviiifPKvS6_S6_PKlii,"axG",@progbits,_ZN12tensorrt_llm7kernels32fusedQKNormRopeKernelNTokenHeadsIN3c108BFloat16EfLi128ELb1ELi8EEEvPviiifPKvS6_S6_PKlii,comdat
.Lfunc_end92:
	.size	_ZN12tensorrt_llm7kernels32fusedQKNormRopeKernelNTokenHeadsIN3c108BFloat16EfLi128ELb1ELi8EEEvPviiifPKvS6_S6_PKlii, .Lfunc_end92-_ZN12tensorrt_llm7kernels32fusedQKNormRopeKernelNTokenHeadsIN3c108BFloat16EfLi128ELb1ELi8EEEvPviiifPKvS6_S6_PKlii
                                        ; -- End function
	.section	.AMDGPU.csdata,"",@progbits
; Kernel info:
; codeLenInByte = 2128
; NumSgprs: 23
; NumVgprs: 31
; ScratchSize: 0
; MemoryBound: 0
; FloatMode: 240
; IeeeMode: 1
; LDSByteSize: 0 bytes/workgroup (compile time only)
; SGPRBlocks: 2
; VGPRBlocks: 3
; NumSGPRsForWavesPerEU: 23
; NumVGPRsForWavesPerEU: 31
; Occupancy: 16
; WaveLimiterHint : 0
; COMPUTE_PGM_RSRC2:SCRATCH_EN: 0
; COMPUTE_PGM_RSRC2:USER_SGPR: 15
; COMPUTE_PGM_RSRC2:TRAP_HANDLER: 0
; COMPUTE_PGM_RSRC2:TGID_X_EN: 1
; COMPUTE_PGM_RSRC2:TGID_Y_EN: 0
; COMPUTE_PGM_RSRC2:TGID_Z_EN: 0
; COMPUTE_PGM_RSRC2:TIDIG_COMP_CNT: 0
	.section	.text._ZN12tensorrt_llm7kernels32fusedQKNormRopeKernelNTokenHeadsIN3c108BFloat16EfLi128ELb0ELi8EEEvPviiifPKvS6_S6_PKlii,"axG",@progbits,_ZN12tensorrt_llm7kernels32fusedQKNormRopeKernelNTokenHeadsIN3c108BFloat16EfLi128ELb0ELi8EEEvPviiifPKvS6_S6_PKlii,comdat
	.protected	_ZN12tensorrt_llm7kernels32fusedQKNormRopeKernelNTokenHeadsIN3c108BFloat16EfLi128ELb0ELi8EEEvPviiifPKvS6_S6_PKlii ; -- Begin function _ZN12tensorrt_llm7kernels32fusedQKNormRopeKernelNTokenHeadsIN3c108BFloat16EfLi128ELb0ELi8EEEvPviiifPKvS6_S6_PKlii
	.globl	_ZN12tensorrt_llm7kernels32fusedQKNormRopeKernelNTokenHeadsIN3c108BFloat16EfLi128ELb0ELi8EEEvPviiifPKvS6_S6_PKlii
	.p2align	8
	.type	_ZN12tensorrt_llm7kernels32fusedQKNormRopeKernelNTokenHeadsIN3c108BFloat16EfLi128ELb0ELi8EEEvPviiifPKvS6_S6_PKlii,@function
_ZN12tensorrt_llm7kernels32fusedQKNormRopeKernelNTokenHeadsIN3c108BFloat16EfLi128ELb0ELi8EEEvPviiifPKvS6_S6_PKlii: ; @_ZN12tensorrt_llm7kernels32fusedQKNormRopeKernelNTokenHeadsIN3c108BFloat16EfLi128ELb0ELi8EEEvPviiifPKvS6_S6_PKlii
; %bb.0:
	s_clause 0x1
	s_load_b128 s[16:19], s[0:1], 0x8
	s_load_b64 s[2:3], s[0:1], 0x38
	v_lshrrev_b32_e32 v2, 5, v0
	s_waitcnt lgkmcnt(0)
	s_add_i32 s4, s17, s16
	s_delay_alu instid0(SALU_CYCLE_1) | instskip(NEXT) | instid1(SALU_CYCLE_1)
	s_add_i32 s5, s4, 7
	s_ashr_i32 s6, s5, 31
	s_delay_alu instid0(SALU_CYCLE_1) | instskip(NEXT) | instid1(SALU_CYCLE_1)
	s_lshr_b32 s6, s6, 29
	s_add_i32 s5, s5, s6
	s_delay_alu instid0(SALU_CYCLE_1) | instskip(SKIP_2) | instid1(SALU_CYCLE_1)
	s_ashr_i32 s14, s5, 3
	s_load_b32 s5, s[0:1], 0x4c
	s_abs_i32 s6, s14
	v_cvt_f32_u32_e32 v1, s6
	s_sub_i32 s7, 0, s6
	s_delay_alu instid0(VALU_DEP_1) | instskip(SKIP_4) | instid1(SALU_CYCLE_1)
	v_rcp_iflag_f32_e32 v1, v1
	s_waitcnt_depctr 0xfff
	v_mul_f32_e32 v1, 0x4f7ffffe, v1
	s_waitcnt lgkmcnt(0)
	s_bfe_u32 s5, s5, 0xb0005
	v_mad_u64_u32 v[3:4], null, s15, s5, v[2:3]
	s_delay_alu instid0(VALU_DEP_2) | instskip(NEXT) | instid1(VALU_DEP_1)
	v_cvt_u32_f32_e32 v1, v1
	v_mul_lo_u32 v5, s7, v1
	s_delay_alu instid0(VALU_DEP_1) | instskip(NEXT) | instid1(VALU_DEP_4)
	v_mul_hi_u32 v4, v1, v5
	v_sub_nc_u32_e32 v5, 0, v3
	s_delay_alu instid0(VALU_DEP_1) | instskip(NEXT) | instid1(VALU_DEP_3)
	v_max_i32_e32 v5, v3, v5
	v_add_nc_u32_e32 v1, v1, v4
	s_delay_alu instid0(VALU_DEP_1) | instskip(NEXT) | instid1(VALU_DEP_1)
	v_mul_hi_u32 v1, v5, v1
	v_mul_lo_u32 v4, v1, s6
	s_delay_alu instid0(VALU_DEP_1) | instskip(SKIP_1) | instid1(VALU_DEP_2)
	v_sub_nc_u32_e32 v4, v5, v4
	v_add_nc_u32_e32 v5, 1, v1
	v_subrev_nc_u32_e32 v6, s6, v4
	v_cmp_le_u32_e32 vcc_lo, s6, v4
	s_delay_alu instid0(VALU_DEP_2) | instskip(SKIP_1) | instid1(VALU_DEP_2)
	v_dual_cndmask_b32 v4, v4, v6 :: v_dual_cndmask_b32 v1, v1, v5
	v_xor_b32_e32 v5, s14, v3
	v_cmp_le_u32_e32 vcc_lo, s6, v4
	s_delay_alu instid0(VALU_DEP_3) | instskip(NEXT) | instid1(VALU_DEP_3)
	v_add_nc_u32_e32 v6, 1, v1
	v_ashrrev_i32_e32 v5, 31, v5
	s_delay_alu instid0(VALU_DEP_2) | instskip(NEXT) | instid1(VALU_DEP_1)
	v_cndmask_b32_e32 v1, v1, v6, vcc_lo
	v_xor_b32_e32 v1, v1, v5
	s_delay_alu instid0(VALU_DEP_1) | instskip(NEXT) | instid1(VALU_DEP_1)
	v_sub_nc_u32_e32 v1, v1, v5
	v_cmp_gt_i32_e32 vcc_lo, s2, v1
	s_and_saveexec_b32 s2, vcc_lo
	s_cbranch_execz .LBB93_28
; %bb.1:
	v_mul_lo_u32 v4, v1, s14
	s_load_b64 s[12:13], s[0:1], 0x0
	v_and_b32_e32 v8, 31, v0
	v_lshlrev_b32_e32 v12, 11, v2
	v_lshlrev_b32_e32 v9, 10, v3
	s_lshl_b32 s20, s3, 2
	s_delay_alu instid0(VALU_DEP_3) | instskip(SKIP_2) | instid1(VALU_DEP_1)
	v_lshlrev_b32_e32 v0, 3, v8
	v_sub_nc_u32_e32 v4, v3, v4
	s_mul_i32 s15, s20, s5
	v_lshlrev_b32_e32 v10, 3, v4
	s_delay_alu instid0(VALU_DEP_1) | instskip(SKIP_1) | instid1(VALU_DEP_2)
	v_add_nc_u32_e32 v4, 8, v10
	v_sub_nc_u32_e32 v5, s4, v10
	v_cmp_lt_i32_e32 vcc_lo, s4, v4
	s_delay_alu instid0(VALU_DEP_2) | instskip(NEXT) | instid1(VALU_DEP_1)
	v_cndmask_b32_e32 v11, 8, v5, vcc_lo
	v_cmp_lt_i32_e32 vcc_lo, 0, v11
	s_and_saveexec_b32 s4, vcc_lo
	s_cbranch_execz .LBB93_4
; %bb.2:
	s_add_i32 s2, s18, s17
	s_lshl_b32 s5, s14, 3
	s_add_i32 s2, s2, s16
	s_mov_b32 s6, 0
	s_sub_i32 s2, s2, s5
	s_mov_b32 s5, 0
	v_mul_lo_u32 v3, s2, v1
	s_add_i32 s2, s15, 0
	s_delay_alu instid0(SALU_CYCLE_1) | instskip(NEXT) | instid1(VALU_DEP_2)
	v_add3_u32 v5, s2, v12, v0
	v_lshl_add_u32 v3, v3, 7, v9
	s_delay_alu instid0(VALU_DEP_1)
	v_lshl_or_b32 v3, v8, 2, v3
	.p2align	6
.LBB93_3:                               ; =>This Inner Loop Header: Depth=1
	s_delay_alu instid0(VALU_DEP_1) | instskip(SKIP_1) | instid1(VALU_DEP_1)
	v_ashrrev_i32_e32 v4, 31, v3
	s_add_i32 s6, s6, 1
	v_lshlrev_b64 v[6:7], 1, v[3:4]
	v_add_nc_u32_e32 v3, 0x80, v3
	s_waitcnt lgkmcnt(0)
	s_delay_alu instid0(VALU_DEP_2) | instskip(NEXT) | instid1(VALU_DEP_1)
	v_add_co_u32 v6, s2, s12, v6
	v_add_co_ci_u32_e64 v7, s2, s13, v7, s2
	v_cmp_ge_i32_e64 s2, s6, v11
	global_load_b64 v[6:7], v[6:7], off
	s_or_b32 s5, s2, s5
	s_waitcnt vmcnt(0)
	ds_store_b64 v5, v[6:7]
	v_add_nc_u32_e32 v5, 0x100, v5
	s_and_not1_b32 exec_lo, exec_lo, s5
	s_cbranch_execnz .LBB93_3
.LBB93_4:
	s_or_b32 exec_lo, exec_lo, s4
	s_load_b256 s[4:11], s[0:1], 0x18
	s_add_i32 s0, s20, 15
	v_mul_lo_u32 v13, v2, s3
	s_ashr_i32 s1, s0, 31
	s_mov_b32 s20, exec_lo
	s_lshr_b32 s1, s1, 28
	s_delay_alu instid0(SALU_CYCLE_1) | instskip(NEXT) | instid1(SALU_CYCLE_1)
	s_add_i32 s0, s0, s1
	s_ashr_i32 s2, s0, 4
	s_delay_alu instid0(SALU_CYCLE_1)
	v_cmpx_gt_i32_e64 s2, v8
	s_cbranch_execz .LBB93_7
; %bb.5:
	v_ashrrev_i32_e32 v2, 31, v1
	s_delay_alu instid0(VALU_DEP_1) | instskip(SKIP_1) | instid1(VALU_DEP_1)
	v_lshlrev_b64 v[2:3], 3, v[1:2]
	s_waitcnt lgkmcnt(0)
	v_add_co_u32 v2, s0, s10, v2
	s_delay_alu instid0(VALU_DEP_1)
	v_add_co_ci_u32_e64 v3, s0, s11, v3, s0
	s_ashr_i32 s0, s3, 31
	global_load_b64 v[2:3], v[2:3], off
	s_waitcnt vmcnt(0)
	v_mul_lo_u32 v5, v3, s3
	v_mul_lo_u32 v6, v2, s0
	v_mad_u64_u32 v[3:4], null, v2, s3, 0
	s_delay_alu instid0(VALU_DEP_1) | instskip(SKIP_1) | instid1(VALU_DEP_2)
	v_add3_u32 v4, v4, v6, v5
	v_lshlrev_b32_e32 v5, 2, v13
	v_lshlrev_b64 v[2:3], 2, v[3:4]
	v_lshlrev_b32_e32 v4, 4, v8
	s_delay_alu instid0(VALU_DEP_1) | instskip(NEXT) | instid1(VALU_DEP_1)
	v_add_co_u32 v2, s0, v2, v4
	v_add_co_ci_u32_e64 v3, s0, 0, v3, s0
	v_add3_u32 v4, v5, v4, 0
	v_mov_b32_e32 v5, v8
	s_delay_alu instid0(VALU_DEP_4) | instskip(NEXT) | instid1(VALU_DEP_1)
	v_add_co_u32 v2, s0, s8, v2
	v_add_co_ci_u32_e64 v3, s0, s9, v3, s0
	s_mov_b32 s8, 0
	.p2align	6
.LBB93_6:                               ; =>This Inner Loop Header: Depth=1
	global_load_b128 v[14:17], v[2:3], off
	v_add_nc_u32_e32 v5, 32, v5
	v_add_co_u32 v2, s0, 0x200, v2
	s_delay_alu instid0(VALU_DEP_1) | instskip(NEXT) | instid1(VALU_DEP_3)
	v_add_co_ci_u32_e64 v3, s0, 0, v3, s0
	v_cmp_le_i32_e64 s1, s2, v5
	s_delay_alu instid0(VALU_DEP_1)
	s_or_b32 s8, s1, s8
	s_waitcnt vmcnt(0)
	ds_store_b128 v4, v[14:17]
	v_add_nc_u32_e32 v4, 0x200, v4
	s_and_not1_b32 exec_lo, exec_lo, s8
	s_cbranch_execnz .LBB93_6
.LBB93_7:
	s_or_b32 exec_lo, exec_lo, s20
	s_delay_alu instid0(SALU_CYCLE_1)
	s_and_b32 exec_lo, exec_lo, vcc_lo
	s_cbranch_execz .LBB93_28
; %bb.8:
	s_waitcnt lgkmcnt(0)
	s_clause 0x1
	global_load_b64 v[4:5], v0, s[4:5]
	global_load_b64 v[6:7], v0, s[6:7]
	s_abs_i32 s2, s3
	v_lshl_add_u32 v2, v13, 2, 0
	v_cvt_f32_u32_e32 v3, s2
	v_mbcnt_lo_u32_b32 v13, -1, 0
	s_lshr_b32 s0, s3, 31
	s_ashr_i32 s1, s3, 31
	s_add_i32 s0, s3, s0
	v_rcp_iflag_f32_e32 v3, v3
	v_add_nc_u32_e32 v30, s15, v12
	s_lshr_b32 s6, s1, 30
	s_lshr_b32 s1, s1, 29
	v_xor_b32_e32 v12, 16, v13
	s_lshl_b32 s0, s0, 1
	s_add_i32 s1, s3, s1
	s_sub_i32 s7, 0, s2
	s_and_b32 s0, s0, -4
	s_ashr_i32 s1, s1, 3
	s_waitcnt_depctr 0xfff
	v_mul_f32_e32 v3, 0x4f7ffffe, v3
	v_xor_b32_e32 v14, 8, v13
	v_add_nc_u32_e32 v25, s0, v2
	v_xor_b32_e32 v22, s1, v13
	v_cmp_gt_i32_e64 s0, s1, v8
	v_cvt_u32_f32_e32 v3, v3
	v_cmp_gt_i32_e64 s1, 32, v12
	v_xor_b32_e32 v18, 4, v13
	v_xor_b32_e32 v20, 2, v13
	v_or_b32_e32 v15, 2, v0
	v_mul_lo_u32 v19, s7, v3
	v_cndmask_b32_e64 v12, v13, v12, s1
	v_cmp_gt_i32_e64 s1, 32, v14
	v_or_b32_e32 v16, 4, v0
	v_or_b32_e32 v17, 6, v0
	s_add_i32 s4, s18, s17
	s_lshl_b32 s5, s14, 3
	v_cndmask_b32_e64 v14, v13, v14, s1
	v_mul_hi_u32 v19, v3, v19
	v_cmp_gt_i32_e64 s1, 32, v18
	s_add_i32 s4, s4, s16
	s_add_i32 s6, s3, s6
	s_sub_i32 s3, s4, s5
	v_xor_b32_e32 v21, 1, v13
	v_cndmask_b32_e64 v18, v13, v18, s1
	v_cmp_gt_i32_e64 s1, 32, v20
	v_add_nc_u32_e32 v3, v3, v19
	v_mul_lo_u32 v1, s3, v1
	s_ashr_i32 s4, s6, 2
	v_lshlrev_b32_e32 v12, 2, v12
	v_cndmask_b32_e64 v19, v13, v20, s1
	v_mul_hi_u32 v20, v0, v3
	v_mul_hi_u32 v23, v15, v3
	v_mul_hi_u32 v24, v16, v3
	v_mul_hi_u32 v3, v17, v3
	v_cmp_gt_i32_e64 s1, 32, v21
	v_lshl_add_u32 v1, v1, 7, v9
	v_cmp_gt_i32_e32 vcc_lo, s4, v8
	v_add3_u32 v30, v30, v0, 0
	v_mul_lo_u32 v20, v20, s2
	v_mul_lo_u32 v23, v23, s2
	v_cndmask_b32_e64 v21, v13, v21, s1
	v_mul_lo_u32 v3, v3, s2
	v_cmp_gt_i32_e64 s1, 32, v22
	v_mul_lo_u32 v24, v24, s2
	v_lshl_or_b32 v8, v8, 2, v1
	s_mov_b32 s3, 0
	v_sub_nc_u32_e32 v9, v0, v20
	v_cndmask_b32_e64 v22, v13, v22, s1
	v_lshlrev_b32_e32 v13, 2, v14
	v_lshlrev_b32_e32 v14, 2, v18
	v_sub_nc_u32_e32 v18, v15, v23
	v_sub_nc_u32_e32 v3, v17, v3
	v_subrev_nc_u32_e32 v17, s2, v9
	v_cmp_le_u32_e64 s1, s2, v9
	v_sub_nc_u32_e32 v16, v16, v24
	v_lshlrev_b32_e32 v15, 2, v19
	v_subrev_nc_u32_e32 v19, s2, v18
	v_subrev_nc_u32_e32 v23, s2, v3
	v_cndmask_b32_e64 v9, v9, v17, s1
	v_cmp_le_u32_e64 s1, s2, v18
	v_subrev_nc_u32_e32 v20, s2, v16
	s_mov_b32 s4, 0
	s_delay_alu instid0(VALU_DEP_2) | instskip(SKIP_2) | instid1(VALU_DEP_2)
	v_cndmask_b32_e64 v17, v18, v19, s1
	v_cmp_le_u32_e64 s1, s2, v16
	v_subrev_nc_u32_e32 v19, s2, v9
	v_cndmask_b32_e64 v18, v16, v20, s1
	v_cmp_le_u32_e64 s1, s2, v3
	v_subrev_nc_u32_e32 v20, s2, v17
	v_lshlrev_b32_e32 v16, 2, v21
	s_delay_alu instid0(VALU_DEP_4) | instskip(NEXT) | instid1(VALU_DEP_4)
	v_subrev_nc_u32_e32 v21, s2, v18
	v_cndmask_b32_e64 v3, v3, v23, s1
	v_cmp_le_u32_e64 s1, s2, v9
	s_delay_alu instid0(VALU_DEP_2) | instskip(NEXT) | instid1(VALU_DEP_2)
	v_subrev_nc_u32_e32 v23, s2, v3
	v_cndmask_b32_e64 v9, v9, v19, s1
	v_cmp_le_u32_e64 s1, s2, v17
	s_delay_alu instid0(VALU_DEP_2) | instskip(NEXT) | instid1(VALU_DEP_2)
	v_lshlrev_b32_e32 v9, 1, v9
	v_cndmask_b32_e64 v19, v17, v20, s1
	v_cmp_le_u32_e64 s1, s2, v18
	v_lshlrev_b32_e32 v17, 2, v22
	s_delay_alu instid0(VALU_DEP_4) | instskip(NEXT) | instid1(VALU_DEP_4)
	v_and_b32_e32 v9, -4, v9
	v_lshlrev_b32_e32 v19, 1, v19
	s_delay_alu instid0(VALU_DEP_4) | instskip(SKIP_1) | instid1(VALU_DEP_3)
	v_cndmask_b32_e64 v18, v18, v21, s1
	v_cmp_le_u32_e64 s1, s2, v3
	v_and_b32_e32 v1, -4, v19
	s_delay_alu instid0(VALU_DEP_3) | instskip(NEXT) | instid1(VALU_DEP_3)
	v_lshlrev_b32_e32 v18, 1, v18
	v_cndmask_b32_e64 v3, v3, v23, s1
	v_add_nc_u32_e32 v19, v25, v9
	s_delay_alu instid0(VALU_DEP_4) | instskip(NEXT) | instid1(VALU_DEP_4)
	v_add_nc_u32_e32 v20, v2, v1
	v_and_b32_e32 v23, -4, v18
	s_delay_alu instid0(VALU_DEP_4) | instskip(SKIP_2) | instid1(VALU_DEP_4)
	v_lshlrev_b32_e32 v3, 1, v3
	v_add_nc_u32_e32 v18, v2, v9
	v_add_nc_u32_e32 v21, v25, v1
	;; [unrolled: 1-line block ×3, first 2 shown]
	s_delay_alu instid0(VALU_DEP_4) | instskip(SKIP_1) | instid1(VALU_DEP_2)
	v_and_b32_e32 v3, -4, v3
	v_add_nc_u32_e32 v23, v25, v23
	v_add_nc_u32_e32 v24, v2, v3
	;; [unrolled: 1-line block ×3, first 2 shown]
	s_waitcnt vmcnt(1)
	v_lshrrev_b32_e32 v26, 16, v4
	v_lshrrev_b32_e32 v27, 16, v5
	s_waitcnt vmcnt(0)
	v_lshrrev_b32_e32 v28, 16, v6
	v_lshrrev_b32_e32 v29, 16, v7
	s_branch .LBB93_10
.LBB93_9:                               ;   in Loop: Header=BB93_10 Depth=1
	s_or_b32 exec_lo, exec_lo, s2
	v_ashrrev_i32_e32 v9, 31, v8
	v_lshrrev_b32_e32 v2, 16, v33
	v_and_b32_e32 v3, 0xffff0000, v34
	s_add_i32 s4, s4, 1
	v_add_nc_u32_e32 v30, 0x100, v30
	v_lshlrev_b64 v[0:1], 1, v[8:9]
	v_lshrrev_b32_e32 v9, 16, v31
	v_cmp_ge_i32_e64 s1, s4, v11
	v_or_b32_e32 v2, v3, v2
	v_add_nc_u32_e32 v8, 0x80, v8
	v_add_co_u32 v33, s2, s12, v0
	s_delay_alu instid0(VALU_DEP_1)
	v_add_co_ci_u32_e64 v34, s2, s13, v1, s2
	v_and_or_b32 v1, 0xffff0000, v32, v9
	s_or_b32 s3, s1, s3
	global_store_b64 v[33:34], v[1:2], off
	s_and_not1_b32 exec_lo, exec_lo, s3
	s_cbranch_execz .LBB93_28
.LBB93_10:                              ; =>This Inner Loop Header: Depth=1
	ds_load_b64 v[0:1], v30
	s_waitcnt lgkmcnt(0)
	v_lshlrev_b32_e32 v3, 16, v0
	v_and_b32_e32 v2, 0xffff0000, v0
	v_alignbit_b32 v0, v1, v0, 16
	s_delay_alu instid0(VALU_DEP_2) | instskip(NEXT) | instid1(VALU_DEP_2)
	v_dual_mul_f32 v9, v2, v2 :: v_dual_and_b32 v32, 0xffff0000, v1
	v_and_b32_e32 v31, 0xffff0000, v0
	s_delay_alu instid0(VALU_DEP_2) | instskip(NEXT) | instid1(VALU_DEP_1)
	v_fmac_f32_e32 v9, v3, v3
	v_fmac_f32_e32 v9, v31, v31
	s_delay_alu instid0(VALU_DEP_1)
	v_fmac_f32_e32 v9, v32, v32
	ds_bpermute_b32 v0, v12, v9
	s_waitcnt lgkmcnt(0)
	v_add_f32_e32 v0, v9, v0
	ds_bpermute_b32 v1, v13, v0
	s_waitcnt lgkmcnt(0)
	v_add_f32_e32 v0, v0, v1
	;; [unrolled: 3-line block ×5, first 2 shown]
	s_delay_alu instid0(VALU_DEP_1) | instskip(NEXT) | instid1(VALU_DEP_1)
	v_fma_f32 v0, 0x3c000000, v0, s19
	v_mul_f32_e32 v1, 0x4b800000, v0
	v_cmp_gt_f32_e64 s1, 0x800000, v0
	s_delay_alu instid0(VALU_DEP_1) | instskip(SKIP_1) | instid1(VALU_DEP_2)
	v_cndmask_b32_e64 v0, v0, v1, s1
	v_add_nc_u32_e32 v1, s4, v10
	v_rsq_f32_e32 v0, v0
	s_delay_alu instid0(VALU_DEP_1) | instskip(NEXT) | instid1(VALU_DEP_1)
	v_cmp_gt_i32_e64 s2, s16, v1
	v_cndmask_b32_e64 v33, v28, v26, s2
	v_cndmask_b32_e64 v34, v7, v5, s2
	;; [unrolled: 1-line block ×4, first 2 shown]
	s_waitcnt_depctr 0xfff
	v_mul_f32_e32 v9, 0x45800000, v0
	s_delay_alu instid0(VALU_DEP_1) | instskip(SKIP_2) | instid1(VALU_DEP_2)
	v_cndmask_b32_e64 v0, v0, v9, s1
	v_lshlrev_b32_e32 v9, 16, v33
	v_lshlrev_b32_e32 v33, 16, v34
	v_dual_mul_f32 v9, v0, v9 :: v_dual_lshlrev_b32 v34, 16, v35
	s_delay_alu instid0(VALU_DEP_2) | instskip(NEXT) | instid1(VALU_DEP_2)
	v_mul_f32_e32 v33, v0, v33
	v_dual_mul_f32 v34, v0, v34 :: v_dual_lshlrev_b32 v1, 16, v1
	s_delay_alu instid0(VALU_DEP_1) | instskip(NEXT) | instid1(VALU_DEP_1)
	v_mul_f32_e32 v1, v0, v1
	v_mul_f32_e32 v0, v1, v3
	;; [unrolled: 1-line block ×3, first 2 shown]
	s_delay_alu instid0(VALU_DEP_4)
	v_dual_mul_f32 v2, v33, v31 :: v_dual_mul_f32 v3, v34, v32
	s_and_saveexec_b32 s1, vcc_lo
	s_cbranch_execz .LBB93_12
; %bb.11:                               ;   in Loop: Header=BB93_10 Depth=1
	ds_bpermute_b32 v9, v17, v0
	ds_bpermute_b32 v31, v17, v1
	;; [unrolled: 1-line block ×4, first 2 shown]
	; wave barrier
	ds_load_b32 v34, v19
	ds_load_b32 v35, v21
	;; [unrolled: 1-line block ×8, first 2 shown]
	; wave barrier
	s_waitcnt lgkmcnt(11)
	v_cndmask_b32_e64 v9, v9, -v9, s0
	s_waitcnt lgkmcnt(10)
	v_cndmask_b32_e64 v42, v31, -v31, s0
	;; [unrolled: 2-line block ×4, first 2 shown]
	s_waitcnt lgkmcnt(6)
	v_dual_mul_f32 v31, v9, v34 :: v_dual_mul_f32 v32, v42, v35
	s_waitcnt lgkmcnt(4)
	s_delay_alu instid0(VALU_DEP_2) | instskip(SKIP_1) | instid1(VALU_DEP_2)
	v_dual_mul_f32 v33, v43, v36 :: v_dual_mul_f32 v34, v44, v37
	s_waitcnt lgkmcnt(2)
	v_dual_fmac_f32 v31, v0, v38 :: v_dual_fmac_f32 v32, v1, v39
	s_waitcnt lgkmcnt(0)
	s_delay_alu instid0(VALU_DEP_2) | instskip(NEXT) | instid1(VALU_DEP_2)
	v_dual_fmac_f32 v33, v2, v40 :: v_dual_fmac_f32 v34, v3, v41
	v_dual_mov_b32 v0, v31 :: v_dual_mov_b32 v1, v32
	s_delay_alu instid0(VALU_DEP_2)
	v_dual_mov_b32 v2, v33 :: v_dual_mov_b32 v3, v34
.LBB93_12:                              ;   in Loop: Header=BB93_10 Depth=1
	s_or_b32 exec_lo, exec_lo, s1
	s_delay_alu instid0(VALU_DEP_2) | instskip(NEXT) | instid1(VALU_DEP_1)
	v_and_b32_e32 v9, 0x7f800000, v0
                                        ; implicit-def: $vgpr31
	v_cmp_ne_u32_e64 s1, 0x7f800000, v9
	s_delay_alu instid0(VALU_DEP_1) | instskip(NEXT) | instid1(SALU_CYCLE_1)
	s_and_saveexec_b32 s2, s1
	s_xor_b32 s1, exec_lo, s2
; %bb.13:                               ;   in Loop: Header=BB93_10 Depth=1
	v_bfe_u32 v9, v0, 16, 1
	s_delay_alu instid0(VALU_DEP_1)
	v_add3_u32 v31, v0, v9, 0x7fff
; %bb.14:                               ;   in Loop: Header=BB93_10 Depth=1
	s_and_not1_saveexec_b32 s2, s1
; %bb.15:                               ;   in Loop: Header=BB93_10 Depth=1
	v_and_b32_e32 v9, 0xffff, v0
	v_or_b32_e32 v31, 0x10000, v0
	s_delay_alu instid0(VALU_DEP_2) | instskip(NEXT) | instid1(VALU_DEP_1)
	v_cmp_eq_u32_e64 s1, 0, v9
	v_cndmask_b32_e64 v31, v31, v0, s1
; %bb.16:                               ;   in Loop: Header=BB93_10 Depth=1
	s_or_b32 exec_lo, exec_lo, s2
	v_and_b32_e32 v0, 0x7f800000, v1
                                        ; implicit-def: $vgpr32
	s_delay_alu instid0(VALU_DEP_1) | instskip(NEXT) | instid1(VALU_DEP_1)
	v_cmp_ne_u32_e64 s1, 0x7f800000, v0
	s_and_saveexec_b32 s2, s1
	s_delay_alu instid0(SALU_CYCLE_1)
	s_xor_b32 s1, exec_lo, s2
; %bb.17:                               ;   in Loop: Header=BB93_10 Depth=1
	v_bfe_u32 v0, v1, 16, 1
	s_delay_alu instid0(VALU_DEP_1)
	v_add3_u32 v32, v1, v0, 0x7fff
; %bb.18:                               ;   in Loop: Header=BB93_10 Depth=1
	s_and_not1_saveexec_b32 s2, s1
; %bb.19:                               ;   in Loop: Header=BB93_10 Depth=1
	v_and_b32_e32 v0, 0xffff, v1
	v_or_b32_e32 v9, 0x10000, v1
	s_delay_alu instid0(VALU_DEP_2) | instskip(NEXT) | instid1(VALU_DEP_1)
	v_cmp_eq_u32_e64 s1, 0, v0
	v_cndmask_b32_e64 v32, v9, v1, s1
; %bb.20:                               ;   in Loop: Header=BB93_10 Depth=1
	s_or_b32 exec_lo, exec_lo, s2
	v_and_b32_e32 v0, 0x7f800000, v2
                                        ; implicit-def: $vgpr33
	s_delay_alu instid0(VALU_DEP_1) | instskip(NEXT) | instid1(VALU_DEP_1)
	v_cmp_ne_u32_e64 s1, 0x7f800000, v0
	s_and_saveexec_b32 s2, s1
	s_delay_alu instid0(SALU_CYCLE_1)
	s_xor_b32 s1, exec_lo, s2
; %bb.21:                               ;   in Loop: Header=BB93_10 Depth=1
	v_bfe_u32 v0, v2, 16, 1
	s_delay_alu instid0(VALU_DEP_1)
	v_add3_u32 v33, v2, v0, 0x7fff
; %bb.22:                               ;   in Loop: Header=BB93_10 Depth=1
	s_and_not1_saveexec_b32 s2, s1
; %bb.23:                               ;   in Loop: Header=BB93_10 Depth=1
	v_and_b32_e32 v0, 0xffff, v2
	v_or_b32_e32 v1, 0x10000, v2
	s_delay_alu instid0(VALU_DEP_2) | instskip(NEXT) | instid1(VALU_DEP_1)
	v_cmp_eq_u32_e64 s1, 0, v0
	v_cndmask_b32_e64 v33, v1, v2, s1
; %bb.24:                               ;   in Loop: Header=BB93_10 Depth=1
	s_or_b32 exec_lo, exec_lo, s2
	v_and_b32_e32 v0, 0x7f800000, v3
                                        ; implicit-def: $vgpr34
	s_delay_alu instid0(VALU_DEP_1) | instskip(NEXT) | instid1(VALU_DEP_1)
	v_cmp_ne_u32_e64 s1, 0x7f800000, v0
	s_and_saveexec_b32 s2, s1
	s_delay_alu instid0(SALU_CYCLE_1)
	s_xor_b32 s1, exec_lo, s2
; %bb.25:                               ;   in Loop: Header=BB93_10 Depth=1
	v_bfe_u32 v0, v3, 16, 1
	s_delay_alu instid0(VALU_DEP_1)
	v_add3_u32 v34, v3, v0, 0x7fff
                                        ; implicit-def: $vgpr0_vgpr1_vgpr2_vgpr3
; %bb.26:                               ;   in Loop: Header=BB93_10 Depth=1
	s_and_not1_saveexec_b32 s2, s1
	s_cbranch_execz .LBB93_9
; %bb.27:                               ;   in Loop: Header=BB93_10 Depth=1
	v_and_b32_e32 v0, 0xffff, v3
	v_or_b32_e32 v1, 0x10000, v3
	s_delay_alu instid0(VALU_DEP_2) | instskip(NEXT) | instid1(VALU_DEP_1)
	v_cmp_eq_u32_e64 s1, 0, v0
	v_cndmask_b32_e64 v34, v1, v3, s1
	s_branch .LBB93_9
.LBB93_28:
	s_nop 0
	s_sendmsg sendmsg(MSG_DEALLOC_VGPRS)
	s_endpgm
	.section	.rodata,"a",@progbits
	.p2align	6, 0x0
	.amdhsa_kernel _ZN12tensorrt_llm7kernels32fusedQKNormRopeKernelNTokenHeadsIN3c108BFloat16EfLi128ELb0ELi8EEEvPviiifPKvS6_S6_PKlii
		.amdhsa_group_segment_fixed_size 0
		.amdhsa_private_segment_fixed_size 0
		.amdhsa_kernarg_size 320
		.amdhsa_user_sgpr_count 15
		.amdhsa_user_sgpr_dispatch_ptr 0
		.amdhsa_user_sgpr_queue_ptr 0
		.amdhsa_user_sgpr_kernarg_segment_ptr 1
		.amdhsa_user_sgpr_dispatch_id 0
		.amdhsa_user_sgpr_private_segment_size 0
		.amdhsa_wavefront_size32 1
		.amdhsa_uses_dynamic_stack 0
		.amdhsa_enable_private_segment 0
		.amdhsa_system_sgpr_workgroup_id_x 1
		.amdhsa_system_sgpr_workgroup_id_y 0
		.amdhsa_system_sgpr_workgroup_id_z 0
		.amdhsa_system_sgpr_workgroup_info 0
		.amdhsa_system_vgpr_workitem_id 0
		.amdhsa_next_free_vgpr 45
		.amdhsa_next_free_sgpr 21
		.amdhsa_reserve_vcc 1
		.amdhsa_float_round_mode_32 0
		.amdhsa_float_round_mode_16_64 0
		.amdhsa_float_denorm_mode_32 3
		.amdhsa_float_denorm_mode_16_64 3
		.amdhsa_dx10_clamp 1
		.amdhsa_ieee_mode 1
		.amdhsa_fp16_overflow 0
		.amdhsa_workgroup_processor_mode 1
		.amdhsa_memory_ordered 1
		.amdhsa_forward_progress 0
		.amdhsa_shared_vgpr_count 0
		.amdhsa_exception_fp_ieee_invalid_op 0
		.amdhsa_exception_fp_denorm_src 0
		.amdhsa_exception_fp_ieee_div_zero 0
		.amdhsa_exception_fp_ieee_overflow 0
		.amdhsa_exception_fp_ieee_underflow 0
		.amdhsa_exception_fp_ieee_inexact 0
		.amdhsa_exception_int_div_zero 0
	.end_amdhsa_kernel
	.section	.text._ZN12tensorrt_llm7kernels32fusedQKNormRopeKernelNTokenHeadsIN3c108BFloat16EfLi128ELb0ELi8EEEvPviiifPKvS6_S6_PKlii,"axG",@progbits,_ZN12tensorrt_llm7kernels32fusedQKNormRopeKernelNTokenHeadsIN3c108BFloat16EfLi128ELb0ELi8EEEvPviiifPKvS6_S6_PKlii,comdat
.Lfunc_end93:
	.size	_ZN12tensorrt_llm7kernels32fusedQKNormRopeKernelNTokenHeadsIN3c108BFloat16EfLi128ELb0ELi8EEEvPviiifPKvS6_S6_PKlii, .Lfunc_end93-_ZN12tensorrt_llm7kernels32fusedQKNormRopeKernelNTokenHeadsIN3c108BFloat16EfLi128ELb0ELi8EEEvPviiifPKvS6_S6_PKlii
                                        ; -- End function
	.section	.AMDGPU.csdata,"",@progbits
; Kernel info:
; codeLenInByte = 2712
; NumSgprs: 23
; NumVgprs: 45
; ScratchSize: 0
; MemoryBound: 0
; FloatMode: 240
; IeeeMode: 1
; LDSByteSize: 0 bytes/workgroup (compile time only)
; SGPRBlocks: 2
; VGPRBlocks: 5
; NumSGPRsForWavesPerEU: 23
; NumVGPRsForWavesPerEU: 45
; Occupancy: 16
; WaveLimiterHint : 0
; COMPUTE_PGM_RSRC2:SCRATCH_EN: 0
; COMPUTE_PGM_RSRC2:USER_SGPR: 15
; COMPUTE_PGM_RSRC2:TRAP_HANDLER: 0
; COMPUTE_PGM_RSRC2:TGID_X_EN: 1
; COMPUTE_PGM_RSRC2:TGID_Y_EN: 0
; COMPUTE_PGM_RSRC2:TGID_Z_EN: 0
; COMPUTE_PGM_RSRC2:TIDIG_COMP_CNT: 0
	.section	.text._ZN12tensorrt_llm7kernels32fusedQKNormRopeKernelNTokenHeadsIN3c108BFloat16EfLi256ELb1ELi8EEEvPviiifPKvS6_S6_PKlii,"axG",@progbits,_ZN12tensorrt_llm7kernels32fusedQKNormRopeKernelNTokenHeadsIN3c108BFloat16EfLi256ELb1ELi8EEEvPviiifPKvS6_S6_PKlii,comdat
	.protected	_ZN12tensorrt_llm7kernels32fusedQKNormRopeKernelNTokenHeadsIN3c108BFloat16EfLi256ELb1ELi8EEEvPviiifPKvS6_S6_PKlii ; -- Begin function _ZN12tensorrt_llm7kernels32fusedQKNormRopeKernelNTokenHeadsIN3c108BFloat16EfLi256ELb1ELi8EEEvPviiifPKvS6_S6_PKlii
	.globl	_ZN12tensorrt_llm7kernels32fusedQKNormRopeKernelNTokenHeadsIN3c108BFloat16EfLi256ELb1ELi8EEEvPviiifPKvS6_S6_PKlii
	.p2align	8
	.type	_ZN12tensorrt_llm7kernels32fusedQKNormRopeKernelNTokenHeadsIN3c108BFloat16EfLi256ELb1ELi8EEEvPviiifPKvS6_S6_PKlii,@function
_ZN12tensorrt_llm7kernels32fusedQKNormRopeKernelNTokenHeadsIN3c108BFloat16EfLi256ELb1ELi8EEEvPviiifPKvS6_S6_PKlii: ; @_ZN12tensorrt_llm7kernels32fusedQKNormRopeKernelNTokenHeadsIN3c108BFloat16EfLi256ELb1ELi8EEEvPviiifPKvS6_S6_PKlii
; %bb.0:
	s_clause 0x1
	s_load_b128 s[16:19], s[0:1], 0x8
	s_load_b64 s[2:3], s[0:1], 0x38
	v_lshrrev_b32_e32 v2, 5, v0
	s_waitcnt lgkmcnt(0)
	s_add_i32 s4, s17, s16
	s_delay_alu instid0(SALU_CYCLE_1) | instskip(NEXT) | instid1(SALU_CYCLE_1)
	s_add_i32 s5, s4, 7
	s_ashr_i32 s6, s5, 31
	s_delay_alu instid0(SALU_CYCLE_1) | instskip(NEXT) | instid1(SALU_CYCLE_1)
	s_lshr_b32 s6, s6, 29
	s_add_i32 s5, s5, s6
	s_delay_alu instid0(SALU_CYCLE_1) | instskip(SKIP_2) | instid1(SALU_CYCLE_1)
	s_ashr_i32 s14, s5, 3
	s_load_b32 s5, s[0:1], 0x4c
	s_abs_i32 s6, s14
	v_cvt_f32_u32_e32 v1, s6
	s_sub_i32 s7, 0, s6
	s_delay_alu instid0(VALU_DEP_1) | instskip(SKIP_4) | instid1(SALU_CYCLE_1)
	v_rcp_iflag_f32_e32 v1, v1
	s_waitcnt_depctr 0xfff
	v_mul_f32_e32 v1, 0x4f7ffffe, v1
	s_waitcnt lgkmcnt(0)
	s_bfe_u32 s5, s5, 0xb0005
	v_mad_u64_u32 v[3:4], null, s15, s5, v[2:3]
	s_delay_alu instid0(VALU_DEP_2) | instskip(NEXT) | instid1(VALU_DEP_1)
	v_cvt_u32_f32_e32 v1, v1
	v_mul_lo_u32 v5, s7, v1
	s_delay_alu instid0(VALU_DEP_1) | instskip(NEXT) | instid1(VALU_DEP_4)
	v_mul_hi_u32 v4, v1, v5
	v_sub_nc_u32_e32 v5, 0, v3
	s_delay_alu instid0(VALU_DEP_1) | instskip(NEXT) | instid1(VALU_DEP_3)
	v_max_i32_e32 v5, v3, v5
	v_add_nc_u32_e32 v1, v1, v4
	s_delay_alu instid0(VALU_DEP_1) | instskip(NEXT) | instid1(VALU_DEP_1)
	v_mul_hi_u32 v1, v5, v1
	v_mul_lo_u32 v4, v1, s6
	s_delay_alu instid0(VALU_DEP_1) | instskip(SKIP_1) | instid1(VALU_DEP_2)
	v_sub_nc_u32_e32 v4, v5, v4
	v_add_nc_u32_e32 v5, 1, v1
	v_subrev_nc_u32_e32 v6, s6, v4
	v_cmp_le_u32_e32 vcc_lo, s6, v4
	s_delay_alu instid0(VALU_DEP_2) | instskip(SKIP_1) | instid1(VALU_DEP_2)
	v_dual_cndmask_b32 v4, v4, v6 :: v_dual_cndmask_b32 v1, v1, v5
	v_xor_b32_e32 v5, s14, v3
	v_cmp_le_u32_e32 vcc_lo, s6, v4
	s_delay_alu instid0(VALU_DEP_3) | instskip(NEXT) | instid1(VALU_DEP_3)
	v_add_nc_u32_e32 v6, 1, v1
	v_ashrrev_i32_e32 v5, 31, v5
	s_delay_alu instid0(VALU_DEP_2) | instskip(NEXT) | instid1(VALU_DEP_1)
	v_cndmask_b32_e32 v1, v1, v6, vcc_lo
	v_xor_b32_e32 v1, v1, v5
	s_delay_alu instid0(VALU_DEP_1) | instskip(NEXT) | instid1(VALU_DEP_1)
	v_sub_nc_u32_e32 v1, v1, v5
	v_cmp_gt_i32_e32 vcc_lo, s2, v1
	s_and_saveexec_b32 s2, vcc_lo
	s_cbranch_execz .LBB94_44
; %bb.1:
	v_mul_lo_u32 v4, v1, s14
	s_load_b64 s[12:13], s[0:1], 0x0
	v_and_b32_e32 v6, 31, v0
	v_lshlrev_b32_e32 v16, 12, v2
	v_lshlrev_b32_e32 v7, 11, v3
	s_lshl_b32 s20, s3, 2
	s_delay_alu instid0(SALU_CYCLE_1) | instskip(NEXT) | instid1(VALU_DEP_4)
	s_mul_i32 s15, s20, s5
	v_sub_nc_u32_e32 v4, v3, v4
	s_delay_alu instid0(VALU_DEP_1) | instskip(NEXT) | instid1(VALU_DEP_1)
	v_lshlrev_b32_e32 v18, 3, v4
	v_add_nc_u32_e32 v4, 8, v18
	v_sub_nc_u32_e32 v5, s4, v18
	s_delay_alu instid0(VALU_DEP_2) | instskip(NEXT) | instid1(VALU_DEP_2)
	v_cmp_lt_i32_e32 vcc_lo, s4, v4
	v_cndmask_b32_e32 v19, 8, v5, vcc_lo
	v_lshlrev_b32_e32 v5, 4, v6
	s_delay_alu instid0(VALU_DEP_2)
	v_cmp_lt_i32_e32 vcc_lo, 0, v19
	s_and_saveexec_b32 s4, vcc_lo
	s_cbranch_execz .LBB94_4
; %bb.2:
	s_add_i32 s2, s18, s17
	s_lshl_b32 s5, s14, 3
	s_add_i32 s2, s2, s16
	s_mov_b32 s6, 0
	s_sub_i32 s2, s2, s5
	s_mov_b32 s5, 0
	v_mul_lo_u32 v3, s2, v1
	s_add_i32 s2, s15, 0
	s_delay_alu instid0(SALU_CYCLE_1) | instskip(NEXT) | instid1(VALU_DEP_2)
	v_add3_u32 v8, s2, v16, v5
	v_lshl_add_u32 v3, v3, 8, v7
	s_delay_alu instid0(VALU_DEP_1)
	v_lshl_or_b32 v3, v6, 3, v3
	.p2align	6
.LBB94_3:                               ; =>This Inner Loop Header: Depth=1
	s_delay_alu instid0(VALU_DEP_1) | instskip(SKIP_1) | instid1(VALU_DEP_1)
	v_ashrrev_i32_e32 v4, 31, v3
	s_add_i32 s6, s6, 1
	v_lshlrev_b64 v[9:10], 1, v[3:4]
	v_add_nc_u32_e32 v3, 0x100, v3
	s_waitcnt lgkmcnt(0)
	s_delay_alu instid0(VALU_DEP_2) | instskip(NEXT) | instid1(VALU_DEP_1)
	v_add_co_u32 v9, s2, s12, v9
	v_add_co_ci_u32_e64 v10, s2, s13, v10, s2
	v_cmp_ge_i32_e64 s2, s6, v19
	global_load_b128 v[9:12], v[9:10], off
	s_or_b32 s5, s2, s5
	s_waitcnt vmcnt(0)
	ds_store_b128 v8, v[9:12]
	v_add_nc_u32_e32 v8, 0x200, v8
	s_and_not1_b32 exec_lo, exec_lo, s5
	s_cbranch_execnz .LBB94_3
.LBB94_4:
	s_or_b32 exec_lo, exec_lo, s4
	s_load_b256 s[4:11], s[0:1], 0x18
	v_mul_lo_u32 v2, v2, s3
	s_add_i32 s0, s20, 15
	s_mov_b32 s20, exec_lo
	s_ashr_i32 s1, s0, 31
	s_delay_alu instid0(SALU_CYCLE_1) | instskip(NEXT) | instid1(SALU_CYCLE_1)
	s_lshr_b32 s1, s1, 28
	s_add_i32 s0, s0, s1
	s_delay_alu instid0(VALU_DEP_1) | instskip(SKIP_1) | instid1(SALU_CYCLE_1)
	v_lshlrev_b32_e32 v4, 2, v2
	s_ashr_i32 s2, s0, 4
	v_cmpx_gt_i32_e64 s2, v6
	s_cbranch_execz .LBB94_7
; %bb.5:
	v_ashrrev_i32_e32 v2, 31, v1
	v_and_b32_e32 v0, 31, v0
	s_delay_alu instid0(VALU_DEP_2) | instskip(NEXT) | instid1(VALU_DEP_2)
	v_lshlrev_b64 v[2:3], 3, v[1:2]
	v_lshlrev_b32_e32 v0, 4, v0
	s_waitcnt lgkmcnt(0)
	s_delay_alu instid0(VALU_DEP_2) | instskip(NEXT) | instid1(VALU_DEP_1)
	v_add_co_u32 v2, s0, s10, v2
	v_add_co_ci_u32_e64 v3, s0, s11, v3, s0
	s_ashr_i32 s0, s3, 31
	global_load_b64 v[2:3], v[2:3], off
	s_waitcnt vmcnt(0)
	v_mul_lo_u32 v3, v3, s3
	v_mul_lo_u32 v10, v2, s0
	v_mad_u64_u32 v[8:9], null, v2, s3, 0
	s_delay_alu instid0(VALU_DEP_1) | instskip(NEXT) | instid1(VALU_DEP_1)
	v_add3_u32 v9, v9, v10, v3
	v_lshlrev_b64 v[2:3], 2, v[8:9]
	v_mov_b32_e32 v8, v6
	s_delay_alu instid0(VALU_DEP_2) | instskip(NEXT) | instid1(VALU_DEP_1)
	v_add_co_u32 v2, s0, v2, v0
	v_add_co_ci_u32_e64 v3, s0, 0, v3, s0
	v_add3_u32 v0, v4, v5, 0
	s_delay_alu instid0(VALU_DEP_3) | instskip(NEXT) | instid1(VALU_DEP_1)
	v_add_co_u32 v2, s0, s8, v2
	v_add_co_ci_u32_e64 v3, s0, s9, v3, s0
	s_mov_b32 s8, 0
	.p2align	6
.LBB94_6:                               ; =>This Inner Loop Header: Depth=1
	global_load_b128 v[9:12], v[2:3], off
	v_add_nc_u32_e32 v8, 32, v8
	v_add_co_u32 v2, s0, 0x200, v2
	s_delay_alu instid0(VALU_DEP_1) | instskip(NEXT) | instid1(VALU_DEP_3)
	v_add_co_ci_u32_e64 v3, s0, 0, v3, s0
	v_cmp_le_i32_e64 s1, s2, v8
	s_delay_alu instid0(VALU_DEP_1)
	s_or_b32 s8, s1, s8
	s_waitcnt vmcnt(0)
	ds_store_b128 v0, v[9:12]
	v_add_nc_u32_e32 v0, 0x200, v0
	s_and_not1_b32 exec_lo, exec_lo, s8
	s_cbranch_execnz .LBB94_6
.LBB94_7:
	s_or_b32 exec_lo, exec_lo, s20
	s_delay_alu instid0(SALU_CYCLE_1)
	s_and_b32 exec_lo, exec_lo, vcc_lo
	s_cbranch_execz .LBB94_44
; %bb.8:
	s_waitcnt lgkmcnt(0)
	s_clause 0x1
	global_load_b128 v[8:11], v5, s[4:5]
	global_load_b128 v[12:15], v5, s[6:7]
	v_mbcnt_lo_u32_b32 v0, -1, 0
	s_lshr_b32 s0, s3, 31
	v_add3_u32 v20, 0, v4, v5
	s_add_i32 s0, s3, s0
	v_add_nc_u32_e32 v2, s15, v16
	v_xor_b32_e32 v3, 16, v0
	s_lshl_b32 s0, s0, 1
	v_xor_b32_e32 v4, 8, v0
	s_and_b32 s0, s0, -4
	v_xor_b32_e32 v16, 4, v0
	v_add_nc_u32_e32 v21, s0, v20
	v_cmp_gt_i32_e64 s0, 32, v3
	v_xor_b32_e32 v17, 2, v0
	s_add_i32 s2, s18, s17
	s_lshl_b32 s4, s14, 3
	s_add_i32 s2, s2, s16
	v_cndmask_b32_e64 v3, v0, v3, s0
	v_cmp_gt_i32_e64 s0, 32, v4
	s_sub_i32 s2, s2, s4
	v_xor_b32_e32 v22, 1, v0
	v_mul_lo_u32 v1, s2, v1
	s_ashr_i32 s1, s3, 31
	v_cndmask_b32_e64 v4, v0, v4, s0
	v_cmp_gt_i32_e64 s0, 32, v16
	s_lshr_b32 s1, s1, 29
	v_add3_u32 v35, v2, v5, 0
	s_add_i32 s1, s3, s1
	v_lshlrev_b32_e32 v23, 2, v4
	v_cndmask_b32_e64 v16, v0, v16, s0
	v_cmp_gt_i32_e64 s0, 32, v17
	v_lshl_add_u32 v1, v1, 8, v7
	s_ashr_i32 s1, s1, 3
	s_mov_b32 s2, 0
	v_cmp_gt_i32_e32 vcc_lo, s1, v6
	v_cndmask_b32_e64 v17, v0, v17, s0
	v_cmp_gt_i32_e64 s0, 32, v22
	v_lshlrev_b32_e32 v24, 2, v16
	v_lshl_or_b32 v16, v6, 3, v1
	s_mov_b32 s3, 0
	v_lshlrev_b32_e32 v25, 2, v17
	v_cndmask_b32_e64 v0, v0, v22, s0
	v_lshlrev_b32_e32 v22, 2, v3
	s_delay_alu instid0(VALU_DEP_2)
	v_lshlrev_b32_e32 v26, 2, v0
	s_waitcnt vmcnt(1)
	v_lshrrev_b32_e32 v27, 16, v8
	v_lshrrev_b32_e32 v28, 16, v9
	;; [unrolled: 1-line block ×4, first 2 shown]
	s_waitcnt vmcnt(0)
	v_lshrrev_b32_e32 v31, 16, v12
	v_lshrrev_b32_e32 v32, 16, v13
	;; [unrolled: 1-line block ×4, first 2 shown]
	s_branch .LBB94_10
.LBB94_9:                               ;   in Loop: Header=BB94_10 Depth=1
	s_or_b32 exec_lo, exec_lo, s1
	v_ashrrev_i32_e32 v17, 31, v16
	s_add_i32 s3, s3, 1
	v_perm_b32 v3, v43, v42, 0x7060302
	v_cmp_ge_i32_e64 s0, s3, v19
	v_perm_b32 v2, v41, v40, 0x7060302
	v_lshlrev_b64 v[4:5], 1, v[16:17]
	v_perm_b32 v1, v39, v38, 0x7060302
	v_perm_b32 v0, v37, v36, 0x7060302
	v_add_nc_u32_e32 v16, 0x100, v16
	v_add_nc_u32_e32 v35, 0x200, v35
	s_or_b32 s2, s0, s2
	v_add_co_u32 v4, s1, s12, v4
	s_delay_alu instid0(VALU_DEP_1)
	v_add_co_ci_u32_e64 v5, s1, s13, v5, s1
	global_store_b128 v[4:5], v[0:3], off
	s_and_not1_b32 exec_lo, exec_lo, s2
	s_cbranch_execz .LBB94_44
.LBB94_10:                              ; =>This Inner Loop Header: Depth=1
	ds_load_b128 v[0:3], v35
	s_waitcnt lgkmcnt(0)
	v_lshlrev_b32_e32 v6, 16, v1
	v_and_b32_e32 v4, 0xffff0000, v0
	v_and_b32_e32 v7, 0xffff0000, v1
	v_lshlrev_b32_e32 v0, 16, v0
	v_lshlrev_b32_e32 v17, 16, v2
	s_delay_alu instid0(VALU_DEP_4) | instskip(SKIP_3) | instid1(VALU_DEP_4)
	v_dual_mul_f32 v5, v4, v4 :: v_dual_and_b32 v36, 0xffff0000, v2
	v_lshlrev_b32_e32 v37, 16, v3
	v_and_b32_e32 v38, 0xffff0000, v3
	v_add_nc_u32_e32 v3, s3, v18
	v_fmac_f32_e32 v5, v0, v0
	s_delay_alu instid0(VALU_DEP_2) | instskip(NEXT) | instid1(VALU_DEP_2)
	v_cmp_gt_i32_e64 s1, s16, v3
	v_fmac_f32_e32 v5, v6, v6
	s_delay_alu instid0(VALU_DEP_2) | instskip(SKIP_1) | instid1(VALU_DEP_3)
	v_cndmask_b32_e64 v40, v14, v10, s1
	v_cndmask_b32_e64 v42, v15, v11, s1
	v_fmac_f32_e32 v5, v7, v7
	v_cndmask_b32_e64 v3, v31, v27, s1
	v_cndmask_b32_e64 v39, v32, v28, s1
	;; [unrolled: 1-line block ×4, first 2 shown]
	v_dual_fmac_f32 v5, v17, v17 :: v_dual_lshlrev_b32 v40, 16, v40
	s_delay_alu instid0(VALU_DEP_4) | instskip(NEXT) | instid1(VALU_DEP_4)
	v_lshlrev_b32_e32 v39, 16, v39
	v_lshlrev_b32_e32 v41, 16, v41
	s_delay_alu instid0(VALU_DEP_3) | instskip(NEXT) | instid1(VALU_DEP_1)
	v_dual_fmac_f32 v5, v36, v36 :: v_dual_lshlrev_b32 v42, 16, v42
	v_fmac_f32_e32 v5, v37, v37
	s_delay_alu instid0(VALU_DEP_1)
	v_fmac_f32_e32 v5, v38, v38
	ds_bpermute_b32 v1, v22, v5
	s_waitcnt lgkmcnt(0)
	v_add_f32_e32 v1, v5, v1
	v_cndmask_b32_e64 v5, v13, v9, s1
	ds_bpermute_b32 v2, v23, v1
	v_lshlrev_b32_e32 v5, 16, v5
	s_waitcnt lgkmcnt(0)
	v_add_f32_e32 v1, v1, v2
	ds_bpermute_b32 v2, v24, v1
	s_waitcnt lgkmcnt(0)
	v_add_f32_e32 v1, v1, v2
	ds_bpermute_b32 v2, v25, v1
	;; [unrolled: 3-line block ×3, first 2 shown]
	s_waitcnt lgkmcnt(0)
	v_add_f32_e32 v1, v1, v2
	s_delay_alu instid0(VALU_DEP_1) | instskip(NEXT) | instid1(VALU_DEP_1)
	v_fma_f32 v1, 0x3b800000, v1, s19
	v_mul_f32_e32 v2, 0x4b800000, v1
	v_cmp_gt_f32_e64 s0, 0x800000, v1
	s_delay_alu instid0(VALU_DEP_1) | instskip(SKIP_1) | instid1(VALU_DEP_2)
	v_cndmask_b32_e64 v1, v1, v2, s0
	v_cndmask_b32_e64 v2, v12, v8, s1
	v_rsq_f32_e32 v1, v1
	s_waitcnt_depctr 0xfff
	v_dual_mul_f32 v43, 0x45800000, v1 :: v_dual_lshlrev_b32 v2, 16, v2
	s_delay_alu instid0(VALU_DEP_1) | instskip(NEXT) | instid1(VALU_DEP_1)
	v_cndmask_b32_e64 v1, v1, v43, s0
	v_dual_mul_f32 v42, v1, v42 :: v_dual_lshlrev_b32 v43, 16, v44
	s_delay_alu instid0(VALU_DEP_3)
	v_mul_f32_e32 v2, v1, v2
	v_mul_f32_e32 v5, v1, v5
	v_lshlrev_b32_e32 v3, 16, v3
	v_mul_f32_e32 v39, v1, v39
	v_mul_f32_e32 v40, v1, v40
	;; [unrolled: 1-line block ×3, first 2 shown]
	v_dual_mul_f32 v43, v1, v43 :: v_dual_mul_f32 v0, v2, v0
	v_mul_f32_e32 v2, v5, v6
	v_mul_f32_e32 v3, v1, v3
	s_delay_alu instid0(VALU_DEP_4) | instskip(NEXT) | instid1(VALU_DEP_2)
	v_dual_mul_f32 v5, v41, v36 :: v_dual_mul_f32 v6, v42, v37
	v_mul_f32_e32 v1, v3, v4
	v_dual_mul_f32 v3, v39, v7 :: v_dual_mul_f32 v4, v40, v17
	v_mul_f32_e32 v7, v43, v38
	s_and_saveexec_b32 s0, vcc_lo
	s_cbranch_execz .LBB94_12
; %bb.11:                               ;   in Loop: Header=BB94_10 Depth=1
	ds_load_2addr_b32 v[37:38], v21 offset1:1
	ds_load_2addr_b32 v[41:42], v21 offset0:2 offset1:3
	ds_load_2addr_b32 v[44:45], v20 offset1:1
	ds_load_2addr_b32 v[46:47], v20 offset0:2 offset1:3
	s_waitcnt lgkmcnt(3)
	v_dual_mul_f32 v17, v1, v37 :: v_dual_mul_f32 v40, v3, v38
	v_mul_f32_e32 v37, v0, v37
	s_waitcnt lgkmcnt(2)
	v_dual_mul_f32 v39, v2, v38 :: v_dual_mul_f32 v48, v5, v41
	v_mul_f32_e32 v41, v4, v41
	v_mul_f32_e32 v43, v6, v42
	s_waitcnt lgkmcnt(1)
	v_fma_f32 v36, v0, v44, -v17
	v_fmac_f32_e32 v37, v1, v44
	v_fma_f32 v38, v2, v45, -v40
	v_fmac_f32_e32 v39, v3, v45
	s_waitcnt lgkmcnt(0)
	v_fma_f32 v40, v4, v46, -v48
	v_fmac_f32_e32 v41, v5, v46
	v_fmac_f32_e32 v43, v7, v47
	v_mul_f32_e32 v49, v7, v42
	s_delay_alu instid0(VALU_DEP_1) | instskip(SKIP_3) | instid1(VALU_DEP_4)
	v_fma_f32 v42, v6, v47, -v49
	v_dual_mov_b32 v0, v36 :: v_dual_mov_b32 v1, v37
	v_dual_mov_b32 v2, v38 :: v_dual_mov_b32 v3, v39
	v_dual_mov_b32 v4, v40 :: v_dual_mov_b32 v5, v41
	v_dual_mov_b32 v6, v42 :: v_dual_mov_b32 v7, v43
.LBB94_12:                              ;   in Loop: Header=BB94_10 Depth=1
	s_or_b32 exec_lo, exec_lo, s0
	v_and_b32_e32 v17, 0x7f800000, v0
                                        ; implicit-def: $vgpr36
	s_delay_alu instid0(VALU_DEP_1) | instskip(NEXT) | instid1(VALU_DEP_1)
	v_cmp_ne_u32_e64 s0, 0x7f800000, v17
	s_and_saveexec_b32 s1, s0
	s_delay_alu instid0(SALU_CYCLE_1)
	s_xor_b32 s0, exec_lo, s1
; %bb.13:                               ;   in Loop: Header=BB94_10 Depth=1
	v_bfe_u32 v17, v0, 16, 1
	s_delay_alu instid0(VALU_DEP_1)
	v_add3_u32 v36, v0, v17, 0x7fff
; %bb.14:                               ;   in Loop: Header=BB94_10 Depth=1
	s_and_not1_saveexec_b32 s1, s0
; %bb.15:                               ;   in Loop: Header=BB94_10 Depth=1
	v_and_b32_e32 v17, 0xffff, v0
	v_or_b32_e32 v36, 0x10000, v0
	s_delay_alu instid0(VALU_DEP_2) | instskip(NEXT) | instid1(VALU_DEP_1)
	v_cmp_eq_u32_e64 s0, 0, v17
	v_cndmask_b32_e64 v36, v36, v0, s0
; %bb.16:                               ;   in Loop: Header=BB94_10 Depth=1
	s_or_b32 exec_lo, exec_lo, s1
	v_and_b32_e32 v0, 0x7f800000, v1
                                        ; implicit-def: $vgpr37
	s_delay_alu instid0(VALU_DEP_1) | instskip(NEXT) | instid1(VALU_DEP_1)
	v_cmp_ne_u32_e64 s0, 0x7f800000, v0
	s_and_saveexec_b32 s1, s0
	s_delay_alu instid0(SALU_CYCLE_1)
	s_xor_b32 s0, exec_lo, s1
; %bb.17:                               ;   in Loop: Header=BB94_10 Depth=1
	v_bfe_u32 v0, v1, 16, 1
	s_delay_alu instid0(VALU_DEP_1)
	v_add3_u32 v37, v1, v0, 0x7fff
; %bb.18:                               ;   in Loop: Header=BB94_10 Depth=1
	s_and_not1_saveexec_b32 s1, s0
; %bb.19:                               ;   in Loop: Header=BB94_10 Depth=1
	v_and_b32_e32 v0, 0xffff, v1
	v_or_b32_e32 v17, 0x10000, v1
	s_delay_alu instid0(VALU_DEP_2) | instskip(NEXT) | instid1(VALU_DEP_1)
	v_cmp_eq_u32_e64 s0, 0, v0
	v_cndmask_b32_e64 v37, v17, v1, s0
; %bb.20:                               ;   in Loop: Header=BB94_10 Depth=1
	s_or_b32 exec_lo, exec_lo, s1
	v_and_b32_e32 v0, 0x7f800000, v2
                                        ; implicit-def: $vgpr38
	s_delay_alu instid0(VALU_DEP_1) | instskip(NEXT) | instid1(VALU_DEP_1)
	v_cmp_ne_u32_e64 s0, 0x7f800000, v0
	s_and_saveexec_b32 s1, s0
	s_delay_alu instid0(SALU_CYCLE_1)
	s_xor_b32 s0, exec_lo, s1
; %bb.21:                               ;   in Loop: Header=BB94_10 Depth=1
	v_bfe_u32 v0, v2, 16, 1
	s_delay_alu instid0(VALU_DEP_1)
	v_add3_u32 v38, v2, v0, 0x7fff
; %bb.22:                               ;   in Loop: Header=BB94_10 Depth=1
	s_and_not1_saveexec_b32 s1, s0
; %bb.23:                               ;   in Loop: Header=BB94_10 Depth=1
	v_and_b32_e32 v0, 0xffff, v2
	v_or_b32_e32 v1, 0x10000, v2
	s_delay_alu instid0(VALU_DEP_2) | instskip(NEXT) | instid1(VALU_DEP_1)
	v_cmp_eq_u32_e64 s0, 0, v0
	v_cndmask_b32_e64 v38, v1, v2, s0
; %bb.24:                               ;   in Loop: Header=BB94_10 Depth=1
	s_or_b32 exec_lo, exec_lo, s1
	v_and_b32_e32 v0, 0x7f800000, v3
                                        ; implicit-def: $vgpr39
	s_delay_alu instid0(VALU_DEP_1) | instskip(NEXT) | instid1(VALU_DEP_1)
	v_cmp_ne_u32_e64 s0, 0x7f800000, v0
	s_and_saveexec_b32 s1, s0
	s_delay_alu instid0(SALU_CYCLE_1)
	s_xor_b32 s0, exec_lo, s1
; %bb.25:                               ;   in Loop: Header=BB94_10 Depth=1
	v_bfe_u32 v0, v3, 16, 1
	s_delay_alu instid0(VALU_DEP_1)
	v_add3_u32 v39, v3, v0, 0x7fff
; %bb.26:                               ;   in Loop: Header=BB94_10 Depth=1
	s_and_not1_saveexec_b32 s1, s0
; %bb.27:                               ;   in Loop: Header=BB94_10 Depth=1
	v_and_b32_e32 v0, 0xffff, v3
	v_or_b32_e32 v1, 0x10000, v3
	s_delay_alu instid0(VALU_DEP_2) | instskip(NEXT) | instid1(VALU_DEP_1)
	v_cmp_eq_u32_e64 s0, 0, v0
	v_cndmask_b32_e64 v39, v1, v3, s0
; %bb.28:                               ;   in Loop: Header=BB94_10 Depth=1
	s_or_b32 exec_lo, exec_lo, s1
	v_and_b32_e32 v0, 0x7f800000, v4
                                        ; implicit-def: $vgpr40
	s_delay_alu instid0(VALU_DEP_1) | instskip(NEXT) | instid1(VALU_DEP_1)
	v_cmp_ne_u32_e64 s0, 0x7f800000, v0
	s_and_saveexec_b32 s1, s0
	s_delay_alu instid0(SALU_CYCLE_1)
	s_xor_b32 s0, exec_lo, s1
; %bb.29:                               ;   in Loop: Header=BB94_10 Depth=1
	v_bfe_u32 v0, v4, 16, 1
	s_delay_alu instid0(VALU_DEP_1)
	v_add3_u32 v40, v4, v0, 0x7fff
; %bb.30:                               ;   in Loop: Header=BB94_10 Depth=1
	s_and_not1_saveexec_b32 s1, s0
; %bb.31:                               ;   in Loop: Header=BB94_10 Depth=1
	v_and_b32_e32 v0, 0xffff, v4
	v_or_b32_e32 v1, 0x10000, v4
	s_delay_alu instid0(VALU_DEP_2) | instskip(NEXT) | instid1(VALU_DEP_1)
	v_cmp_eq_u32_e64 s0, 0, v0
	v_cndmask_b32_e64 v40, v1, v4, s0
; %bb.32:                               ;   in Loop: Header=BB94_10 Depth=1
	s_or_b32 exec_lo, exec_lo, s1
	v_and_b32_e32 v0, 0x7f800000, v5
                                        ; implicit-def: $vgpr41
	s_delay_alu instid0(VALU_DEP_1) | instskip(NEXT) | instid1(VALU_DEP_1)
	v_cmp_ne_u32_e64 s0, 0x7f800000, v0
	s_and_saveexec_b32 s1, s0
	s_delay_alu instid0(SALU_CYCLE_1)
	s_xor_b32 s0, exec_lo, s1
; %bb.33:                               ;   in Loop: Header=BB94_10 Depth=1
	v_bfe_u32 v0, v5, 16, 1
	s_delay_alu instid0(VALU_DEP_1)
	v_add3_u32 v41, v5, v0, 0x7fff
; %bb.34:                               ;   in Loop: Header=BB94_10 Depth=1
	s_and_not1_saveexec_b32 s1, s0
; %bb.35:                               ;   in Loop: Header=BB94_10 Depth=1
	v_and_b32_e32 v0, 0xffff, v5
	v_or_b32_e32 v1, 0x10000, v5
	s_delay_alu instid0(VALU_DEP_2) | instskip(NEXT) | instid1(VALU_DEP_1)
	v_cmp_eq_u32_e64 s0, 0, v0
	v_cndmask_b32_e64 v41, v1, v5, s0
; %bb.36:                               ;   in Loop: Header=BB94_10 Depth=1
	s_or_b32 exec_lo, exec_lo, s1
	v_and_b32_e32 v0, 0x7f800000, v6
                                        ; implicit-def: $vgpr42
	s_delay_alu instid0(VALU_DEP_1) | instskip(NEXT) | instid1(VALU_DEP_1)
	v_cmp_ne_u32_e64 s0, 0x7f800000, v0
	s_and_saveexec_b32 s1, s0
	s_delay_alu instid0(SALU_CYCLE_1)
	s_xor_b32 s0, exec_lo, s1
; %bb.37:                               ;   in Loop: Header=BB94_10 Depth=1
	v_bfe_u32 v0, v6, 16, 1
	s_delay_alu instid0(VALU_DEP_1)
	v_add3_u32 v42, v6, v0, 0x7fff
; %bb.38:                               ;   in Loop: Header=BB94_10 Depth=1
	s_and_not1_saveexec_b32 s1, s0
; %bb.39:                               ;   in Loop: Header=BB94_10 Depth=1
	v_and_b32_e32 v0, 0xffff, v6
	v_or_b32_e32 v1, 0x10000, v6
	s_delay_alu instid0(VALU_DEP_2) | instskip(NEXT) | instid1(VALU_DEP_1)
	v_cmp_eq_u32_e64 s0, 0, v0
	v_cndmask_b32_e64 v42, v1, v6, s0
; %bb.40:                               ;   in Loop: Header=BB94_10 Depth=1
	s_or_b32 exec_lo, exec_lo, s1
	v_and_b32_e32 v0, 0x7f800000, v7
                                        ; implicit-def: $vgpr43
	s_delay_alu instid0(VALU_DEP_1) | instskip(NEXT) | instid1(VALU_DEP_1)
	v_cmp_ne_u32_e64 s0, 0x7f800000, v0
	s_and_saveexec_b32 s1, s0
	s_delay_alu instid0(SALU_CYCLE_1)
	s_xor_b32 s0, exec_lo, s1
; %bb.41:                               ;   in Loop: Header=BB94_10 Depth=1
	v_bfe_u32 v0, v7, 16, 1
	s_delay_alu instid0(VALU_DEP_1)
	v_add3_u32 v43, v7, v0, 0x7fff
                                        ; implicit-def: $vgpr0_vgpr1_vgpr2_vgpr3_vgpr4_vgpr5_vgpr6_vgpr7
; %bb.42:                               ;   in Loop: Header=BB94_10 Depth=1
	s_and_not1_saveexec_b32 s1, s0
	s_cbranch_execz .LBB94_9
; %bb.43:                               ;   in Loop: Header=BB94_10 Depth=1
	v_and_b32_e32 v0, 0xffff, v7
	v_or_b32_e32 v1, 0x10000, v7
	s_delay_alu instid0(VALU_DEP_2) | instskip(NEXT) | instid1(VALU_DEP_1)
	v_cmp_eq_u32_e64 s0, 0, v0
	v_cndmask_b32_e64 v43, v1, v7, s0
	s_branch .LBB94_9
.LBB94_44:
	s_nop 0
	s_sendmsg sendmsg(MSG_DEALLOC_VGPRS)
	s_endpgm
	.section	.rodata,"a",@progbits
	.p2align	6, 0x0
	.amdhsa_kernel _ZN12tensorrt_llm7kernels32fusedQKNormRopeKernelNTokenHeadsIN3c108BFloat16EfLi256ELb1ELi8EEEvPviiifPKvS6_S6_PKlii
		.amdhsa_group_segment_fixed_size 0
		.amdhsa_private_segment_fixed_size 0
		.amdhsa_kernarg_size 320
		.amdhsa_user_sgpr_count 15
		.amdhsa_user_sgpr_dispatch_ptr 0
		.amdhsa_user_sgpr_queue_ptr 0
		.amdhsa_user_sgpr_kernarg_segment_ptr 1
		.amdhsa_user_sgpr_dispatch_id 0
		.amdhsa_user_sgpr_private_segment_size 0
		.amdhsa_wavefront_size32 1
		.amdhsa_uses_dynamic_stack 0
		.amdhsa_enable_private_segment 0
		.amdhsa_system_sgpr_workgroup_id_x 1
		.amdhsa_system_sgpr_workgroup_id_y 0
		.amdhsa_system_sgpr_workgroup_id_z 0
		.amdhsa_system_sgpr_workgroup_info 0
		.amdhsa_system_vgpr_workitem_id 0
		.amdhsa_next_free_vgpr 50
		.amdhsa_next_free_sgpr 21
		.amdhsa_reserve_vcc 1
		.amdhsa_float_round_mode_32 0
		.amdhsa_float_round_mode_16_64 0
		.amdhsa_float_denorm_mode_32 3
		.amdhsa_float_denorm_mode_16_64 3
		.amdhsa_dx10_clamp 1
		.amdhsa_ieee_mode 1
		.amdhsa_fp16_overflow 0
		.amdhsa_workgroup_processor_mode 1
		.amdhsa_memory_ordered 1
		.amdhsa_forward_progress 0
		.amdhsa_shared_vgpr_count 0
		.amdhsa_exception_fp_ieee_invalid_op 0
		.amdhsa_exception_fp_denorm_src 0
		.amdhsa_exception_fp_ieee_div_zero 0
		.amdhsa_exception_fp_ieee_overflow 0
		.amdhsa_exception_fp_ieee_underflow 0
		.amdhsa_exception_fp_ieee_inexact 0
		.amdhsa_exception_int_div_zero 0
	.end_amdhsa_kernel
	.section	.text._ZN12tensorrt_llm7kernels32fusedQKNormRopeKernelNTokenHeadsIN3c108BFloat16EfLi256ELb1ELi8EEEvPviiifPKvS6_S6_PKlii,"axG",@progbits,_ZN12tensorrt_llm7kernels32fusedQKNormRopeKernelNTokenHeadsIN3c108BFloat16EfLi256ELb1ELi8EEEvPviiifPKvS6_S6_PKlii,comdat
.Lfunc_end94:
	.size	_ZN12tensorrt_llm7kernels32fusedQKNormRopeKernelNTokenHeadsIN3c108BFloat16EfLi256ELb1ELi8EEEvPviiifPKvS6_S6_PKlii, .Lfunc_end94-_ZN12tensorrt_llm7kernels32fusedQKNormRopeKernelNTokenHeadsIN3c108BFloat16EfLi256ELb1ELi8EEEvPviiifPKvS6_S6_PKlii
                                        ; -- End function
	.section	.AMDGPU.csdata,"",@progbits
; Kernel info:
; codeLenInByte = 2776
; NumSgprs: 23
; NumVgprs: 50
; ScratchSize: 0
; MemoryBound: 0
; FloatMode: 240
; IeeeMode: 1
; LDSByteSize: 0 bytes/workgroup (compile time only)
; SGPRBlocks: 2
; VGPRBlocks: 6
; NumSGPRsForWavesPerEU: 23
; NumVGPRsForWavesPerEU: 50
; Occupancy: 16
; WaveLimiterHint : 0
; COMPUTE_PGM_RSRC2:SCRATCH_EN: 0
; COMPUTE_PGM_RSRC2:USER_SGPR: 15
; COMPUTE_PGM_RSRC2:TRAP_HANDLER: 0
; COMPUTE_PGM_RSRC2:TGID_X_EN: 1
; COMPUTE_PGM_RSRC2:TGID_Y_EN: 0
; COMPUTE_PGM_RSRC2:TGID_Z_EN: 0
; COMPUTE_PGM_RSRC2:TIDIG_COMP_CNT: 0
	.section	.text._ZN12tensorrt_llm7kernels32fusedQKNormRopeKernelNTokenHeadsIN3c108BFloat16EfLi256ELb0ELi8EEEvPviiifPKvS6_S6_PKlii,"axG",@progbits,_ZN12tensorrt_llm7kernels32fusedQKNormRopeKernelNTokenHeadsIN3c108BFloat16EfLi256ELb0ELi8EEEvPviiifPKvS6_S6_PKlii,comdat
	.protected	_ZN12tensorrt_llm7kernels32fusedQKNormRopeKernelNTokenHeadsIN3c108BFloat16EfLi256ELb0ELi8EEEvPviiifPKvS6_S6_PKlii ; -- Begin function _ZN12tensorrt_llm7kernels32fusedQKNormRopeKernelNTokenHeadsIN3c108BFloat16EfLi256ELb0ELi8EEEvPviiifPKvS6_S6_PKlii
	.globl	_ZN12tensorrt_llm7kernels32fusedQKNormRopeKernelNTokenHeadsIN3c108BFloat16EfLi256ELb0ELi8EEEvPviiifPKvS6_S6_PKlii
	.p2align	8
	.type	_ZN12tensorrt_llm7kernels32fusedQKNormRopeKernelNTokenHeadsIN3c108BFloat16EfLi256ELb0ELi8EEEvPviiifPKvS6_S6_PKlii,@function
_ZN12tensorrt_llm7kernels32fusedQKNormRopeKernelNTokenHeadsIN3c108BFloat16EfLi256ELb0ELi8EEEvPviiifPKvS6_S6_PKlii: ; @_ZN12tensorrt_llm7kernels32fusedQKNormRopeKernelNTokenHeadsIN3c108BFloat16EfLi256ELb0ELi8EEEvPviiifPKvS6_S6_PKlii
; %bb.0:
	s_clause 0x1
	s_load_b128 s[16:19], s[0:1], 0x8
	s_load_b64 s[2:3], s[0:1], 0x38
	v_lshrrev_b32_e32 v2, 5, v0
	s_waitcnt lgkmcnt(0)
	s_add_i32 s4, s17, s16
	s_delay_alu instid0(SALU_CYCLE_1) | instskip(NEXT) | instid1(SALU_CYCLE_1)
	s_add_i32 s5, s4, 7
	s_ashr_i32 s6, s5, 31
	s_delay_alu instid0(SALU_CYCLE_1) | instskip(NEXT) | instid1(SALU_CYCLE_1)
	s_lshr_b32 s6, s6, 29
	s_add_i32 s5, s5, s6
	s_delay_alu instid0(SALU_CYCLE_1) | instskip(SKIP_2) | instid1(SALU_CYCLE_1)
	s_ashr_i32 s14, s5, 3
	s_load_b32 s5, s[0:1], 0x4c
	s_abs_i32 s6, s14
	v_cvt_f32_u32_e32 v1, s6
	s_sub_i32 s7, 0, s6
	s_delay_alu instid0(VALU_DEP_1) | instskip(SKIP_4) | instid1(SALU_CYCLE_1)
	v_rcp_iflag_f32_e32 v1, v1
	s_waitcnt_depctr 0xfff
	v_mul_f32_e32 v1, 0x4f7ffffe, v1
	s_waitcnt lgkmcnt(0)
	s_bfe_u32 s5, s5, 0xb0005
	v_mad_u64_u32 v[3:4], null, s15, s5, v[2:3]
	s_delay_alu instid0(VALU_DEP_2) | instskip(NEXT) | instid1(VALU_DEP_1)
	v_cvt_u32_f32_e32 v1, v1
	v_mul_lo_u32 v5, s7, v1
	s_delay_alu instid0(VALU_DEP_1) | instskip(NEXT) | instid1(VALU_DEP_4)
	v_mul_hi_u32 v4, v1, v5
	v_sub_nc_u32_e32 v5, 0, v3
	s_delay_alu instid0(VALU_DEP_1) | instskip(NEXT) | instid1(VALU_DEP_3)
	v_max_i32_e32 v5, v3, v5
	v_add_nc_u32_e32 v1, v1, v4
	s_delay_alu instid0(VALU_DEP_1) | instskip(NEXT) | instid1(VALU_DEP_1)
	v_mul_hi_u32 v1, v5, v1
	v_mul_lo_u32 v4, v1, s6
	s_delay_alu instid0(VALU_DEP_1) | instskip(SKIP_1) | instid1(VALU_DEP_2)
	v_sub_nc_u32_e32 v4, v5, v4
	v_add_nc_u32_e32 v5, 1, v1
	v_subrev_nc_u32_e32 v6, s6, v4
	v_cmp_le_u32_e32 vcc_lo, s6, v4
	s_delay_alu instid0(VALU_DEP_2) | instskip(SKIP_1) | instid1(VALU_DEP_2)
	v_dual_cndmask_b32 v4, v4, v6 :: v_dual_cndmask_b32 v1, v1, v5
	v_xor_b32_e32 v5, s14, v3
	v_cmp_le_u32_e32 vcc_lo, s6, v4
	s_delay_alu instid0(VALU_DEP_3) | instskip(NEXT) | instid1(VALU_DEP_3)
	v_add_nc_u32_e32 v6, 1, v1
	v_ashrrev_i32_e32 v5, 31, v5
	s_delay_alu instid0(VALU_DEP_2) | instskip(NEXT) | instid1(VALU_DEP_1)
	v_cndmask_b32_e32 v1, v1, v6, vcc_lo
	v_xor_b32_e32 v1, v1, v5
	s_delay_alu instid0(VALU_DEP_1) | instskip(NEXT) | instid1(VALU_DEP_1)
	v_sub_nc_u32_e32 v1, v1, v5
	v_cmp_gt_i32_e32 vcc_lo, s2, v1
	s_and_saveexec_b32 s2, vcc_lo
	s_cbranch_execz .LBB95_44
; %bb.1:
	v_mul_lo_u32 v4, v1, s14
	s_load_b64 s[12:13], s[0:1], 0x0
	v_and_b32_e32 v6, 31, v0
	v_lshlrev_b32_e32 v16, 12, v2
	v_lshlrev_b32_e32 v7, 11, v3
	s_lshl_b32 s20, s3, 2
	s_delay_alu instid0(SALU_CYCLE_1) | instskip(NEXT) | instid1(VALU_DEP_4)
	s_mul_i32 s15, s20, s5
	v_sub_nc_u32_e32 v4, v3, v4
	s_delay_alu instid0(VALU_DEP_1) | instskip(NEXT) | instid1(VALU_DEP_1)
	v_lshlrev_b32_e32 v18, 3, v4
	v_add_nc_u32_e32 v4, 8, v18
	v_sub_nc_u32_e32 v5, s4, v18
	s_delay_alu instid0(VALU_DEP_2) | instskip(NEXT) | instid1(VALU_DEP_2)
	v_cmp_lt_i32_e32 vcc_lo, s4, v4
	v_cndmask_b32_e32 v19, 8, v5, vcc_lo
	v_lshlrev_b32_e32 v5, 4, v6
	s_delay_alu instid0(VALU_DEP_2)
	v_cmp_lt_i32_e32 vcc_lo, 0, v19
	s_and_saveexec_b32 s4, vcc_lo
	s_cbranch_execz .LBB95_4
; %bb.2:
	s_add_i32 s2, s18, s17
	s_lshl_b32 s5, s14, 3
	s_add_i32 s2, s2, s16
	s_mov_b32 s6, 0
	s_sub_i32 s2, s2, s5
	s_mov_b32 s5, 0
	v_mul_lo_u32 v3, s2, v1
	s_add_i32 s2, s15, 0
	s_delay_alu instid0(SALU_CYCLE_1) | instskip(NEXT) | instid1(VALU_DEP_2)
	v_add3_u32 v8, s2, v16, v5
	v_lshl_add_u32 v3, v3, 8, v7
	s_delay_alu instid0(VALU_DEP_1)
	v_lshl_or_b32 v3, v6, 3, v3
	.p2align	6
.LBB95_3:                               ; =>This Inner Loop Header: Depth=1
	s_delay_alu instid0(VALU_DEP_1) | instskip(SKIP_1) | instid1(VALU_DEP_1)
	v_ashrrev_i32_e32 v4, 31, v3
	s_add_i32 s6, s6, 1
	v_lshlrev_b64 v[9:10], 1, v[3:4]
	v_add_nc_u32_e32 v3, 0x100, v3
	s_waitcnt lgkmcnt(0)
	s_delay_alu instid0(VALU_DEP_2) | instskip(NEXT) | instid1(VALU_DEP_1)
	v_add_co_u32 v9, s2, s12, v9
	v_add_co_ci_u32_e64 v10, s2, s13, v10, s2
	v_cmp_ge_i32_e64 s2, s6, v19
	global_load_b128 v[9:12], v[9:10], off
	s_or_b32 s5, s2, s5
	s_waitcnt vmcnt(0)
	ds_store_b128 v8, v[9:12]
	v_add_nc_u32_e32 v8, 0x200, v8
	s_and_not1_b32 exec_lo, exec_lo, s5
	s_cbranch_execnz .LBB95_3
.LBB95_4:
	s_or_b32 exec_lo, exec_lo, s4
	s_load_b256 s[4:11], s[0:1], 0x18
	s_add_i32 s0, s20, 15
	v_mul_lo_u32 v4, v2, s3
	s_ashr_i32 s1, s0, 31
	s_mov_b32 s20, exec_lo
	s_lshr_b32 s1, s1, 28
	s_delay_alu instid0(SALU_CYCLE_1) | instskip(NEXT) | instid1(SALU_CYCLE_1)
	s_add_i32 s0, s0, s1
	s_ashr_i32 s2, s0, 4
	s_delay_alu instid0(SALU_CYCLE_1)
	v_cmpx_gt_i32_e64 s2, v6
	s_cbranch_execz .LBB95_7
; %bb.5:
	v_ashrrev_i32_e32 v2, 31, v1
	v_and_b32_e32 v0, 31, v0
	s_delay_alu instid0(VALU_DEP_2) | instskip(NEXT) | instid1(VALU_DEP_2)
	v_lshlrev_b64 v[2:3], 3, v[1:2]
	v_lshlrev_b32_e32 v0, 4, v0
	s_waitcnt lgkmcnt(0)
	s_delay_alu instid0(VALU_DEP_2) | instskip(NEXT) | instid1(VALU_DEP_1)
	v_add_co_u32 v2, s0, s10, v2
	v_add_co_ci_u32_e64 v3, s0, s11, v3, s0
	s_ashr_i32 s0, s3, 31
	global_load_b64 v[2:3], v[2:3], off
	s_waitcnt vmcnt(0)
	v_mul_lo_u32 v3, v3, s3
	v_mul_lo_u32 v10, v2, s0
	v_mad_u64_u32 v[8:9], null, v2, s3, 0
	s_delay_alu instid0(VALU_DEP_1) | instskip(NEXT) | instid1(VALU_DEP_1)
	v_add3_u32 v9, v9, v10, v3
	v_lshlrev_b64 v[2:3], 2, v[8:9]
	v_lshlrev_b32_e32 v8, 2, v4
	s_delay_alu instid0(VALU_DEP_2) | instskip(NEXT) | instid1(VALU_DEP_1)
	v_add_co_u32 v2, s0, v2, v0
	v_add_co_ci_u32_e64 v3, s0, 0, v3, s0
	s_delay_alu instid0(VALU_DEP_3) | instskip(NEXT) | instid1(VALU_DEP_3)
	v_add3_u32 v0, v8, v5, 0
	v_add_co_u32 v2, s0, s8, v2
	s_delay_alu instid0(VALU_DEP_1)
	v_add_co_ci_u32_e64 v3, s0, s9, v3, s0
	v_mov_b32_e32 v8, v6
	s_mov_b32 s8, 0
	.p2align	6
.LBB95_6:                               ; =>This Inner Loop Header: Depth=1
	global_load_b128 v[9:12], v[2:3], off
	v_add_nc_u32_e32 v8, 32, v8
	v_add_co_u32 v2, s0, 0x200, v2
	s_delay_alu instid0(VALU_DEP_1) | instskip(NEXT) | instid1(VALU_DEP_3)
	v_add_co_ci_u32_e64 v3, s0, 0, v3, s0
	v_cmp_le_i32_e64 s1, s2, v8
	s_delay_alu instid0(VALU_DEP_1)
	s_or_b32 s8, s1, s8
	s_waitcnt vmcnt(0)
	ds_store_b128 v0, v[9:12]
	v_add_nc_u32_e32 v0, 0x200, v0
	s_and_not1_b32 exec_lo, exec_lo, s8
	s_cbranch_execnz .LBB95_6
.LBB95_7:
	s_or_b32 exec_lo, exec_lo, s20
	s_delay_alu instid0(SALU_CYCLE_1)
	s_and_b32 exec_lo, exec_lo, vcc_lo
	s_cbranch_execz .LBB95_44
; %bb.8:
	s_waitcnt lgkmcnt(0)
	s_clause 0x1
	global_load_b128 v[8:11], v5, s[4:5]
	global_load_b128 v[12:15], v5, s[6:7]
	v_mbcnt_lo_u32_b32 v2, -1, 0
	s_lshr_b32 s0, s3, 31
	s_ashr_i32 s1, s3, 31
	s_abs_i32 s2, s3
	s_add_i32 s0, s3, s0
	s_lshr_b32 s6, s1, 29
	s_lshr_b32 s1, s1, 28
	v_lshl_add_u32 v0, v4, 2, 0
	v_add_nc_u32_e32 v50, s15, v16
	v_cvt_f32_u32_e32 v16, s2
	v_xor_b32_e32 v20, 16, v2
	s_lshl_b32 s0, s0, 1
	s_add_i32 s1, s3, s1
	s_and_b32 s0, s0, -4
	s_ashr_i32 s1, s1, 4
	v_rcp_iflag_f32_e32 v16, v16
	v_xor_b32_e32 v21, 8, v2
	v_add_nc_u32_e32 v41, s0, v0
	v_xor_b32_e32 v25, s1, v2
	v_cmp_gt_i32_e64 s0, s1, v6
	v_cmp_gt_i32_e64 s1, 32, v20
	v_xor_b32_e32 v22, 4, v2
	s_sub_i32 s7, 0, s2
	v_xor_b32_e32 v23, 2, v2
	s_add_i32 s4, s18, s17
	v_cndmask_b32_e64 v20, v2, v20, s1
	v_cmp_gt_i32_e64 s1, 32, v21
	s_lshl_b32 s5, s14, 3
	s_add_i32 s4, s4, s16
	s_add_i32 s6, s3, s6
	s_sub_i32 s3, s4, s5
	v_cndmask_b32_e64 v21, v2, v21, s1
	v_mul_f32_e32 v16, 0x4f7ffffe, v16
	v_cmp_gt_i32_e64 s1, 32, v22
	v_xor_b32_e32 v24, 1, v2
	v_mul_lo_u32 v1, s3, v1
	v_lshlrev_b32_e32 v21, 2, v21
	v_cvt_u32_f32_e32 v16, v16
	v_cndmask_b32_e64 v22, v2, v22, s1
	v_cmp_gt_i32_e64 s1, 32, v23
	v_or_b32_e32 v3, 2, v5
	v_or_b32_e32 v4, 4, v5
	v_mul_lo_u32 v30, s7, v16
	v_lshl_add_u32 v1, v1, 8, v7
	v_cndmask_b32_e64 v23, v2, v23, s1
	v_cmp_gt_i32_e64 s1, 32, v24
	v_or_b32_e32 v17, 6, v5
	v_or_b32_e32 v27, 10, v5
	s_ashr_i32 s4, s6, 3
	v_or_b32_e32 v26, 8, v5
	v_mul_hi_u32 v30, v16, v30
	v_cndmask_b32_e64 v24, v2, v24, s1
	v_cmp_gt_i32_e64 s1, 32, v25
	v_or_b32_e32 v28, 12, v5
	v_cmp_gt_i32_e32 vcc_lo, s4, v6
	v_or_b32_e32 v29, 14, v5
	v_lshlrev_b32_e32 v20, 2, v20
	v_cndmask_b32_e64 v2, v2, v25, s1
	v_add_nc_u32_e32 v7, v16, v30
	v_lshl_or_b32 v16, v6, 3, v1
	v_lshlrev_b32_e32 v22, 2, v22
	v_lshlrev_b32_e32 v23, 2, v23
	;; [unrolled: 1-line block ×3, first 2 shown]
	v_mul_hi_u32 v1, v5, v7
	v_mul_hi_u32 v2, v3, v7
	;; [unrolled: 1-line block ×8, first 2 shown]
	v_mul_lo_u32 v1, v1, s2
	v_mul_lo_u32 v2, v2, s2
	;; [unrolled: 1-line block ×8, first 2 shown]
	v_sub_nc_u32_e32 v1, v5, v1
	v_sub_nc_u32_e32 v2, v3, v2
	;; [unrolled: 1-line block ×5, first 2 shown]
	v_subrev_nc_u32_e32 v27, s2, v1
	v_cmp_le_u32_e64 s1, s2, v1
	v_sub_nc_u32_e32 v6, v26, v31
	v_sub_nc_u32_e32 v26, v28, v33
	v_subrev_nc_u32_e32 v28, s2, v2
	v_sub_nc_u32_e32 v7, v29, v7
	v_cndmask_b32_e64 v1, v1, v27, s1
	v_cmp_le_u32_e64 s1, s2, v2
	v_subrev_nc_u32_e32 v29, s2, v3
	v_subrev_nc_u32_e32 v30, s2, v4
	;; [unrolled: 1-line block ×4, first 2 shown]
	v_cndmask_b32_e64 v2, v2, v28, s1
	v_cmp_le_u32_e64 s1, s2, v3
	v_subrev_nc_u32_e32 v33, s2, v26
	v_subrev_nc_u32_e32 v34, s2, v7
	;; [unrolled: 1-line block ×4, first 2 shown]
	v_cndmask_b32_e64 v3, v3, v29, s1
	v_cmp_le_u32_e64 s1, s2, v4
	v_lshlrev_b32_e32 v24, 2, v24
	v_add3_u32 v50, v50, v5, 0
	s_mov_b32 s3, 0
	v_subrev_nc_u32_e32 v29, s2, v3
	v_cndmask_b32_e64 v4, v4, v30, s1
	v_cmp_le_u32_e64 s1, s2, v6
	s_mov_b32 s4, 0
	s_delay_alu instid0(VALU_DEP_2) | instskip(NEXT) | instid1(VALU_DEP_2)
	v_subrev_nc_u32_e32 v30, s2, v4
	v_cndmask_b32_e64 v6, v6, v31, s1
	v_cmp_le_u32_e64 s1, s2, v17
	s_delay_alu instid0(VALU_DEP_2) | instskip(NEXT) | instid1(VALU_DEP_2)
	v_subrev_nc_u32_e32 v31, s2, v6
	v_cndmask_b32_e64 v17, v17, v32, s1
	v_cmp_le_u32_e64 s1, s2, v26
	;; [unrolled: 4-line block ×5, first 2 shown]
	s_delay_alu instid0(VALU_DEP_2) | instskip(NEXT) | instid1(VALU_DEP_2)
	v_lshlrev_b32_e32 v1, 1, v1
	v_cndmask_b32_e64 v2, v2, v28, s1
	v_cmp_le_u32_e64 s1, s2, v3
	s_delay_alu instid0(VALU_DEP_3) | instskip(NEXT) | instid1(VALU_DEP_3)
	v_and_b32_e32 v1, -4, v1
	v_lshlrev_b32_e32 v2, 1, v2
	s_delay_alu instid0(VALU_DEP_3) | instskip(SKIP_1) | instid1(VALU_DEP_4)
	v_cndmask_b32_e64 v3, v3, v29, s1
	v_cmp_le_u32_e64 s1, s2, v4
	v_add_nc_u32_e32 v27, v41, v1
	s_delay_alu instid0(VALU_DEP_4) | instskip(NEXT) | instid1(VALU_DEP_4)
	v_and_b32_e32 v2, -4, v2
	v_lshlrev_b32_e32 v3, 1, v3
	s_delay_alu instid0(VALU_DEP_4) | instskip(SKIP_1) | instid1(VALU_DEP_4)
	v_cndmask_b32_e64 v4, v4, v30, s1
	v_cmp_le_u32_e64 s1, s2, v6
	v_add_nc_u32_e32 v28, v0, v2
	s_delay_alu instid0(VALU_DEP_4) | instskip(NEXT) | instid1(VALU_DEP_4)
	v_and_b32_e32 v3, -4, v3
	v_lshlrev_b32_e32 v4, 1, v4
	s_delay_alu instid0(VALU_DEP_4)
	v_cndmask_b32_e64 v6, v6, v31, s1
	v_cmp_le_u32_e64 s1, s2, v17
	v_add_nc_u32_e32 v29, v41, v2
	v_add_nc_u32_e32 v30, v0, v3
	v_and_b32_e32 v4, -4, v4
	v_lshlrev_b32_e32 v6, 1, v6
	v_cndmask_b32_e64 v17, v17, v32, s1
	v_cmp_le_u32_e64 s1, s2, v26
	v_add_nc_u32_e32 v31, v41, v3
	v_add_nc_u32_e32 v32, v0, v4
	v_and_b32_e32 v6, -4, v6
	v_lshlrev_b32_e32 v17, 1, v17
	;; [unrolled: 6-line block ×3, first 2 shown]
	v_cndmask_b32_e64 v7, v7, v34, s1
	v_add_nc_u32_e32 v34, v0, v6
	s_delay_alu instid0(VALU_DEP_4) | instskip(NEXT) | instid1(VALU_DEP_4)
	v_add_nc_u32_e32 v36, v0, v17
	v_and_b32_e32 v39, -4, v26
	s_delay_alu instid0(VALU_DEP_4) | instskip(SKIP_2) | instid1(VALU_DEP_4)
	v_lshlrev_b32_e32 v7, 1, v7
	v_add_nc_u32_e32 v26, v0, v1
	v_add_nc_u32_e32 v37, v41, v17
	;; [unrolled: 1-line block ×3, first 2 shown]
	s_delay_alu instid0(VALU_DEP_4) | instskip(SKIP_1) | instid1(VALU_DEP_2)
	v_and_b32_e32 v7, -4, v7
	v_add_nc_u32_e32 v39, v41, v39
	v_add_nc_u32_e32 v40, v0, v7
	;; [unrolled: 1-line block ×3, first 2 shown]
	s_waitcnt vmcnt(1)
	v_lshrrev_b32_e32 v42, 16, v8
	v_lshrrev_b32_e32 v43, 16, v9
	;; [unrolled: 1-line block ×4, first 2 shown]
	s_waitcnt vmcnt(0)
	v_lshrrev_b32_e32 v46, 16, v12
	v_lshrrev_b32_e32 v47, 16, v13
	;; [unrolled: 1-line block ×4, first 2 shown]
	s_branch .LBB95_10
.LBB95_9:                               ;   in Loop: Header=BB95_10 Depth=1
	s_or_b32 exec_lo, exec_lo, s2
	v_ashrrev_i32_e32 v17, 31, v16
	s_add_i32 s4, s4, 1
	v_perm_b32 v3, v58, v57, 0x7060302
	v_cmp_ge_i32_e64 s1, s4, v19
	v_perm_b32 v2, v56, v55, 0x7060302
	v_lshlrev_b64 v[4:5], 1, v[16:17]
	v_perm_b32 v1, v54, v53, 0x7060302
	v_perm_b32 v0, v52, v51, 0x7060302
	v_add_nc_u32_e32 v16, 0x100, v16
	v_add_nc_u32_e32 v50, 0x200, v50
	s_or_b32 s3, s1, s3
	v_add_co_u32 v4, s2, s12, v4
	s_delay_alu instid0(VALU_DEP_1)
	v_add_co_ci_u32_e64 v5, s2, s13, v5, s2
	global_store_b128 v[4:5], v[0:3], off
	s_and_not1_b32 exec_lo, exec_lo, s3
	s_cbranch_execz .LBB95_44
.LBB95_10:                              ; =>This Inner Loop Header: Depth=1
	ds_load_b128 v[0:3], v50
	s_waitcnt lgkmcnt(0)
	v_lshlrev_b32_e32 v6, 16, v1
	v_and_b32_e32 v4, 0xffff0000, v0
	v_and_b32_e32 v7, 0xffff0000, v1
	v_lshlrev_b32_e32 v0, 16, v0
	v_and_b32_e32 v53, 0xffff0000, v3
	s_delay_alu instid0(VALU_DEP_4) | instskip(SKIP_2) | instid1(VALU_DEP_3)
	v_dual_mul_f32 v5, v4, v4 :: v_dual_lshlrev_b32 v52, 16, v3
	v_add_nc_u32_e32 v3, s4, v18
	v_lshlrev_b32_e32 v17, 16, v2
	v_fmac_f32_e32 v5, v0, v0
	s_delay_alu instid0(VALU_DEP_3) | instskip(NEXT) | instid1(VALU_DEP_2)
	v_cmp_gt_i32_e64 s2, s16, v3
	v_fmac_f32_e32 v5, v6, v6
	s_delay_alu instid0(VALU_DEP_2) | instskip(SKIP_3) | instid1(VALU_DEP_4)
	v_cndmask_b32_e64 v56, v48, v44, s2
	v_cndmask_b32_e64 v54, v47, v43, s2
	;; [unrolled: 1-line block ×4, first 2 shown]
	v_dual_fmac_f32 v5, v7, v7 :: v_dual_lshlrev_b32 v56, 16, v56
	v_and_b32_e32 v51, 0xffff0000, v2
	v_cndmask_b32_e64 v55, v14, v10, s2
	v_cndmask_b32_e64 v57, v15, v11, s2
	s_delay_alu instid0(VALU_DEP_4) | instskip(NEXT) | instid1(VALU_DEP_2)
	v_dual_fmac_f32 v5, v17, v17 :: v_dual_lshlrev_b32 v54, 16, v54
	v_lshlrev_b32_e32 v57, 16, v57
	s_delay_alu instid0(VALU_DEP_2) | instskip(NEXT) | instid1(VALU_DEP_1)
	v_fmac_f32_e32 v5, v51, v51
	v_fmac_f32_e32 v5, v52, v52
	s_delay_alu instid0(VALU_DEP_1)
	v_fmac_f32_e32 v5, v53, v53
	ds_bpermute_b32 v1, v20, v5
	s_waitcnt lgkmcnt(0)
	v_add_f32_e32 v1, v5, v1
	v_cndmask_b32_e64 v5, v13, v9, s2
	ds_bpermute_b32 v2, v21, v1
	v_lshlrev_b32_e32 v5, 16, v5
	s_waitcnt lgkmcnt(0)
	v_add_f32_e32 v1, v1, v2
	ds_bpermute_b32 v2, v22, v1
	s_waitcnt lgkmcnt(0)
	v_add_f32_e32 v1, v1, v2
	ds_bpermute_b32 v2, v23, v1
	;; [unrolled: 3-line block ×3, first 2 shown]
	s_waitcnt lgkmcnt(0)
	v_add_f32_e32 v1, v1, v2
	s_delay_alu instid0(VALU_DEP_1) | instskip(NEXT) | instid1(VALU_DEP_1)
	v_fma_f32 v1, 0x3b800000, v1, s19
	v_mul_f32_e32 v2, 0x4b800000, v1
	v_cmp_gt_f32_e64 s1, 0x800000, v1
	s_delay_alu instid0(VALU_DEP_1) | instskip(SKIP_1) | instid1(VALU_DEP_2)
	v_cndmask_b32_e64 v1, v1, v2, s1
	v_cndmask_b32_e64 v2, v12, v8, s2
	v_rsq_f32_e32 v1, v1
	s_delay_alu instid0(VALU_DEP_1) | instskip(SKIP_2) | instid1(VALU_DEP_1)
	v_lshlrev_b32_e32 v2, 16, v2
	s_waitcnt_depctr 0xfff
	v_mul_f32_e32 v58, 0x45800000, v1
	v_cndmask_b32_e64 v1, v1, v58, s1
	v_lshlrev_b32_e32 v58, 16, v59
	s_delay_alu instid0(VALU_DEP_2) | instskip(NEXT) | instid1(VALU_DEP_2)
	v_dual_mul_f32 v2, v1, v2 :: v_dual_lshlrev_b32 v3, 16, v3
	v_mul_f32_e32 v58, v1, v58
	v_mul_f32_e32 v5, v1, v5
	v_lshlrev_b32_e32 v55, 16, v55
	s_delay_alu instid0(VALU_DEP_4)
	v_mul_f32_e32 v3, v1, v3
	v_mul_f32_e32 v54, v1, v54
	;; [unrolled: 1-line block ×3, first 2 shown]
	v_dual_mul_f32 v57, v1, v57 :: v_dual_mul_f32 v0, v2, v0
	v_mul_f32_e32 v2, v5, v6
	v_mul_f32_e32 v55, v1, v55
	;; [unrolled: 1-line block ×4, first 2 shown]
	v_dual_mul_f32 v5, v56, v51 :: v_dual_mul_f32 v6, v57, v52
	s_delay_alu instid0(VALU_DEP_4)
	v_mul_f32_e32 v4, v55, v17
	v_mul_f32_e32 v7, v58, v53
	s_and_saveexec_b32 s1, vcc_lo
	s_cbranch_execz .LBB95_12
; %bb.11:                               ;   in Loop: Header=BB95_10 Depth=1
	ds_bpermute_b32 v17, v25, v0
	ds_bpermute_b32 v51, v25, v1
	;; [unrolled: 1-line block ×3, first 2 shown]
	; wave barrier
	ds_load_b32 v55, v26
	ds_load_b32 v53, v27
	;; [unrolled: 1-line block ×8, first 2 shown]
	ds_bpermute_b32 v63, v25, v5
	ds_bpermute_b32 v54, v25, v3
	;; [unrolled: 1-line block ×5, first 2 shown]
	ds_load_b32 v68, v34
	ds_load_b32 v69, v35
	;; [unrolled: 1-line block ×8, first 2 shown]
	; wave barrier
	s_waitcnt lgkmcnt(23)
	v_cndmask_b32_e64 v17, v17, -v17, s0
	s_waitcnt lgkmcnt(22)
	v_cndmask_b32_e64 v66, v51, -v51, s0
	;; [unrolled: 2-line block ×3, first 2 shown]
	s_waitcnt lgkmcnt(19)
	v_mul_f32_e32 v51, v17, v53
	s_waitcnt lgkmcnt(15)
	s_delay_alu instid0(VALU_DEP_2) | instskip(SKIP_2) | instid1(VALU_DEP_2)
	v_dual_mul_f32 v52, v66, v57 :: v_dual_mul_f32 v53, v67, v59
	s_waitcnt lgkmcnt(9)
	v_cndmask_b32_e64 v17, v64, -v64, s0
	v_dual_fmac_f32 v52, v1, v56 :: v_dual_fmac_f32 v53, v2, v58
	v_cndmask_b32_e64 v2, v63, -v63, s0
	v_cndmask_b32_e64 v1, v62, -v62, s0
	s_waitcnt lgkmcnt(8)
	v_cndmask_b32_e64 v58, v65, -v65, s0
	s_waitcnt lgkmcnt(3)
	v_dual_mul_f32 v57, v17, v72 :: v_dual_mul_f32 v56, v2, v71
	s_waitcnt lgkmcnt(2)
	s_delay_alu instid0(VALU_DEP_2)
	v_dual_fmac_f32 v51, v0, v55 :: v_dual_mul_f32 v58, v58, v73
	v_cndmask_b32_e64 v0, v54, -v54, s0
	s_waitcnt lgkmcnt(1)
	v_fmac_f32_e32 v57, v6, v74
	v_fmac_f32_e32 v56, v5, v70
	s_waitcnt lgkmcnt(0)
	v_fmac_f32_e32 v58, v7, v75
	v_mul_f32_e32 v54, v0, v61
	s_delay_alu instid0(VALU_DEP_1) | instskip(NEXT) | instid1(VALU_DEP_1)
	v_dual_mul_f32 v55, v1, v69 :: v_dual_fmac_f32 v54, v3, v60
	v_fmac_f32_e32 v55, v4, v68
	v_dual_mov_b32 v0, v51 :: v_dual_mov_b32 v1, v52
	s_delay_alu instid0(VALU_DEP_3) | instskip(NEXT) | instid1(VALU_DEP_3)
	v_dual_mov_b32 v2, v53 :: v_dual_mov_b32 v3, v54
	v_dual_mov_b32 v4, v55 :: v_dual_mov_b32 v5, v56
	;; [unrolled: 1-line block ×3, first 2 shown]
.LBB95_12:                              ;   in Loop: Header=BB95_10 Depth=1
	s_or_b32 exec_lo, exec_lo, s1
	v_and_b32_e32 v17, 0x7f800000, v0
                                        ; implicit-def: $vgpr51
	s_delay_alu instid0(VALU_DEP_1) | instskip(NEXT) | instid1(VALU_DEP_1)
	v_cmp_ne_u32_e64 s1, 0x7f800000, v17
	s_and_saveexec_b32 s2, s1
	s_delay_alu instid0(SALU_CYCLE_1)
	s_xor_b32 s1, exec_lo, s2
; %bb.13:                               ;   in Loop: Header=BB95_10 Depth=1
	v_bfe_u32 v17, v0, 16, 1
	s_delay_alu instid0(VALU_DEP_1)
	v_add3_u32 v51, v0, v17, 0x7fff
; %bb.14:                               ;   in Loop: Header=BB95_10 Depth=1
	s_and_not1_saveexec_b32 s2, s1
; %bb.15:                               ;   in Loop: Header=BB95_10 Depth=1
	v_and_b32_e32 v17, 0xffff, v0
	v_or_b32_e32 v51, 0x10000, v0
	s_delay_alu instid0(VALU_DEP_2) | instskip(NEXT) | instid1(VALU_DEP_1)
	v_cmp_eq_u32_e64 s1, 0, v17
	v_cndmask_b32_e64 v51, v51, v0, s1
; %bb.16:                               ;   in Loop: Header=BB95_10 Depth=1
	s_or_b32 exec_lo, exec_lo, s2
	v_and_b32_e32 v0, 0x7f800000, v1
                                        ; implicit-def: $vgpr52
	s_delay_alu instid0(VALU_DEP_1) | instskip(NEXT) | instid1(VALU_DEP_1)
	v_cmp_ne_u32_e64 s1, 0x7f800000, v0
	s_and_saveexec_b32 s2, s1
	s_delay_alu instid0(SALU_CYCLE_1)
	s_xor_b32 s1, exec_lo, s2
; %bb.17:                               ;   in Loop: Header=BB95_10 Depth=1
	v_bfe_u32 v0, v1, 16, 1
	s_delay_alu instid0(VALU_DEP_1)
	v_add3_u32 v52, v1, v0, 0x7fff
; %bb.18:                               ;   in Loop: Header=BB95_10 Depth=1
	s_and_not1_saveexec_b32 s2, s1
; %bb.19:                               ;   in Loop: Header=BB95_10 Depth=1
	v_and_b32_e32 v0, 0xffff, v1
	v_or_b32_e32 v17, 0x10000, v1
	s_delay_alu instid0(VALU_DEP_2) | instskip(NEXT) | instid1(VALU_DEP_1)
	v_cmp_eq_u32_e64 s1, 0, v0
	v_cndmask_b32_e64 v52, v17, v1, s1
; %bb.20:                               ;   in Loop: Header=BB95_10 Depth=1
	s_or_b32 exec_lo, exec_lo, s2
	v_and_b32_e32 v0, 0x7f800000, v2
                                        ; implicit-def: $vgpr53
	s_delay_alu instid0(VALU_DEP_1) | instskip(NEXT) | instid1(VALU_DEP_1)
	v_cmp_ne_u32_e64 s1, 0x7f800000, v0
	s_and_saveexec_b32 s2, s1
	s_delay_alu instid0(SALU_CYCLE_1)
	s_xor_b32 s1, exec_lo, s2
; %bb.21:                               ;   in Loop: Header=BB95_10 Depth=1
	v_bfe_u32 v0, v2, 16, 1
	s_delay_alu instid0(VALU_DEP_1)
	v_add3_u32 v53, v2, v0, 0x7fff
; %bb.22:                               ;   in Loop: Header=BB95_10 Depth=1
	s_and_not1_saveexec_b32 s2, s1
; %bb.23:                               ;   in Loop: Header=BB95_10 Depth=1
	v_and_b32_e32 v0, 0xffff, v2
	v_or_b32_e32 v1, 0x10000, v2
	s_delay_alu instid0(VALU_DEP_2) | instskip(NEXT) | instid1(VALU_DEP_1)
	v_cmp_eq_u32_e64 s1, 0, v0
	v_cndmask_b32_e64 v53, v1, v2, s1
; %bb.24:                               ;   in Loop: Header=BB95_10 Depth=1
	s_or_b32 exec_lo, exec_lo, s2
	v_and_b32_e32 v0, 0x7f800000, v3
                                        ; implicit-def: $vgpr54
	s_delay_alu instid0(VALU_DEP_1) | instskip(NEXT) | instid1(VALU_DEP_1)
	v_cmp_ne_u32_e64 s1, 0x7f800000, v0
	s_and_saveexec_b32 s2, s1
	s_delay_alu instid0(SALU_CYCLE_1)
	s_xor_b32 s1, exec_lo, s2
; %bb.25:                               ;   in Loop: Header=BB95_10 Depth=1
	v_bfe_u32 v0, v3, 16, 1
	s_delay_alu instid0(VALU_DEP_1)
	v_add3_u32 v54, v3, v0, 0x7fff
; %bb.26:                               ;   in Loop: Header=BB95_10 Depth=1
	s_and_not1_saveexec_b32 s2, s1
; %bb.27:                               ;   in Loop: Header=BB95_10 Depth=1
	v_and_b32_e32 v0, 0xffff, v3
	v_or_b32_e32 v1, 0x10000, v3
	s_delay_alu instid0(VALU_DEP_2) | instskip(NEXT) | instid1(VALU_DEP_1)
	v_cmp_eq_u32_e64 s1, 0, v0
	v_cndmask_b32_e64 v54, v1, v3, s1
; %bb.28:                               ;   in Loop: Header=BB95_10 Depth=1
	s_or_b32 exec_lo, exec_lo, s2
	v_and_b32_e32 v0, 0x7f800000, v4
                                        ; implicit-def: $vgpr55
	s_delay_alu instid0(VALU_DEP_1) | instskip(NEXT) | instid1(VALU_DEP_1)
	v_cmp_ne_u32_e64 s1, 0x7f800000, v0
	s_and_saveexec_b32 s2, s1
	s_delay_alu instid0(SALU_CYCLE_1)
	s_xor_b32 s1, exec_lo, s2
; %bb.29:                               ;   in Loop: Header=BB95_10 Depth=1
	v_bfe_u32 v0, v4, 16, 1
	s_delay_alu instid0(VALU_DEP_1)
	v_add3_u32 v55, v4, v0, 0x7fff
; %bb.30:                               ;   in Loop: Header=BB95_10 Depth=1
	s_and_not1_saveexec_b32 s2, s1
; %bb.31:                               ;   in Loop: Header=BB95_10 Depth=1
	v_and_b32_e32 v0, 0xffff, v4
	v_or_b32_e32 v1, 0x10000, v4
	s_delay_alu instid0(VALU_DEP_2) | instskip(NEXT) | instid1(VALU_DEP_1)
	v_cmp_eq_u32_e64 s1, 0, v0
	v_cndmask_b32_e64 v55, v1, v4, s1
; %bb.32:                               ;   in Loop: Header=BB95_10 Depth=1
	s_or_b32 exec_lo, exec_lo, s2
	v_and_b32_e32 v0, 0x7f800000, v5
                                        ; implicit-def: $vgpr56
	s_delay_alu instid0(VALU_DEP_1) | instskip(NEXT) | instid1(VALU_DEP_1)
	v_cmp_ne_u32_e64 s1, 0x7f800000, v0
	s_and_saveexec_b32 s2, s1
	s_delay_alu instid0(SALU_CYCLE_1)
	s_xor_b32 s1, exec_lo, s2
; %bb.33:                               ;   in Loop: Header=BB95_10 Depth=1
	v_bfe_u32 v0, v5, 16, 1
	s_delay_alu instid0(VALU_DEP_1)
	v_add3_u32 v56, v5, v0, 0x7fff
; %bb.34:                               ;   in Loop: Header=BB95_10 Depth=1
	s_and_not1_saveexec_b32 s2, s1
; %bb.35:                               ;   in Loop: Header=BB95_10 Depth=1
	v_and_b32_e32 v0, 0xffff, v5
	v_or_b32_e32 v1, 0x10000, v5
	s_delay_alu instid0(VALU_DEP_2) | instskip(NEXT) | instid1(VALU_DEP_1)
	v_cmp_eq_u32_e64 s1, 0, v0
	v_cndmask_b32_e64 v56, v1, v5, s1
; %bb.36:                               ;   in Loop: Header=BB95_10 Depth=1
	s_or_b32 exec_lo, exec_lo, s2
	v_and_b32_e32 v0, 0x7f800000, v6
                                        ; implicit-def: $vgpr57
	s_delay_alu instid0(VALU_DEP_1) | instskip(NEXT) | instid1(VALU_DEP_1)
	v_cmp_ne_u32_e64 s1, 0x7f800000, v0
	s_and_saveexec_b32 s2, s1
	s_delay_alu instid0(SALU_CYCLE_1)
	s_xor_b32 s1, exec_lo, s2
; %bb.37:                               ;   in Loop: Header=BB95_10 Depth=1
	v_bfe_u32 v0, v6, 16, 1
	s_delay_alu instid0(VALU_DEP_1)
	v_add3_u32 v57, v6, v0, 0x7fff
; %bb.38:                               ;   in Loop: Header=BB95_10 Depth=1
	s_and_not1_saveexec_b32 s2, s1
; %bb.39:                               ;   in Loop: Header=BB95_10 Depth=1
	v_and_b32_e32 v0, 0xffff, v6
	v_or_b32_e32 v1, 0x10000, v6
	s_delay_alu instid0(VALU_DEP_2) | instskip(NEXT) | instid1(VALU_DEP_1)
	v_cmp_eq_u32_e64 s1, 0, v0
	v_cndmask_b32_e64 v57, v1, v6, s1
; %bb.40:                               ;   in Loop: Header=BB95_10 Depth=1
	s_or_b32 exec_lo, exec_lo, s2
	v_and_b32_e32 v0, 0x7f800000, v7
                                        ; implicit-def: $vgpr58
	s_delay_alu instid0(VALU_DEP_1) | instskip(NEXT) | instid1(VALU_DEP_1)
	v_cmp_ne_u32_e64 s1, 0x7f800000, v0
	s_and_saveexec_b32 s2, s1
	s_delay_alu instid0(SALU_CYCLE_1)
	s_xor_b32 s1, exec_lo, s2
; %bb.41:                               ;   in Loop: Header=BB95_10 Depth=1
	v_bfe_u32 v0, v7, 16, 1
	s_delay_alu instid0(VALU_DEP_1)
	v_add3_u32 v58, v7, v0, 0x7fff
                                        ; implicit-def: $vgpr0_vgpr1_vgpr2_vgpr3_vgpr4_vgpr5_vgpr6_vgpr7
; %bb.42:                               ;   in Loop: Header=BB95_10 Depth=1
	s_and_not1_saveexec_b32 s2, s1
	s_cbranch_execz .LBB95_9
; %bb.43:                               ;   in Loop: Header=BB95_10 Depth=1
	v_and_b32_e32 v0, 0xffff, v7
	v_or_b32_e32 v1, 0x10000, v7
	s_delay_alu instid0(VALU_DEP_2) | instskip(NEXT) | instid1(VALU_DEP_1)
	v_cmp_eq_u32_e64 s1, 0, v0
	v_cndmask_b32_e64 v58, v1, v7, s1
	s_branch .LBB95_9
.LBB95_44:
	s_nop 0
	s_sendmsg sendmsg(MSG_DEALLOC_VGPRS)
	s_endpgm
	.section	.rodata,"a",@progbits
	.p2align	6, 0x0
	.amdhsa_kernel _ZN12tensorrt_llm7kernels32fusedQKNormRopeKernelNTokenHeadsIN3c108BFloat16EfLi256ELb0ELi8EEEvPviiifPKvS6_S6_PKlii
		.amdhsa_group_segment_fixed_size 0
		.amdhsa_private_segment_fixed_size 0
		.amdhsa_kernarg_size 320
		.amdhsa_user_sgpr_count 15
		.amdhsa_user_sgpr_dispatch_ptr 0
		.amdhsa_user_sgpr_queue_ptr 0
		.amdhsa_user_sgpr_kernarg_segment_ptr 1
		.amdhsa_user_sgpr_dispatch_id 0
		.amdhsa_user_sgpr_private_segment_size 0
		.amdhsa_wavefront_size32 1
		.amdhsa_uses_dynamic_stack 0
		.amdhsa_enable_private_segment 0
		.amdhsa_system_sgpr_workgroup_id_x 1
		.amdhsa_system_sgpr_workgroup_id_y 0
		.amdhsa_system_sgpr_workgroup_id_z 0
		.amdhsa_system_sgpr_workgroup_info 0
		.amdhsa_system_vgpr_workitem_id 0
		.amdhsa_next_free_vgpr 76
		.amdhsa_next_free_sgpr 21
		.amdhsa_reserve_vcc 1
		.amdhsa_float_round_mode_32 0
		.amdhsa_float_round_mode_16_64 0
		.amdhsa_float_denorm_mode_32 3
		.amdhsa_float_denorm_mode_16_64 3
		.amdhsa_dx10_clamp 1
		.amdhsa_ieee_mode 1
		.amdhsa_fp16_overflow 0
		.amdhsa_workgroup_processor_mode 1
		.amdhsa_memory_ordered 1
		.amdhsa_forward_progress 0
		.amdhsa_shared_vgpr_count 0
		.amdhsa_exception_fp_ieee_invalid_op 0
		.amdhsa_exception_fp_denorm_src 0
		.amdhsa_exception_fp_ieee_div_zero 0
		.amdhsa_exception_fp_ieee_overflow 0
		.amdhsa_exception_fp_ieee_underflow 0
		.amdhsa_exception_fp_ieee_inexact 0
		.amdhsa_exception_int_div_zero 0
	.end_amdhsa_kernel
	.section	.text._ZN12tensorrt_llm7kernels32fusedQKNormRopeKernelNTokenHeadsIN3c108BFloat16EfLi256ELb0ELi8EEEvPviiifPKvS6_S6_PKlii,"axG",@progbits,_ZN12tensorrt_llm7kernels32fusedQKNormRopeKernelNTokenHeadsIN3c108BFloat16EfLi256ELb0ELi8EEEvPviiifPKvS6_S6_PKlii,comdat
.Lfunc_end95:
	.size	_ZN12tensorrt_llm7kernels32fusedQKNormRopeKernelNTokenHeadsIN3c108BFloat16EfLi256ELb0ELi8EEEvPviiifPKvS6_S6_PKlii, .Lfunc_end95-_ZN12tensorrt_llm7kernels32fusedQKNormRopeKernelNTokenHeadsIN3c108BFloat16EfLi256ELb0ELi8EEEvPviiifPKvS6_S6_PKlii
                                        ; -- End function
	.section	.AMDGPU.csdata,"",@progbits
; Kernel info:
; codeLenInByte = 3816
; NumSgprs: 23
; NumVgprs: 76
; ScratchSize: 0
; MemoryBound: 0
; FloatMode: 240
; IeeeMode: 1
; LDSByteSize: 0 bytes/workgroup (compile time only)
; SGPRBlocks: 2
; VGPRBlocks: 9
; NumSGPRsForWavesPerEU: 23
; NumVGPRsForWavesPerEU: 76
; Occupancy: 16
; WaveLimiterHint : 0
; COMPUTE_PGM_RSRC2:SCRATCH_EN: 0
; COMPUTE_PGM_RSRC2:USER_SGPR: 15
; COMPUTE_PGM_RSRC2:TRAP_HANDLER: 0
; COMPUTE_PGM_RSRC2:TGID_X_EN: 1
; COMPUTE_PGM_RSRC2:TGID_Y_EN: 0
; COMPUTE_PGM_RSRC2:TGID_Z_EN: 0
; COMPUTE_PGM_RSRC2:TIDIG_COMP_CNT: 0
	.section	.text._ZN12tensorrt_llm7kernels21fusedQKNormRopeKernelIN3c108BFloat16ENS2_4HalfELi64ELb1EEEvPviiifPKvS7_S7_PKlii,"axG",@progbits,_ZN12tensorrt_llm7kernels21fusedQKNormRopeKernelIN3c108BFloat16ENS2_4HalfELi64ELb1EEEvPviiifPKvS7_S7_PKlii,comdat
	.protected	_ZN12tensorrt_llm7kernels21fusedQKNormRopeKernelIN3c108BFloat16ENS2_4HalfELi64ELb1EEEvPviiifPKvS7_S7_PKlii ; -- Begin function _ZN12tensorrt_llm7kernels21fusedQKNormRopeKernelIN3c108BFloat16ENS2_4HalfELi64ELb1EEEvPviiifPKvS7_S7_PKlii
	.globl	_ZN12tensorrt_llm7kernels21fusedQKNormRopeKernelIN3c108BFloat16ENS2_4HalfELi64ELb1EEEvPviiifPKvS7_S7_PKlii
	.p2align	8
	.type	_ZN12tensorrt_llm7kernels21fusedQKNormRopeKernelIN3c108BFloat16ENS2_4HalfELi64ELb1EEEvPviiifPKvS7_S7_PKlii,@function
_ZN12tensorrt_llm7kernels21fusedQKNormRopeKernelIN3c108BFloat16ENS2_4HalfELi64ELb1EEEvPviiifPKvS7_S7_PKlii: ; @_ZN12tensorrt_llm7kernels21fusedQKNormRopeKernelIN3c108BFloat16ENS2_4HalfELi64ELb1EEEvPviiifPKvS7_S7_PKlii
; %bb.0:
	s_clause 0x2
	s_load_b128 s[8:11], s[0:1], 0x8
	s_load_b64 s[12:13], s[0:1], 0x38
	s_load_b32 s4, s[0:1], 0x4c
	v_lshrrev_b32_e32 v3, 5, v0
	s_waitcnt lgkmcnt(0)
	s_add_i32 s2, s9, s8
	s_bfe_u32 s4, s4, 0xb0005
	s_abs_i32 s3, s2
	s_delay_alu instid0(SALU_CYCLE_1) | instskip(SKIP_1) | instid1(VALU_DEP_1)
	v_cvt_f32_u32_e32 v1, s3
	s_sub_i32 s5, 0, s3
	v_rcp_iflag_f32_e32 v1, v1
	s_waitcnt_depctr 0xfff
	v_mul_f32_e32 v1, 0x4f7ffffe, v1
	s_delay_alu instid0(VALU_DEP_1) | instskip(NEXT) | instid1(VALU_DEP_1)
	v_cvt_u32_f32_e32 v4, v1
	v_mul_lo_u32 v5, s5, v4
	v_mad_u64_u32 v[1:2], null, s15, s4, v[3:4]
	s_delay_alu instid0(VALU_DEP_2) | instskip(NEXT) | instid1(VALU_DEP_2)
	v_mul_hi_u32 v2, v4, v5
	v_sub_nc_u32_e32 v3, 0, v1
	s_delay_alu instid0(VALU_DEP_1) | instskip(NEXT) | instid1(VALU_DEP_3)
	v_max_i32_e32 v3, v1, v3
	v_add_nc_u32_e32 v2, v4, v2
	s_delay_alu instid0(VALU_DEP_1) | instskip(NEXT) | instid1(VALU_DEP_1)
	v_mul_hi_u32 v2, v3, v2
	v_mul_lo_u32 v4, v2, s3
	s_delay_alu instid0(VALU_DEP_1) | instskip(NEXT) | instid1(VALU_DEP_1)
	v_sub_nc_u32_e32 v3, v3, v4
	v_subrev_nc_u32_e32 v5, s3, v3
	v_cmp_le_u32_e32 vcc_lo, s3, v3
	s_delay_alu instid0(VALU_DEP_2) | instskip(NEXT) | instid1(VALU_DEP_1)
	v_dual_cndmask_b32 v3, v3, v5 :: v_dual_add_nc_u32 v4, 1, v2
	v_cndmask_b32_e32 v2, v2, v4, vcc_lo
	v_xor_b32_e32 v4, s2, v1
	s_delay_alu instid0(VALU_DEP_3) | instskip(NEXT) | instid1(VALU_DEP_3)
	v_cmp_le_u32_e32 vcc_lo, s3, v3
	v_add_nc_u32_e32 v5, 1, v2
	s_delay_alu instid0(VALU_DEP_3) | instskip(SKIP_1) | instid1(VALU_DEP_2)
	v_ashrrev_i32_e32 v4, 31, v4
	s_mov_b32 s3, exec_lo
	v_cndmask_b32_e32 v2, v2, v5, vcc_lo
	s_delay_alu instid0(VALU_DEP_1) | instskip(NEXT) | instid1(VALU_DEP_1)
	v_xor_b32_e32 v2, v2, v4
	v_sub_nc_u32_e32 v2, v2, v4
	s_delay_alu instid0(VALU_DEP_1)
	v_cmpx_gt_i32_e64 s12, v2
	s_cbranch_execz .LBB96_14
; %bb.1:
	v_mul_lo_u32 v3, v2, s2
	s_add_i32 s2, s2, s10
	v_and_b32_e32 v7, 31, v0
	v_mul_lo_u32 v4, v2, s2
	s_load_b64 s[2:3], s[0:1], 0x0
	s_delay_alu instid0(VALU_DEP_2) | instskip(NEXT) | instid1(VALU_DEP_4)
	v_lshlrev_b32_e32 v6, 1, v7
	v_sub_nc_u32_e32 v1, v1, v3
	s_delay_alu instid0(VALU_DEP_1) | instskip(SKIP_1) | instid1(VALU_DEP_1)
	v_cmp_gt_i32_e32 vcc_lo, s8, v1
	v_cndmask_b32_e64 v3, s8, 0, vcc_lo
	v_sub_nc_u32_e32 v0, v1, v3
	s_delay_alu instid0(VALU_DEP_1) | instskip(NEXT) | instid1(VALU_DEP_1)
	v_add3_u32 v0, v4, v3, v0
	v_lshl_or_b32 v0, v0, 6, v6
	s_delay_alu instid0(VALU_DEP_1) | instskip(NEXT) | instid1(VALU_DEP_1)
	v_ashrrev_i32_e32 v1, 31, v0
	v_lshlrev_b64 v[0:1], 1, v[0:1]
	s_waitcnt lgkmcnt(0)
	s_delay_alu instid0(VALU_DEP_1) | instskip(NEXT) | instid1(VALU_DEP_1)
	v_add_co_u32 v0, s2, s2, v0
	v_add_co_ci_u32_e64 v1, s2, s3, v1, s2
	s_load_b256 s[0:7], s[0:1], 0x18
	global_load_b32 v5, v[0:1], off
	s_waitcnt lgkmcnt(0)
	v_dual_mov_b32 v3, s0 :: v_dual_mov_b32 v4, s1
	v_lshlrev_b32_e32 v8, 2, v7
	s_lshr_b32 s0, s13, 31
	s_mov_b32 s1, exec_lo
	s_add_i32 s0, s13, s0
	v_cndmask_b32_e32 v4, s3, v4, vcc_lo
	s_ashr_i32 s0, s0, 1
	s_waitcnt vmcnt(0)
	v_lshlrev_b32_e32 v9, 16, v5
	v_cndmask_b32_e32 v3, s2, v3, vcc_lo
	v_and_b32_e32 v5, 0xffff0000, v5
	s_delay_alu instid0(VALU_DEP_3) | instskip(NEXT) | instid1(VALU_DEP_3)
	v_mul_f32_e32 v10, v9, v9
	v_add_co_u32 v3, vcc_lo, v3, v8
	v_add_co_ci_u32_e32 v4, vcc_lo, 0, v4, vcc_lo
	global_load_b32 v3, v[3:4], off
	v_mbcnt_lo_u32_b32 v4, -1, 0
	s_delay_alu instid0(VALU_DEP_1) | instskip(SKIP_1) | instid1(VALU_DEP_2)
	v_xor_b32_e32 v8, 16, v4
	v_xor_b32_e32 v11, 8, v4
	v_cmp_gt_i32_e32 vcc_lo, 32, v8
	v_cndmask_b32_e32 v8, v4, v8, vcc_lo
	s_delay_alu instid0(VALU_DEP_3) | instskip(NEXT) | instid1(VALU_DEP_2)
	v_cmp_gt_i32_e32 vcc_lo, 32, v11
	v_dual_cndmask_b32 v11, v4, v11 :: v_dual_lshlrev_b32 v8, 2, v8
	s_delay_alu instid0(VALU_DEP_1)
	v_dual_fmac_f32 v10, v5, v5 :: v_dual_lshlrev_b32 v11, 2, v11
	ds_bpermute_b32 v8, v8, v10
	s_waitcnt lgkmcnt(0)
	v_add_f32_e32 v8, v10, v8
	ds_bpermute_b32 v10, v11, v8
	v_xor_b32_e32 v11, 4, v4
	s_delay_alu instid0(VALU_DEP_1) | instskip(SKIP_2) | instid1(VALU_DEP_1)
	v_cmp_gt_i32_e32 vcc_lo, 32, v11
	v_cndmask_b32_e32 v11, v4, v11, vcc_lo
	s_waitcnt lgkmcnt(0)
	v_dual_add_f32 v8, v8, v10 :: v_dual_lshlrev_b32 v11, 2, v11
	ds_bpermute_b32 v10, v11, v8
	v_xor_b32_e32 v11, 2, v4
	s_delay_alu instid0(VALU_DEP_1) | instskip(SKIP_2) | instid1(VALU_DEP_1)
	v_cmp_gt_i32_e32 vcc_lo, 32, v11
	v_cndmask_b32_e32 v11, v4, v11, vcc_lo
	s_waitcnt lgkmcnt(0)
	v_dual_add_f32 v8, v8, v10 :: v_dual_lshlrev_b32 v11, 2, v11
	ds_bpermute_b32 v10, v11, v8
	v_xor_b32_e32 v11, 1, v4
	s_delay_alu instid0(VALU_DEP_1) | instskip(SKIP_1) | instid1(VALU_DEP_1)
	v_cmp_gt_i32_e32 vcc_lo, 32, v11
	v_cndmask_b32_e32 v4, v4, v11, vcc_lo
	v_lshlrev_b32_e32 v4, 2, v4
	s_waitcnt lgkmcnt(0)
	v_add_f32_e32 v8, v8, v10
	v_mov_b32_e32 v10, s11
	ds_bpermute_b32 v4, v4, v8
	s_waitcnt lgkmcnt(0)
	v_add_f32_e32 v4, v8, v4
	s_delay_alu instid0(VALU_DEP_1) | instskip(NEXT) | instid1(VALU_DEP_1)
	v_fmamk_f32 v4, v4, 0x3c800000, v10
	v_mul_f32_e32 v8, 0x4b800000, v4
	v_cmp_gt_f32_e32 vcc_lo, 0x800000, v4
	s_delay_alu instid0(VALU_DEP_2) | instskip(NEXT) | instid1(VALU_DEP_1)
	v_cndmask_b32_e32 v4, v4, v8, vcc_lo
	v_rsq_f32_e32 v4, v4
	s_waitcnt_depctr 0xfff
	v_mul_f32_e32 v8, 0x45800000, v4
	s_delay_alu instid0(VALU_DEP_1) | instskip(SKIP_2) | instid1(VALU_DEP_1)
	v_cndmask_b32_e32 v4, v4, v8, vcc_lo
	s_waitcnt vmcnt(0)
	v_and_b32_e32 v10, 0xffff0000, v3
	v_dual_mul_f32 v8, v4, v10 :: v_dual_lshlrev_b32 v3, 16, v3
	s_delay_alu instid0(VALU_DEP_1) | instskip(NEXT) | instid1(VALU_DEP_2)
	v_mul_f32_e32 v3, v4, v3
	v_mul_f32_e32 v5, v8, v5
	s_delay_alu instid0(VALU_DEP_2)
	v_mul_f32_e32 v4, v3, v9
	v_cmpx_le_i32_e64 s0, v7
	s_xor_b32 s1, exec_lo, s1
; %bb.2:
                                        ; implicit-def: $vgpr2
                                        ; implicit-def: $vgpr6
; %bb.3:
	s_delay_alu instid0(SALU_CYCLE_1)
	s_and_not1_saveexec_b32 s2, s1
	s_cbranch_execz .LBB96_5
; %bb.4:
	v_ashrrev_i32_e32 v3, 31, v2
	s_ashr_i32 s1, s13, 31
	s_delay_alu instid0(VALU_DEP_1) | instskip(NEXT) | instid1(VALU_DEP_1)
	v_lshlrev_b64 v[2:3], 3, v[2:3]
	v_add_co_u32 v2, vcc_lo, s6, v2
	s_delay_alu instid0(VALU_DEP_2)
	v_add_co_ci_u32_e32 v3, vcc_lo, s7, v3, vcc_lo
	global_load_b64 v[2:3], v[2:3], off
	s_waitcnt vmcnt(0)
	v_mul_lo_u32 v3, v3, s13
	v_mul_lo_u32 v9, v2, s1
	v_mad_u64_u32 v[7:8], null, v2, s13, 0
	s_mov_b32 s1, 0
	s_delay_alu instid0(SALU_CYCLE_1) | instskip(NEXT) | instid1(VALU_DEP_1)
	s_lshl_b64 s[0:1], s[0:1], 1
	v_add3_u32 v8, v8, v9, v3
	s_delay_alu instid0(VALU_DEP_1) | instskip(NEXT) | instid1(VALU_DEP_1)
	v_lshlrev_b64 v[2:3], 1, v[7:8]
	v_add_co_u32 v2, vcc_lo, s4, v2
	s_delay_alu instid0(VALU_DEP_2) | instskip(NEXT) | instid1(VALU_DEP_2)
	v_add_co_ci_u32_e32 v3, vcc_lo, s5, v3, vcc_lo
	v_add_co_u32 v2, vcc_lo, v2, v6
	s_delay_alu instid0(VALU_DEP_2) | instskip(NEXT) | instid1(VALU_DEP_2)
	v_add_co_ci_u32_e32 v3, vcc_lo, 0, v3, vcc_lo
	v_add_co_u32 v6, vcc_lo, v2, s0
	s_delay_alu instid0(VALU_DEP_2)
	v_add_co_ci_u32_e32 v7, vcc_lo, s1, v3, vcc_lo
	s_clause 0x1
	global_load_u16 v6, v[6:7], off
	global_load_u16 v2, v[2:3], off
	s_waitcnt vmcnt(1)
	v_cvt_f32_f16_e32 v3, v6
	s_waitcnt vmcnt(0)
	v_cvt_f32_f16_e32 v7, v2
	s_delay_alu instid0(VALU_DEP_2) | instskip(NEXT) | instid1(VALU_DEP_1)
	v_mul_f32_e32 v3, v5, v3
	v_fma_mix_f32 v2, v4, v2, -v3 op_sel_hi:[0,1,0]
	s_delay_alu instid0(VALU_DEP_3) | instskip(NEXT) | instid1(VALU_DEP_1)
	v_mul_f32_e32 v5, v5, v7
	v_fma_mix_f32 v3, v4, v6, v5 op_sel_hi:[0,1,0]
	s_delay_alu instid0(VALU_DEP_1)
	v_dual_mov_b32 v5, v3 :: v_dual_mov_b32 v4, v2
.LBB96_5:
	s_or_b32 exec_lo, exec_lo, s2
	s_delay_alu instid0(VALU_DEP_1) | instskip(NEXT) | instid1(VALU_DEP_1)
	v_and_b32_e32 v2, 0x7f800000, v4
	v_cmp_ne_u32_e32 vcc_lo, 0x7f800000, v2
                                        ; implicit-def: $vgpr2
	s_and_saveexec_b32 s0, vcc_lo
	s_delay_alu instid0(SALU_CYCLE_1)
	s_xor_b32 s0, exec_lo, s0
; %bb.6:
	v_bfe_u32 v2, v4, 16, 1
	s_delay_alu instid0(VALU_DEP_1)
	v_add3_u32 v2, v4, v2, 0x7fff
; %bb.7:
	s_and_not1_saveexec_b32 s0, s0
; %bb.8:
	v_and_b32_e32 v2, 0xffff, v4
	v_or_b32_e32 v3, 0x10000, v4
	s_delay_alu instid0(VALU_DEP_2) | instskip(NEXT) | instid1(VALU_DEP_2)
	v_cmp_eq_u32_e32 vcc_lo, 0, v2
	v_cndmask_b32_e32 v2, v3, v4, vcc_lo
; %bb.9:
	s_or_b32 exec_lo, exec_lo, s0
	v_and_b32_e32 v3, 0x7f800000, v5
	s_delay_alu instid0(VALU_DEP_1) | instskip(SKIP_1) | instid1(SALU_CYCLE_1)
	v_cmp_ne_u32_e32 vcc_lo, 0x7f800000, v3
                                        ; implicit-def: $vgpr3
	s_and_saveexec_b32 s0, vcc_lo
	s_xor_b32 s0, exec_lo, s0
; %bb.10:
	v_bfe_u32 v3, v5, 16, 1
	s_delay_alu instid0(VALU_DEP_1)
	v_add3_u32 v3, v5, v3, 0x7fff
                                        ; implicit-def: $vgpr4_vgpr5
; %bb.11:
	s_and_not1_saveexec_b32 s0, s0
; %bb.12:
	v_and_b32_e32 v3, 0xffff, v5
	v_or_b32_e32 v4, 0x10000, v5
	s_delay_alu instid0(VALU_DEP_2) | instskip(NEXT) | instid1(VALU_DEP_2)
	v_cmp_eq_u32_e32 vcc_lo, 0, v3
	v_cndmask_b32_e32 v3, v4, v5, vcc_lo
; %bb.13:
	s_or_b32 exec_lo, exec_lo, s0
	v_lshrrev_b32_e32 v2, 16, v2
	s_delay_alu instid0(VALU_DEP_1)
	v_and_or_b32 v2, 0xffff0000, v3, v2
	global_store_b32 v[0:1], v2, off
.LBB96_14:
	s_nop 0
	s_sendmsg sendmsg(MSG_DEALLOC_VGPRS)
	s_endpgm
	.section	.rodata,"a",@progbits
	.p2align	6, 0x0
	.amdhsa_kernel _ZN12tensorrt_llm7kernels21fusedQKNormRopeKernelIN3c108BFloat16ENS2_4HalfELi64ELb1EEEvPviiifPKvS7_S7_PKlii
		.amdhsa_group_segment_fixed_size 0
		.amdhsa_private_segment_fixed_size 0
		.amdhsa_kernarg_size 320
		.amdhsa_user_sgpr_count 15
		.amdhsa_user_sgpr_dispatch_ptr 0
		.amdhsa_user_sgpr_queue_ptr 0
		.amdhsa_user_sgpr_kernarg_segment_ptr 1
		.amdhsa_user_sgpr_dispatch_id 0
		.amdhsa_user_sgpr_private_segment_size 0
		.amdhsa_wavefront_size32 1
		.amdhsa_uses_dynamic_stack 0
		.amdhsa_enable_private_segment 0
		.amdhsa_system_sgpr_workgroup_id_x 1
		.amdhsa_system_sgpr_workgroup_id_y 0
		.amdhsa_system_sgpr_workgroup_id_z 0
		.amdhsa_system_sgpr_workgroup_info 0
		.amdhsa_system_vgpr_workitem_id 0
		.amdhsa_next_free_vgpr 12
		.amdhsa_next_free_sgpr 16
		.amdhsa_reserve_vcc 1
		.amdhsa_float_round_mode_32 0
		.amdhsa_float_round_mode_16_64 0
		.amdhsa_float_denorm_mode_32 3
		.amdhsa_float_denorm_mode_16_64 3
		.amdhsa_dx10_clamp 1
		.amdhsa_ieee_mode 1
		.amdhsa_fp16_overflow 0
		.amdhsa_workgroup_processor_mode 1
		.amdhsa_memory_ordered 1
		.amdhsa_forward_progress 0
		.amdhsa_shared_vgpr_count 0
		.amdhsa_exception_fp_ieee_invalid_op 0
		.amdhsa_exception_fp_denorm_src 0
		.amdhsa_exception_fp_ieee_div_zero 0
		.amdhsa_exception_fp_ieee_overflow 0
		.amdhsa_exception_fp_ieee_underflow 0
		.amdhsa_exception_fp_ieee_inexact 0
		.amdhsa_exception_int_div_zero 0
	.end_amdhsa_kernel
	.section	.text._ZN12tensorrt_llm7kernels21fusedQKNormRopeKernelIN3c108BFloat16ENS2_4HalfELi64ELb1EEEvPviiifPKvS7_S7_PKlii,"axG",@progbits,_ZN12tensorrt_llm7kernels21fusedQKNormRopeKernelIN3c108BFloat16ENS2_4HalfELi64ELb1EEEvPviiifPKvS7_S7_PKlii,comdat
.Lfunc_end96:
	.size	_ZN12tensorrt_llm7kernels21fusedQKNormRopeKernelIN3c108BFloat16ENS2_4HalfELi64ELb1EEEvPviiifPKvS7_S7_PKlii, .Lfunc_end96-_ZN12tensorrt_llm7kernels21fusedQKNormRopeKernelIN3c108BFloat16ENS2_4HalfELi64ELb1EEEvPviiifPKvS7_S7_PKlii
                                        ; -- End function
	.section	.AMDGPU.csdata,"",@progbits
; Kernel info:
; codeLenInByte = 1248
; NumSgprs: 18
; NumVgprs: 12
; ScratchSize: 0
; MemoryBound: 0
; FloatMode: 240
; IeeeMode: 1
; LDSByteSize: 0 bytes/workgroup (compile time only)
; SGPRBlocks: 2
; VGPRBlocks: 1
; NumSGPRsForWavesPerEU: 18
; NumVGPRsForWavesPerEU: 12
; Occupancy: 16
; WaveLimiterHint : 1
; COMPUTE_PGM_RSRC2:SCRATCH_EN: 0
; COMPUTE_PGM_RSRC2:USER_SGPR: 15
; COMPUTE_PGM_RSRC2:TRAP_HANDLER: 0
; COMPUTE_PGM_RSRC2:TGID_X_EN: 1
; COMPUTE_PGM_RSRC2:TGID_Y_EN: 0
; COMPUTE_PGM_RSRC2:TGID_Z_EN: 0
; COMPUTE_PGM_RSRC2:TIDIG_COMP_CNT: 0
	.section	.text._ZN12tensorrt_llm7kernels21fusedQKNormRopeKernelIN3c108BFloat16ENS2_4HalfELi64ELb0EEEvPviiifPKvS7_S7_PKlii,"axG",@progbits,_ZN12tensorrt_llm7kernels21fusedQKNormRopeKernelIN3c108BFloat16ENS2_4HalfELi64ELb0EEEvPviiifPKvS7_S7_PKlii,comdat
	.protected	_ZN12tensorrt_llm7kernels21fusedQKNormRopeKernelIN3c108BFloat16ENS2_4HalfELi64ELb0EEEvPviiifPKvS7_S7_PKlii ; -- Begin function _ZN12tensorrt_llm7kernels21fusedQKNormRopeKernelIN3c108BFloat16ENS2_4HalfELi64ELb0EEEvPviiifPKvS7_S7_PKlii
	.globl	_ZN12tensorrt_llm7kernels21fusedQKNormRopeKernelIN3c108BFloat16ENS2_4HalfELi64ELb0EEEvPviiifPKvS7_S7_PKlii
	.p2align	8
	.type	_ZN12tensorrt_llm7kernels21fusedQKNormRopeKernelIN3c108BFloat16ENS2_4HalfELi64ELb0EEEvPviiifPKvS7_S7_PKlii,@function
_ZN12tensorrt_llm7kernels21fusedQKNormRopeKernelIN3c108BFloat16ENS2_4HalfELi64ELb0EEEvPviiifPKvS7_S7_PKlii: ; @_ZN12tensorrt_llm7kernels21fusedQKNormRopeKernelIN3c108BFloat16ENS2_4HalfELi64ELb0EEEvPviiifPKvS7_S7_PKlii
; %bb.0:
	s_clause 0x2
	s_load_b128 s[8:11], s[0:1], 0x8
	s_load_b64 s[12:13], s[0:1], 0x38
	s_load_b32 s4, s[0:1], 0x4c
	v_lshrrev_b32_e32 v3, 5, v0
	s_waitcnt lgkmcnt(0)
	s_add_i32 s2, s9, s8
	s_bfe_u32 s4, s4, 0xb0005
	s_abs_i32 s3, s2
	s_delay_alu instid0(SALU_CYCLE_1) | instskip(SKIP_1) | instid1(VALU_DEP_1)
	v_cvt_f32_u32_e32 v1, s3
	s_sub_i32 s5, 0, s3
	v_rcp_iflag_f32_e32 v1, v1
	s_waitcnt_depctr 0xfff
	v_mul_f32_e32 v1, 0x4f7ffffe, v1
	s_delay_alu instid0(VALU_DEP_1) | instskip(NEXT) | instid1(VALU_DEP_1)
	v_cvt_u32_f32_e32 v4, v1
	v_mul_lo_u32 v5, s5, v4
	v_mad_u64_u32 v[1:2], null, s15, s4, v[3:4]
	s_delay_alu instid0(VALU_DEP_2) | instskip(NEXT) | instid1(VALU_DEP_2)
	v_mul_hi_u32 v2, v4, v5
	v_sub_nc_u32_e32 v3, 0, v1
	s_delay_alu instid0(VALU_DEP_1) | instskip(NEXT) | instid1(VALU_DEP_3)
	v_max_i32_e32 v3, v1, v3
	v_add_nc_u32_e32 v2, v4, v2
	s_delay_alu instid0(VALU_DEP_1) | instskip(NEXT) | instid1(VALU_DEP_1)
	v_mul_hi_u32 v2, v3, v2
	v_mul_lo_u32 v4, v2, s3
	s_delay_alu instid0(VALU_DEP_1) | instskip(NEXT) | instid1(VALU_DEP_1)
	v_sub_nc_u32_e32 v3, v3, v4
	v_subrev_nc_u32_e32 v5, s3, v3
	v_cmp_le_u32_e32 vcc_lo, s3, v3
	s_delay_alu instid0(VALU_DEP_2) | instskip(NEXT) | instid1(VALU_DEP_1)
	v_dual_cndmask_b32 v3, v3, v5 :: v_dual_add_nc_u32 v4, 1, v2
	v_cndmask_b32_e32 v2, v2, v4, vcc_lo
	v_xor_b32_e32 v4, s2, v1
	s_delay_alu instid0(VALU_DEP_3) | instskip(NEXT) | instid1(VALU_DEP_3)
	v_cmp_le_u32_e32 vcc_lo, s3, v3
	v_add_nc_u32_e32 v5, 1, v2
	s_delay_alu instid0(VALU_DEP_3) | instskip(SKIP_1) | instid1(VALU_DEP_2)
	v_ashrrev_i32_e32 v4, 31, v4
	s_mov_b32 s3, exec_lo
	v_cndmask_b32_e32 v2, v2, v5, vcc_lo
	s_delay_alu instid0(VALU_DEP_1) | instskip(NEXT) | instid1(VALU_DEP_1)
	v_xor_b32_e32 v2, v2, v4
	v_sub_nc_u32_e32 v4, v2, v4
	s_delay_alu instid0(VALU_DEP_1)
	v_cmpx_gt_i32_e64 s12, v4
	s_cbranch_execz .LBB97_12
; %bb.1:
	v_mul_lo_u32 v2, v4, s2
	s_add_i32 s2, s2, s10
	s_delay_alu instid0(SALU_CYCLE_1) | instskip(SKIP_1) | instid1(VALU_DEP_2)
	v_mul_lo_u32 v5, v4, s2
	s_load_b64 s[2:3], s[0:1], 0x0
	v_sub_nc_u32_e32 v1, v1, v2
	v_and_b32_e32 v2, 31, v0
	s_delay_alu instid0(VALU_DEP_2) | instskip(SKIP_1) | instid1(VALU_DEP_1)
	v_cmp_gt_i32_e32 vcc_lo, s8, v1
	v_cndmask_b32_e64 v3, s8, 0, vcc_lo
	v_sub_nc_u32_e32 v0, v1, v3
	s_delay_alu instid0(VALU_DEP_4) | instskip(NEXT) | instid1(VALU_DEP_2)
	v_lshlrev_b32_e32 v1, 1, v2
	v_add3_u32 v0, v5, v3, v0
	s_delay_alu instid0(VALU_DEP_1) | instskip(NEXT) | instid1(VALU_DEP_1)
	v_lshl_or_b32 v0, v0, 6, v1
	v_ashrrev_i32_e32 v1, 31, v0
	s_delay_alu instid0(VALU_DEP_1) | instskip(SKIP_1) | instid1(VALU_DEP_1)
	v_lshlrev_b64 v[0:1], 1, v[0:1]
	s_waitcnt lgkmcnt(0)
	v_add_co_u32 v0, s2, s2, v0
	s_delay_alu instid0(VALU_DEP_1)
	v_add_co_ci_u32_e64 v1, s2, s3, v1, s2
	s_load_b256 s[0:7], s[0:1], 0x18
	global_load_b32 v3, v[0:1], off
	s_waitcnt lgkmcnt(0)
	v_dual_mov_b32 v6, s1 :: v_dual_mov_b32 v5, s0
	v_lshlrev_b32_e32 v8, 2, v2
	s_lshr_b32 s0, s13, 31
	s_delay_alu instid0(VALU_DEP_2) | instskip(NEXT) | instid1(VALU_DEP_3)
	v_cndmask_b32_e32 v6, s3, v6, vcc_lo
	v_cndmask_b32_e32 v5, s2, v5, vcc_lo
	s_add_i32 s0, s13, s0
	s_mov_b32 s2, exec_lo
	s_ashr_i32 s0, s0, 1
	s_delay_alu instid0(VALU_DEP_1) | instskip(SKIP_3) | instid1(VALU_DEP_2)
	v_add_co_u32 v5, vcc_lo, v5, v8
	s_waitcnt vmcnt(0)
	v_lshlrev_b32_e32 v9, 16, v3
	v_add_co_ci_u32_e32 v6, vcc_lo, 0, v6, vcc_lo
	v_dual_mul_f32 v10, v9, v9 :: v_dual_and_b32 v3, 0xffff0000, v3
	global_load_b32 v5, v[5:6], off
	v_mbcnt_lo_u32_b32 v6, -1, 0
	v_fmac_f32_e32 v10, v3, v3
	s_delay_alu instid0(VALU_DEP_2) | instskip(SKIP_1) | instid1(VALU_DEP_2)
	v_xor_b32_e32 v7, 16, v6
	v_xor_b32_e32 v11, 8, v6
	v_cmp_gt_i32_e32 vcc_lo, 32, v7
	v_cndmask_b32_e32 v7, v6, v7, vcc_lo
	s_delay_alu instid0(VALU_DEP_3) | instskip(NEXT) | instid1(VALU_DEP_2)
	v_cmp_gt_i32_e32 vcc_lo, 32, v11
	v_lshlrev_b32_e32 v7, 2, v7
	v_cndmask_b32_e32 v11, v6, v11, vcc_lo
	ds_bpermute_b32 v7, v7, v10
	v_lshlrev_b32_e32 v11, 2, v11
	s_waitcnt lgkmcnt(0)
	v_add_f32_e32 v7, v10, v7
	ds_bpermute_b32 v10, v11, v7
	v_xor_b32_e32 v11, 4, v6
	s_delay_alu instid0(VALU_DEP_1) | instskip(SKIP_1) | instid1(VALU_DEP_1)
	v_cmp_gt_i32_e32 vcc_lo, 32, v11
	v_cndmask_b32_e32 v11, v6, v11, vcc_lo
	v_lshlrev_b32_e32 v11, 2, v11
	s_waitcnt lgkmcnt(0)
	v_add_f32_e32 v7, v7, v10
	ds_bpermute_b32 v10, v11, v7
	v_xor_b32_e32 v11, 2, v6
	s_delay_alu instid0(VALU_DEP_1) | instskip(SKIP_1) | instid1(VALU_DEP_1)
	v_cmp_gt_i32_e32 vcc_lo, 32, v11
	v_cndmask_b32_e32 v11, v6, v11, vcc_lo
	;; [unrolled: 8-line block ×3, first 2 shown]
	v_lshlrev_b32_e32 v11, 2, v11
	s_waitcnt lgkmcnt(0)
	v_add_f32_e32 v7, v7, v10
	ds_bpermute_b32 v10, v11, v7
	v_mov_b32_e32 v11, s11
	s_waitcnt lgkmcnt(0)
	v_add_f32_e32 v7, v7, v10
	s_delay_alu instid0(VALU_DEP_1) | instskip(NEXT) | instid1(VALU_DEP_1)
	v_fmamk_f32 v7, v7, 0x3c800000, v11
	v_mul_f32_e32 v10, 0x4b800000, v7
	v_cmp_gt_f32_e32 vcc_lo, 0x800000, v7
	s_waitcnt vmcnt(0)
	v_lshlrev_b32_e32 v11, 16, v5
	s_delay_alu instid0(VALU_DEP_3) | instskip(SKIP_1) | instid1(VALU_DEP_2)
	v_cndmask_b32_e32 v7, v7, v10, vcc_lo
	v_and_b32_e32 v5, 0xffff0000, v5
	v_rsq_f32_e32 v7, v7
	s_waitcnt_depctr 0xfff
	v_mul_f32_e32 v10, 0x45800000, v7
	s_delay_alu instid0(VALU_DEP_1) | instskip(NEXT) | instid1(VALU_DEP_1)
	v_cndmask_b32_e32 v7, v7, v10, vcc_lo
	v_mul_f32_e32 v10, v7, v11
	v_mul_f32_e32 v5, v7, v5
	s_delay_alu instid0(VALU_DEP_2) | instskip(NEXT) | instid1(VALU_DEP_2)
	v_mul_f32_e32 v7, v10, v9
	v_mul_f32_e32 v3, v5, v3
	v_cmpx_gt_i32_e64 s0, v2
	s_cbranch_execz .LBB97_3
; %bb.2:
	v_ashrrev_i32_e32 v5, 31, v4
	s_abs_i32 s3, s13
	s_delay_alu instid0(SALU_CYCLE_1) | instskip(SKIP_1) | instid1(VALU_DEP_2)
	v_cvt_f32_u32_e32 v9, s3
	s_sub_i32 s1, 0, s3
	v_lshlrev_b64 v[4:5], 3, v[4:5]
	s_delay_alu instid0(VALU_DEP_2) | instskip(NEXT) | instid1(VALU_DEP_1)
	v_rcp_iflag_f32_e32 v9, v9
	v_add_co_u32 v4, vcc_lo, s6, v4
	s_delay_alu instid0(VALU_DEP_2) | instskip(SKIP_4) | instid1(VALU_DEP_1)
	v_add_co_ci_u32_e32 v5, vcc_lo, s7, v5, vcc_lo
	s_waitcnt_depctr 0xfff
	v_mul_f32_e32 v9, 0x4f7ffffe, v9
	global_load_b64 v[4:5], v[4:5], off
	; wave barrier
	v_cvt_u32_f32_e32 v9, v9
	v_mul_lo_u32 v10, s1, v9
	s_ashr_i32 s1, s13, 31
	s_delay_alu instid0(VALU_DEP_1) | instskip(NEXT) | instid1(VALU_DEP_1)
	v_mul_hi_u32 v10, v9, v10
	v_add_nc_u32_e32 v9, v9, v10
	v_or_b32_e32 v10, 2, v8
	s_delay_alu instid0(VALU_DEP_2) | instskip(NEXT) | instid1(VALU_DEP_2)
	v_mul_hi_u32 v11, v8, v9
	v_mul_hi_u32 v9, v10, v9
	s_delay_alu instid0(VALU_DEP_2) | instskip(NEXT) | instid1(VALU_DEP_2)
	v_mul_lo_u32 v11, v11, s3
	v_mul_lo_u32 v9, v9, s3
	s_delay_alu instid0(VALU_DEP_2) | instskip(NEXT) | instid1(VALU_DEP_2)
	v_sub_nc_u32_e32 v11, v8, v11
	v_sub_nc_u32_e32 v10, v10, v9
	s_delay_alu instid0(VALU_DEP_2) | instskip(SKIP_1) | instid1(VALU_DEP_2)
	v_subrev_nc_u32_e32 v12, s3, v11
	v_cmp_le_u32_e32 vcc_lo, s3, v11
	v_cndmask_b32_e32 v11, v11, v12, vcc_lo
	s_delay_alu instid0(VALU_DEP_4) | instskip(NEXT) | instid1(VALU_DEP_2)
	v_cmp_le_u32_e32 vcc_lo, s3, v10
	v_subrev_nc_u32_e32 v12, s3, v11
	s_waitcnt vmcnt(0)
	v_mul_lo_u32 v5, v5, s13
	v_mul_lo_u32 v13, v4, s1
	v_mad_u64_u32 v[8:9], null, v4, s13, 0
	v_subrev_nc_u32_e32 v4, s3, v10
	s_mov_b32 s1, 0
	s_delay_alu instid0(SALU_CYCLE_1) | instskip(SKIP_1) | instid1(VALU_DEP_1)
	s_lshl_b64 s[6:7], s[0:1], 1
	s_lshr_b32 s0, s0, 1
	v_cndmask_b32_e32 v10, v10, v4, vcc_lo
	s_delay_alu instid0(VALU_DEP_3) | instskip(SKIP_1) | instid1(VALU_DEP_3)
	v_add3_u32 v9, v9, v13, v5
	v_cmp_le_u32_e32 vcc_lo, s3, v11
	v_subrev_nc_u32_e32 v13, s3, v10
	s_delay_alu instid0(VALU_DEP_3) | instskip(SKIP_2) | instid1(VALU_DEP_2)
	v_lshlrev_b64 v[4:5], 1, v[8:9]
	v_cndmask_b32_e32 v8, v11, v12, vcc_lo
	v_cmp_le_u32_e32 vcc_lo, s3, v10
	v_dual_cndmask_b32 v9, v10, v13 :: v_dual_and_b32 v12, -2, v8
	s_delay_alu instid0(VALU_DEP_4) | instskip(SKIP_1) | instid1(VALU_DEP_3)
	v_add_co_u32 v10, vcc_lo, s4, v4
	v_add_co_ci_u32_e32 v11, vcc_lo, s5, v5, vcc_lo
	v_and_b32_e32 v14, -2, v9
	s_delay_alu instid0(VALU_DEP_3) | instskip(NEXT) | instid1(VALU_DEP_3)
	v_add_co_u32 v8, vcc_lo, v10, s6
	v_add_co_ci_u32_e32 v13, vcc_lo, s7, v11, vcc_lo
	s_delay_alu instid0(VALU_DEP_2) | instskip(NEXT) | instid1(VALU_DEP_2)
	v_add_co_u32 v4, vcc_lo, v8, v12
	v_add_co_ci_u32_e32 v5, vcc_lo, 0, v13, vcc_lo
	v_add_co_u32 v8, vcc_lo, v8, v14
	v_add_co_ci_u32_e32 v9, vcc_lo, 0, v13, vcc_lo
	s_clause 0x1
	global_load_u16 v13, v[4:5], off
	global_load_u16 v15, v[8:9], off
	v_add_co_u32 v4, vcc_lo, v10, v12
	v_add_co_ci_u32_e32 v5, vcc_lo, 0, v11, vcc_lo
	v_add_co_u32 v8, vcc_lo, v10, v14
	v_add_co_ci_u32_e32 v9, vcc_lo, 0, v11, vcc_lo
	s_clause 0x1
	global_load_u16 v4, v[4:5], off
	global_load_u16 v5, v[8:9], off
	v_xor_b32_e32 v8, s0, v6
	; wave barrier
	s_delay_alu instid0(VALU_DEP_1) | instskip(SKIP_2) | instid1(VALU_DEP_2)
	v_cmp_gt_i32_e32 vcc_lo, 32, v8
	v_cndmask_b32_e32 v6, v6, v8, vcc_lo
	v_cmp_gt_u32_e32 vcc_lo, s0, v2
	v_lshlrev_b32_e32 v6, 2, v6
	ds_bpermute_b32 v8, v6, v7
	ds_bpermute_b32 v6, v6, v3
	s_waitcnt lgkmcnt(1)
	v_cndmask_b32_e64 v2, v8, -v8, vcc_lo
	s_waitcnt lgkmcnt(0)
	v_cndmask_b32_e64 v6, v6, -v6, vcc_lo
	s_waitcnt vmcnt(3)
	v_cvt_f32_f16_e32 v8, v13
	s_waitcnt vmcnt(2)
	v_cvt_f32_f16_e32 v9, v15
	s_delay_alu instid0(VALU_DEP_2) | instskip(NEXT) | instid1(VALU_DEP_2)
	v_mul_f32_e32 v2, v2, v8
	v_mul_f32_e32 v6, v6, v9
	s_waitcnt vmcnt(1)
	s_delay_alu instid0(VALU_DEP_2) | instskip(SKIP_1) | instid1(VALU_DEP_2)
	v_fma_mix_f32 v7, v7, v4, v2 op_sel_hi:[0,1,0]
	s_waitcnt vmcnt(0)
	v_fma_mix_f32 v3, v3, v5, v6 op_sel_hi:[0,1,0]
.LBB97_3:
	s_or_b32 exec_lo, exec_lo, s2
	s_delay_alu instid0(VALU_DEP_2) | instskip(SKIP_1) | instid1(VALU_DEP_1)
	v_and_b32_e32 v2, 0x7f800000, v7
	s_mov_b32 s0, exec_lo
                                        ; implicit-def: $vgpr4
	v_cmpx_ne_u32_e32 0x7f800000, v2
	s_xor_b32 s0, exec_lo, s0
; %bb.4:
	v_bfe_u32 v2, v7, 16, 1
	s_delay_alu instid0(VALU_DEP_1)
	v_add3_u32 v4, v7, v2, 0x7fff
; %bb.5:
	s_and_not1_saveexec_b32 s0, s0
; %bb.6:
	v_and_b32_e32 v2, 0xffff, v7
	v_or_b32_e32 v4, 0x10000, v7
	s_delay_alu instid0(VALU_DEP_2) | instskip(NEXT) | instid1(VALU_DEP_2)
	v_cmp_eq_u32_e32 vcc_lo, 0, v2
	v_cndmask_b32_e32 v4, v4, v7, vcc_lo
; %bb.7:
	s_or_b32 exec_lo, exec_lo, s0
	v_and_b32_e32 v2, 0x7f800000, v3
	s_mov_b32 s0, exec_lo
                                        ; implicit-def: $vgpr5
	s_delay_alu instid0(VALU_DEP_1)
	v_cmpx_ne_u32_e32 0x7f800000, v2
	s_xor_b32 s0, exec_lo, s0
; %bb.8:
	v_bfe_u32 v2, v3, 16, 1
	s_delay_alu instid0(VALU_DEP_1)
	v_add3_u32 v5, v3, v2, 0x7fff
                                        ; implicit-def: $vgpr2_vgpr3
; %bb.9:
	s_and_not1_saveexec_b32 s0, s0
; %bb.10:
	v_and_b32_e32 v2, 0xffff, v3
	v_or_b32_e32 v5, 0x10000, v3
	s_delay_alu instid0(VALU_DEP_2) | instskip(NEXT) | instid1(VALU_DEP_2)
	v_cmp_eq_u32_e32 vcc_lo, 0, v2
	v_cndmask_b32_e32 v5, v5, v3, vcc_lo
; %bb.11:
	s_or_b32 exec_lo, exec_lo, s0
	v_lshrrev_b32_e32 v2, 16, v4
	s_delay_alu instid0(VALU_DEP_1)
	v_and_or_b32 v2, 0xffff0000, v5, v2
	global_store_b32 v[0:1], v2, off
.LBB97_12:
	s_nop 0
	s_sendmsg sendmsg(MSG_DEALLOC_VGPRS)
	s_endpgm
	.section	.rodata,"a",@progbits
	.p2align	6, 0x0
	.amdhsa_kernel _ZN12tensorrt_llm7kernels21fusedQKNormRopeKernelIN3c108BFloat16ENS2_4HalfELi64ELb0EEEvPviiifPKvS7_S7_PKlii
		.amdhsa_group_segment_fixed_size 0
		.amdhsa_private_segment_fixed_size 0
		.amdhsa_kernarg_size 320
		.amdhsa_user_sgpr_count 15
		.amdhsa_user_sgpr_dispatch_ptr 0
		.amdhsa_user_sgpr_queue_ptr 0
		.amdhsa_user_sgpr_kernarg_segment_ptr 1
		.amdhsa_user_sgpr_dispatch_id 0
		.amdhsa_user_sgpr_private_segment_size 0
		.amdhsa_wavefront_size32 1
		.amdhsa_uses_dynamic_stack 0
		.amdhsa_enable_private_segment 0
		.amdhsa_system_sgpr_workgroup_id_x 1
		.amdhsa_system_sgpr_workgroup_id_y 0
		.amdhsa_system_sgpr_workgroup_id_z 0
		.amdhsa_system_sgpr_workgroup_info 0
		.amdhsa_system_vgpr_workitem_id 0
		.amdhsa_next_free_vgpr 16
		.amdhsa_next_free_sgpr 16
		.amdhsa_reserve_vcc 1
		.amdhsa_float_round_mode_32 0
		.amdhsa_float_round_mode_16_64 0
		.amdhsa_float_denorm_mode_32 3
		.amdhsa_float_denorm_mode_16_64 3
		.amdhsa_dx10_clamp 1
		.amdhsa_ieee_mode 1
		.amdhsa_fp16_overflow 0
		.amdhsa_workgroup_processor_mode 1
		.amdhsa_memory_ordered 1
		.amdhsa_forward_progress 0
		.amdhsa_shared_vgpr_count 0
		.amdhsa_exception_fp_ieee_invalid_op 0
		.amdhsa_exception_fp_denorm_src 0
		.amdhsa_exception_fp_ieee_div_zero 0
		.amdhsa_exception_fp_ieee_overflow 0
		.amdhsa_exception_fp_ieee_underflow 0
		.amdhsa_exception_fp_ieee_inexact 0
		.amdhsa_exception_int_div_zero 0
	.end_amdhsa_kernel
	.section	.text._ZN12tensorrt_llm7kernels21fusedQKNormRopeKernelIN3c108BFloat16ENS2_4HalfELi64ELb0EEEvPviiifPKvS7_S7_PKlii,"axG",@progbits,_ZN12tensorrt_llm7kernels21fusedQKNormRopeKernelIN3c108BFloat16ENS2_4HalfELi64ELb0EEEvPviiifPKvS7_S7_PKlii,comdat
.Lfunc_end97:
	.size	_ZN12tensorrt_llm7kernels21fusedQKNormRopeKernelIN3c108BFloat16ENS2_4HalfELi64ELb0EEEvPviiifPKvS7_S7_PKlii, .Lfunc_end97-_ZN12tensorrt_llm7kernels21fusedQKNormRopeKernelIN3c108BFloat16ENS2_4HalfELi64ELb0EEEvPviiifPKvS7_S7_PKlii
                                        ; -- End function
	.section	.AMDGPU.csdata,"",@progbits
; Kernel info:
; codeLenInByte = 1536
; NumSgprs: 18
; NumVgprs: 16
; ScratchSize: 0
; MemoryBound: 0
; FloatMode: 240
; IeeeMode: 1
; LDSByteSize: 0 bytes/workgroup (compile time only)
; SGPRBlocks: 2
; VGPRBlocks: 1
; NumSGPRsForWavesPerEU: 18
; NumVGPRsForWavesPerEU: 16
; Occupancy: 16
; WaveLimiterHint : 1
; COMPUTE_PGM_RSRC2:SCRATCH_EN: 0
; COMPUTE_PGM_RSRC2:USER_SGPR: 15
; COMPUTE_PGM_RSRC2:TRAP_HANDLER: 0
; COMPUTE_PGM_RSRC2:TGID_X_EN: 1
; COMPUTE_PGM_RSRC2:TGID_Y_EN: 0
; COMPUTE_PGM_RSRC2:TGID_Z_EN: 0
; COMPUTE_PGM_RSRC2:TIDIG_COMP_CNT: 0
	.section	.text._ZN12tensorrt_llm7kernels21fusedQKNormRopeKernelIN3c108BFloat16ENS2_4HalfELi128ELb1EEEvPviiifPKvS7_S7_PKlii,"axG",@progbits,_ZN12tensorrt_llm7kernels21fusedQKNormRopeKernelIN3c108BFloat16ENS2_4HalfELi128ELb1EEEvPviiifPKvS7_S7_PKlii,comdat
	.protected	_ZN12tensorrt_llm7kernels21fusedQKNormRopeKernelIN3c108BFloat16ENS2_4HalfELi128ELb1EEEvPviiifPKvS7_S7_PKlii ; -- Begin function _ZN12tensorrt_llm7kernels21fusedQKNormRopeKernelIN3c108BFloat16ENS2_4HalfELi128ELb1EEEvPviiifPKvS7_S7_PKlii
	.globl	_ZN12tensorrt_llm7kernels21fusedQKNormRopeKernelIN3c108BFloat16ENS2_4HalfELi128ELb1EEEvPviiifPKvS7_S7_PKlii
	.p2align	8
	.type	_ZN12tensorrt_llm7kernels21fusedQKNormRopeKernelIN3c108BFloat16ENS2_4HalfELi128ELb1EEEvPviiifPKvS7_S7_PKlii,@function
_ZN12tensorrt_llm7kernels21fusedQKNormRopeKernelIN3c108BFloat16ENS2_4HalfELi128ELb1EEEvPviiifPKvS7_S7_PKlii: ; @_ZN12tensorrt_llm7kernels21fusedQKNormRopeKernelIN3c108BFloat16ENS2_4HalfELi128ELb1EEEvPviiifPKvS7_S7_PKlii
; %bb.0:
	s_clause 0x2
	s_load_b128 s[8:11], s[0:1], 0x8
	s_load_b64 s[12:13], s[0:1], 0x38
	s_load_b32 s4, s[0:1], 0x4c
	v_lshrrev_b32_e32 v3, 5, v0
	s_waitcnt lgkmcnt(0)
	s_add_i32 s2, s9, s8
	s_bfe_u32 s4, s4, 0xb0005
	s_abs_i32 s3, s2
	s_delay_alu instid0(SALU_CYCLE_1) | instskip(SKIP_1) | instid1(VALU_DEP_1)
	v_cvt_f32_u32_e32 v1, s3
	s_sub_i32 s5, 0, s3
	v_rcp_iflag_f32_e32 v1, v1
	s_waitcnt_depctr 0xfff
	v_mul_f32_e32 v1, 0x4f7ffffe, v1
	s_delay_alu instid0(VALU_DEP_1) | instskip(NEXT) | instid1(VALU_DEP_1)
	v_cvt_u32_f32_e32 v4, v1
	v_mul_lo_u32 v5, s5, v4
	v_mad_u64_u32 v[1:2], null, s15, s4, v[3:4]
	s_delay_alu instid0(VALU_DEP_2) | instskip(NEXT) | instid1(VALU_DEP_2)
	v_mul_hi_u32 v2, v4, v5
	v_sub_nc_u32_e32 v3, 0, v1
	s_delay_alu instid0(VALU_DEP_1) | instskip(NEXT) | instid1(VALU_DEP_3)
	v_max_i32_e32 v3, v1, v3
	v_add_nc_u32_e32 v2, v4, v2
	s_delay_alu instid0(VALU_DEP_1) | instskip(NEXT) | instid1(VALU_DEP_1)
	v_mul_hi_u32 v2, v3, v2
	v_mul_lo_u32 v4, v2, s3
	s_delay_alu instid0(VALU_DEP_1) | instskip(NEXT) | instid1(VALU_DEP_1)
	v_sub_nc_u32_e32 v3, v3, v4
	v_subrev_nc_u32_e32 v5, s3, v3
	v_cmp_le_u32_e32 vcc_lo, s3, v3
	s_delay_alu instid0(VALU_DEP_2) | instskip(NEXT) | instid1(VALU_DEP_1)
	v_dual_cndmask_b32 v3, v3, v5 :: v_dual_add_nc_u32 v4, 1, v2
	v_cndmask_b32_e32 v2, v2, v4, vcc_lo
	v_xor_b32_e32 v4, s2, v1
	s_delay_alu instid0(VALU_DEP_3) | instskip(NEXT) | instid1(VALU_DEP_3)
	v_cmp_le_u32_e32 vcc_lo, s3, v3
	v_add_nc_u32_e32 v5, 1, v2
	s_delay_alu instid0(VALU_DEP_3) | instskip(SKIP_1) | instid1(VALU_DEP_2)
	v_ashrrev_i32_e32 v4, 31, v4
	s_mov_b32 s3, exec_lo
	v_cndmask_b32_e32 v2, v2, v5, vcc_lo
	s_delay_alu instid0(VALU_DEP_1) | instskip(NEXT) | instid1(VALU_DEP_1)
	v_xor_b32_e32 v2, v2, v4
	v_sub_nc_u32_e32 v6, v2, v4
	s_delay_alu instid0(VALU_DEP_1)
	v_cmpx_gt_i32_e64 s12, v6
	s_cbranch_execz .LBB98_22
; %bb.1:
	v_mul_lo_u32 v2, v6, s2
	s_add_i32 s2, s2, s10
	v_and_b32_e32 v7, 31, v0
	v_mul_lo_u32 v3, v6, s2
	s_load_b64 s[2:3], s[0:1], 0x0
	v_mbcnt_lo_u32_b32 v10, -1, 0
	s_delay_alu instid0(VALU_DEP_3) | instskip(SKIP_1) | instid1(VALU_DEP_3)
	v_lshlrev_b32_e32 v8, 2, v7
	v_sub_nc_u32_e32 v1, v1, v2
	v_xor_b32_e32 v13, 16, v10
	s_delay_alu instid0(VALU_DEP_2) | instskip(SKIP_1) | instid1(VALU_DEP_1)
	v_cmp_gt_i32_e32 vcc_lo, s8, v1
	v_cndmask_b32_e64 v2, s8, 0, vcc_lo
	v_sub_nc_u32_e32 v0, v1, v2
	s_delay_alu instid0(VALU_DEP_1) | instskip(NEXT) | instid1(VALU_DEP_1)
	v_add3_u32 v0, v3, v2, v0
	v_lshl_or_b32 v0, v0, 7, v8
	s_delay_alu instid0(VALU_DEP_1) | instskip(NEXT) | instid1(VALU_DEP_1)
	v_ashrrev_i32_e32 v1, 31, v0
	v_lshlrev_b64 v[0:1], 1, v[0:1]
	s_waitcnt lgkmcnt(0)
	s_delay_alu instid0(VALU_DEP_1) | instskip(NEXT) | instid1(VALU_DEP_1)
	v_add_co_u32 v4, s2, s2, v0
	v_add_co_ci_u32_e64 v5, s2, s3, v1, s2
	s_load_b256 s[0:7], s[0:1], 0x18
	global_load_b64 v[0:1], v[4:5], off
	s_waitcnt lgkmcnt(0)
	v_dual_mov_b32 v3, s1 :: v_dual_mov_b32 v2, s0
	v_lshlrev_b32_e32 v9, 3, v7
	s_ashr_i32 s1, s13, 31
	s_delay_alu instid0(VALU_DEP_2) | instskip(NEXT) | instid1(VALU_DEP_3)
	v_cndmask_b32_e32 v3, s3, v3, vcc_lo
	v_cndmask_b32_e32 v2, s2, v2, vcc_lo
	s_lshr_b32 s0, s1, 30
	s_delay_alu instid0(SALU_CYCLE_1) | instskip(NEXT) | instid1(VALU_DEP_1)
	s_add_i32 s0, s13, s0
	v_add_co_u32 v2, vcc_lo, v2, v9
	s_ashr_i32 s0, s0, 2
	s_waitcnt vmcnt(0)
	v_alignbit_b32 v11, v1, v0, 16
	v_and_b32_e32 v14, 0xffff0000, v1
	s_delay_alu instid0(VALU_DEP_2)
	v_and_b32_e32 v11, 0xffff0000, v11
	v_and_b32_e32 v9, 0xffff0000, v0
	v_lshlrev_b32_e32 v0, 16, v0
	v_add_co_ci_u32_e32 v3, vcc_lo, 0, v3, vcc_lo
	v_cmp_gt_i32_e32 vcc_lo, 32, v13
	global_load_b64 v[2:3], v[2:3], off
	v_mul_f32_e32 v12, v9, v9
	s_delay_alu instid0(VALU_DEP_1) | instskip(NEXT) | instid1(VALU_DEP_1)
	v_dual_cndmask_b32 v13, v10, v13 :: v_dual_fmac_f32 v12, v0, v0
	v_dual_fmac_f32 v12, v11, v11 :: v_dual_lshlrev_b32 v1, 2, v13
	v_xor_b32_e32 v13, 8, v10
	s_delay_alu instid0(VALU_DEP_2) | instskip(NEXT) | instid1(VALU_DEP_2)
	v_fmac_f32_e32 v12, v14, v14
	v_cmp_gt_i32_e32 vcc_lo, 32, v13
	ds_bpermute_b32 v1, v1, v12
	v_cndmask_b32_e32 v13, v10, v13, vcc_lo
	s_delay_alu instid0(VALU_DEP_1) | instskip(SKIP_4) | instid1(VALU_DEP_1)
	v_lshlrev_b32_e32 v13, 2, v13
	s_waitcnt lgkmcnt(0)
	v_add_f32_e32 v1, v12, v1
	ds_bpermute_b32 v12, v13, v1
	v_xor_b32_e32 v13, 4, v10
	v_cmp_gt_i32_e32 vcc_lo, 32, v13
	v_cndmask_b32_e32 v13, v10, v13, vcc_lo
	s_delay_alu instid0(VALU_DEP_1) | instskip(SKIP_4) | instid1(VALU_DEP_1)
	v_lshlrev_b32_e32 v13, 2, v13
	s_waitcnt lgkmcnt(0)
	v_add_f32_e32 v1, v1, v12
	ds_bpermute_b32 v12, v13, v1
	v_xor_b32_e32 v13, 2, v10
	v_cmp_gt_i32_e32 vcc_lo, 32, v13
	v_cndmask_b32_e32 v13, v10, v13, vcc_lo
	s_delay_alu instid0(VALU_DEP_1) | instskip(SKIP_4) | instid1(VALU_DEP_1)
	v_lshlrev_b32_e32 v13, 2, v13
	s_waitcnt lgkmcnt(0)
	v_add_f32_e32 v1, v1, v12
	ds_bpermute_b32 v12, v13, v1
	v_xor_b32_e32 v13, 1, v10
	v_cmp_gt_i32_e32 vcc_lo, 32, v13
	v_cndmask_b32_e32 v10, v10, v13, vcc_lo
	s_waitcnt lgkmcnt(0)
	s_delay_alu instid0(VALU_DEP_1) | instskip(SKIP_4) | instid1(VALU_DEP_1)
	v_dual_add_f32 v1, v1, v12 :: v_dual_lshlrev_b32 v10, 2, v10
	v_mov_b32_e32 v12, s11
	ds_bpermute_b32 v10, v10, v1
	s_waitcnt lgkmcnt(0)
	v_add_f32_e32 v1, v1, v10
	v_fmamk_f32 v1, v1, 0x3c000000, v12
	s_delay_alu instid0(VALU_DEP_1) | instskip(SKIP_1) | instid1(VALU_DEP_2)
	v_mul_f32_e32 v10, 0x4b800000, v1
	v_cmp_gt_f32_e32 vcc_lo, 0x800000, v1
	v_cndmask_b32_e32 v1, v1, v10, vcc_lo
	s_delay_alu instid0(VALU_DEP_1) | instskip(SKIP_2) | instid1(VALU_DEP_1)
	v_rsq_f32_e32 v1, v1
	s_waitcnt_depctr 0xfff
	v_mul_f32_e32 v10, 0x45800000, v1
	v_cndmask_b32_e32 v1, v1, v10, vcc_lo
	v_cmp_le_i32_e32 vcc_lo, s0, v7
	s_waitcnt vmcnt(0)
	v_and_b32_e32 v12, 0xffff0000, v2
	v_lshlrev_b32_e32 v2, 16, v2
	v_and_b32_e32 v10, 0xffff0000, v3
	s_delay_alu instid0(VALU_DEP_3) | instskip(NEXT) | instid1(VALU_DEP_3)
	v_dual_mul_f32 v12, v1, v12 :: v_dual_lshlrev_b32 v3, 16, v3
	v_mul_f32_e32 v2, v1, v2
	s_delay_alu instid0(VALU_DEP_3) | instskip(NEXT) | instid1(VALU_DEP_3)
	v_mul_f32_e32 v10, v1, v10
	v_mul_f32_e32 v13, v1, v3
	s_delay_alu instid0(VALU_DEP_3) | instskip(NEXT) | instid1(VALU_DEP_2)
	v_dual_mul_f32 v1, v12, v9 :: v_dual_mul_f32 v0, v2, v0
	v_dual_mul_f32 v3, v10, v14 :: v_dual_mul_f32 v2, v13, v11
	s_and_saveexec_b32 s0, vcc_lo
	s_delay_alu instid0(SALU_CYCLE_1)
	s_xor_b32 s0, exec_lo, s0
; %bb.2:
                                        ; implicit-def: $vgpr6
                                        ; implicit-def: $vgpr8
; %bb.3:
	s_delay_alu instid0(SALU_CYCLE_1)
	s_and_not1_saveexec_b32 s0, s0
	s_cbranch_execz .LBB98_5
; %bb.4:
	v_ashrrev_i32_e32 v7, 31, v6
	s_delay_alu instid0(VALU_DEP_1) | instskip(NEXT) | instid1(VALU_DEP_1)
	v_lshlrev_b64 v[6:7], 3, v[6:7]
	v_add_co_u32 v6, vcc_lo, s6, v6
	s_delay_alu instid0(VALU_DEP_2)
	v_add_co_ci_u32_e32 v7, vcc_lo, s7, v7, vcc_lo
	global_load_b64 v[6:7], v[6:7], off
	s_waitcnt vmcnt(0)
	v_mul_lo_u32 v7, v7, s13
	v_mul_lo_u32 v11, v6, s1
	v_mad_u64_u32 v[9:10], null, v6, s13, 0
	s_lshr_b32 s1, s13, 31
	s_delay_alu instid0(SALU_CYCLE_1) | instskip(NEXT) | instid1(SALU_CYCLE_1)
	s_add_i32 s1, s13, s1
	s_ashr_i32 s2, s1, 1
	s_delay_alu instid0(VALU_DEP_1) | instskip(SKIP_1) | instid1(SALU_CYCLE_1)
	v_add3_u32 v10, v10, v11, v7
	s_ashr_i32 s3, s2, 31
	s_lshl_b64 s[2:3], s[2:3], 1
	s_delay_alu instid0(VALU_DEP_1) | instskip(NEXT) | instid1(VALU_DEP_1)
	v_lshlrev_b64 v[6:7], 1, v[9:10]
	v_add_co_u32 v6, vcc_lo, s4, v6
	s_delay_alu instid0(VALU_DEP_2) | instskip(NEXT) | instid1(VALU_DEP_2)
	v_add_co_ci_u32_e32 v7, vcc_lo, s5, v7, vcc_lo
	v_add_co_u32 v6, vcc_lo, v6, v8
	s_delay_alu instid0(VALU_DEP_2) | instskip(NEXT) | instid1(VALU_DEP_2)
	v_add_co_ci_u32_e32 v7, vcc_lo, 0, v7, vcc_lo
	v_add_co_u32 v8, vcc_lo, v6, s2
	s_delay_alu instid0(VALU_DEP_2)
	v_add_co_ci_u32_e32 v9, vcc_lo, s3, v7, vcc_lo
	s_clause 0x1
	global_load_b32 v9, v[8:9], off
	global_load_b32 v8, v[6:7], off
	s_waitcnt vmcnt(1)
	v_lshrrev_b32_e32 v6, 16, v9
	s_waitcnt vmcnt(0)
	v_lshrrev_b32_e32 v7, 16, v8
	v_cvt_f32_f16_e32 v10, v8
	v_cvt_f32_f16_e32 v11, v9
	;; [unrolled: 1-line block ×3, first 2 shown]
	s_delay_alu instid0(VALU_DEP_4) | instskip(NEXT) | instid1(VALU_DEP_4)
	v_cvt_f32_f16_e32 v7, v7
	v_mul_f32_e32 v10, v1, v10
	s_delay_alu instid0(VALU_DEP_4) | instskip(NEXT) | instid1(VALU_DEP_4)
	v_mul_f32_e32 v1, v1, v11
	v_mul_f32_e32 v11, v3, v6
	s_delay_alu instid0(VALU_DEP_4) | instskip(NEXT) | instid1(VALU_DEP_4)
	v_mul_f32_e32 v3, v3, v7
	v_fma_mix_f32 v7, v0, v9, v10 op_sel_hi:[0,1,0]
	s_delay_alu instid0(VALU_DEP_4) | instskip(NEXT) | instid1(VALU_DEP_4)
	v_fma_mix_f32 v6, v0, v8, -v1 op_sel_hi:[0,1,0]
	v_fma_mix_f32 v8, v2, v8, -v11 op_sel:[0,1,0] op_sel_hi:[0,1,0]
	s_delay_alu instid0(VALU_DEP_4) | instskip(NEXT) | instid1(VALU_DEP_3)
	v_fma_mix_f32 v9, v2, v9, v3 op_sel:[0,1,0] op_sel_hi:[0,1,0]
	v_dual_mov_b32 v0, v6 :: v_dual_mov_b32 v1, v7
	s_delay_alu instid0(VALU_DEP_2)
	v_dual_mov_b32 v2, v8 :: v_dual_mov_b32 v3, v9
.LBB98_5:
	s_or_b32 exec_lo, exec_lo, s0
	s_delay_alu instid0(VALU_DEP_2) | instskip(NEXT) | instid1(VALU_DEP_1)
	v_and_b32_e32 v6, 0x7f800000, v0
	v_cmp_ne_u32_e32 vcc_lo, 0x7f800000, v6
                                        ; implicit-def: $vgpr6
	s_and_saveexec_b32 s0, vcc_lo
	s_delay_alu instid0(SALU_CYCLE_1)
	s_xor_b32 s0, exec_lo, s0
; %bb.6:
	v_bfe_u32 v6, v0, 16, 1
	s_delay_alu instid0(VALU_DEP_1)
	v_add3_u32 v6, v0, v6, 0x7fff
; %bb.7:
	s_and_not1_saveexec_b32 s0, s0
; %bb.8:
	v_and_b32_e32 v6, 0xffff, v0
	v_or_b32_e32 v7, 0x10000, v0
	s_delay_alu instid0(VALU_DEP_2) | instskip(NEXT) | instid1(VALU_DEP_2)
	v_cmp_eq_u32_e32 vcc_lo, 0, v6
	v_cndmask_b32_e32 v6, v7, v0, vcc_lo
; %bb.9:
	s_or_b32 exec_lo, exec_lo, s0
	v_and_b32_e32 v0, 0x7f800000, v1
	s_mov_b32 s0, exec_lo
                                        ; implicit-def: $vgpr7
	s_delay_alu instid0(VALU_DEP_1)
	v_cmpx_ne_u32_e32 0x7f800000, v0
	s_xor_b32 s0, exec_lo, s0
; %bb.10:
	v_bfe_u32 v0, v1, 16, 1
	s_delay_alu instid0(VALU_DEP_1)
	v_add3_u32 v7, v1, v0, 0x7fff
; %bb.11:
	s_and_not1_saveexec_b32 s0, s0
; %bb.12:
	v_and_b32_e32 v0, 0xffff, v1
	v_or_b32_e32 v7, 0x10000, v1
	s_delay_alu instid0(VALU_DEP_2) | instskip(NEXT) | instid1(VALU_DEP_2)
	v_cmp_eq_u32_e32 vcc_lo, 0, v0
	v_cndmask_b32_e32 v7, v7, v1, vcc_lo
; %bb.13:
	s_or_b32 exec_lo, exec_lo, s0
	v_and_b32_e32 v0, 0x7f800000, v2
	s_mov_b32 s0, exec_lo
                                        ; implicit-def: $vgpr8
	s_delay_alu instid0(VALU_DEP_1)
	v_cmpx_ne_u32_e32 0x7f800000, v0
	s_xor_b32 s0, exec_lo, s0
; %bb.14:
	v_bfe_u32 v0, v2, 16, 1
	s_delay_alu instid0(VALU_DEP_1)
	v_add3_u32 v8, v2, v0, 0x7fff
; %bb.15:
	s_and_not1_saveexec_b32 s0, s0
; %bb.16:
	v_and_b32_e32 v0, 0xffff, v2
	v_or_b32_e32 v1, 0x10000, v2
	s_delay_alu instid0(VALU_DEP_2) | instskip(NEXT) | instid1(VALU_DEP_2)
	v_cmp_eq_u32_e32 vcc_lo, 0, v0
	v_cndmask_b32_e32 v8, v1, v2, vcc_lo
; %bb.17:
	s_or_b32 exec_lo, exec_lo, s0
	v_and_b32_e32 v0, 0x7f800000, v3
	s_mov_b32 s0, exec_lo
                                        ; implicit-def: $vgpr9
	s_delay_alu instid0(VALU_DEP_1)
	v_cmpx_ne_u32_e32 0x7f800000, v0
	s_xor_b32 s0, exec_lo, s0
; %bb.18:
	v_bfe_u32 v0, v3, 16, 1
	s_delay_alu instid0(VALU_DEP_1)
	v_add3_u32 v9, v3, v0, 0x7fff
                                        ; implicit-def: $vgpr0_vgpr1_vgpr2_vgpr3
; %bb.19:
	s_and_not1_saveexec_b32 s0, s0
; %bb.20:
	v_and_b32_e32 v0, 0xffff, v3
	v_or_b32_e32 v1, 0x10000, v3
	s_delay_alu instid0(VALU_DEP_2) | instskip(NEXT) | instid1(VALU_DEP_2)
	v_cmp_eq_u32_e32 vcc_lo, 0, v0
	v_cndmask_b32_e32 v9, v1, v3, vcc_lo
; %bb.21:
	s_or_b32 exec_lo, exec_lo, s0
	v_lshrrev_b32_e32 v0, 16, v8
	s_delay_alu instid0(VALU_DEP_2) | instskip(SKIP_1) | instid1(VALU_DEP_2)
	v_and_b32_e32 v1, 0xffff0000, v9
	v_lshrrev_b32_e32 v2, 16, v6
	v_or_b32_e32 v1, v1, v0
	s_delay_alu instid0(VALU_DEP_2)
	v_and_or_b32 v0, 0xffff0000, v7, v2
	global_store_b64 v[4:5], v[0:1], off
.LBB98_22:
	s_nop 0
	s_sendmsg sendmsg(MSG_DEALLOC_VGPRS)
	s_endpgm
	.section	.rodata,"a",@progbits
	.p2align	6, 0x0
	.amdhsa_kernel _ZN12tensorrt_llm7kernels21fusedQKNormRopeKernelIN3c108BFloat16ENS2_4HalfELi128ELb1EEEvPviiifPKvS7_S7_PKlii
		.amdhsa_group_segment_fixed_size 0
		.amdhsa_private_segment_fixed_size 0
		.amdhsa_kernarg_size 320
		.amdhsa_user_sgpr_count 15
		.amdhsa_user_sgpr_dispatch_ptr 0
		.amdhsa_user_sgpr_queue_ptr 0
		.amdhsa_user_sgpr_kernarg_segment_ptr 1
		.amdhsa_user_sgpr_dispatch_id 0
		.amdhsa_user_sgpr_private_segment_size 0
		.amdhsa_wavefront_size32 1
		.amdhsa_uses_dynamic_stack 0
		.amdhsa_enable_private_segment 0
		.amdhsa_system_sgpr_workgroup_id_x 1
		.amdhsa_system_sgpr_workgroup_id_y 0
		.amdhsa_system_sgpr_workgroup_id_z 0
		.amdhsa_system_sgpr_workgroup_info 0
		.amdhsa_system_vgpr_workitem_id 0
		.amdhsa_next_free_vgpr 15
		.amdhsa_next_free_sgpr 16
		.amdhsa_reserve_vcc 1
		.amdhsa_float_round_mode_32 0
		.amdhsa_float_round_mode_16_64 0
		.amdhsa_float_denorm_mode_32 3
		.amdhsa_float_denorm_mode_16_64 3
		.amdhsa_dx10_clamp 1
		.amdhsa_ieee_mode 1
		.amdhsa_fp16_overflow 0
		.amdhsa_workgroup_processor_mode 1
		.amdhsa_memory_ordered 1
		.amdhsa_forward_progress 0
		.amdhsa_shared_vgpr_count 0
		.amdhsa_exception_fp_ieee_invalid_op 0
		.amdhsa_exception_fp_denorm_src 0
		.amdhsa_exception_fp_ieee_div_zero 0
		.amdhsa_exception_fp_ieee_overflow 0
		.amdhsa_exception_fp_ieee_underflow 0
		.amdhsa_exception_fp_ieee_inexact 0
		.amdhsa_exception_int_div_zero 0
	.end_amdhsa_kernel
	.section	.text._ZN12tensorrt_llm7kernels21fusedQKNormRopeKernelIN3c108BFloat16ENS2_4HalfELi128ELb1EEEvPviiifPKvS7_S7_PKlii,"axG",@progbits,_ZN12tensorrt_llm7kernels21fusedQKNormRopeKernelIN3c108BFloat16ENS2_4HalfELi128ELb1EEEvPviiifPKvS7_S7_PKlii,comdat
.Lfunc_end98:
	.size	_ZN12tensorrt_llm7kernels21fusedQKNormRopeKernelIN3c108BFloat16ENS2_4HalfELi128ELb1EEEvPviiifPKvS7_S7_PKlii, .Lfunc_end98-_ZN12tensorrt_llm7kernels21fusedQKNormRopeKernelIN3c108BFloat16ENS2_4HalfELi128ELb1EEEvPviiifPKvS7_S7_PKlii
                                        ; -- End function
	.section	.AMDGPU.csdata,"",@progbits
; Kernel info:
; codeLenInByte = 1588
; NumSgprs: 18
; NumVgprs: 15
; ScratchSize: 0
; MemoryBound: 0
; FloatMode: 240
; IeeeMode: 1
; LDSByteSize: 0 bytes/workgroup (compile time only)
; SGPRBlocks: 2
; VGPRBlocks: 1
; NumSGPRsForWavesPerEU: 18
; NumVGPRsForWavesPerEU: 15
; Occupancy: 16
; WaveLimiterHint : 1
; COMPUTE_PGM_RSRC2:SCRATCH_EN: 0
; COMPUTE_PGM_RSRC2:USER_SGPR: 15
; COMPUTE_PGM_RSRC2:TRAP_HANDLER: 0
; COMPUTE_PGM_RSRC2:TGID_X_EN: 1
; COMPUTE_PGM_RSRC2:TGID_Y_EN: 0
; COMPUTE_PGM_RSRC2:TGID_Z_EN: 0
; COMPUTE_PGM_RSRC2:TIDIG_COMP_CNT: 0
	.section	.text._ZN12tensorrt_llm7kernels21fusedQKNormRopeKernelIN3c108BFloat16ENS2_4HalfELi128ELb0EEEvPviiifPKvS7_S7_PKlii,"axG",@progbits,_ZN12tensorrt_llm7kernels21fusedQKNormRopeKernelIN3c108BFloat16ENS2_4HalfELi128ELb0EEEvPviiifPKvS7_S7_PKlii,comdat
	.protected	_ZN12tensorrt_llm7kernels21fusedQKNormRopeKernelIN3c108BFloat16ENS2_4HalfELi128ELb0EEEvPviiifPKvS7_S7_PKlii ; -- Begin function _ZN12tensorrt_llm7kernels21fusedQKNormRopeKernelIN3c108BFloat16ENS2_4HalfELi128ELb0EEEvPviiifPKvS7_S7_PKlii
	.globl	_ZN12tensorrt_llm7kernels21fusedQKNormRopeKernelIN3c108BFloat16ENS2_4HalfELi128ELb0EEEvPviiifPKvS7_S7_PKlii
	.p2align	8
	.type	_ZN12tensorrt_llm7kernels21fusedQKNormRopeKernelIN3c108BFloat16ENS2_4HalfELi128ELb0EEEvPviiifPKvS7_S7_PKlii,@function
_ZN12tensorrt_llm7kernels21fusedQKNormRopeKernelIN3c108BFloat16ENS2_4HalfELi128ELb0EEEvPviiifPKvS7_S7_PKlii: ; @_ZN12tensorrt_llm7kernels21fusedQKNormRopeKernelIN3c108BFloat16ENS2_4HalfELi128ELb0EEEvPviiifPKvS7_S7_PKlii
; %bb.0:
	s_clause 0x2
	s_load_b128 s[8:11], s[0:1], 0x8
	s_load_b64 s[12:13], s[0:1], 0x38
	s_load_b32 s4, s[0:1], 0x4c
	s_waitcnt lgkmcnt(0)
	s_add_i32 s2, s9, s8
	s_bfe_u32 s4, s4, 0xb0005
	s_abs_i32 s3, s2
	s_delay_alu instid0(SALU_CYCLE_1) | instskip(SKIP_1) | instid1(VALU_DEP_1)
	v_cvt_f32_u32_e32 v1, s3
	s_sub_i32 s5, 0, s3
	v_rcp_iflag_f32_e32 v1, v1
	s_waitcnt_depctr 0xfff
	v_mul_f32_e32 v1, 0x4f7ffffe, v1
	s_delay_alu instid0(VALU_DEP_1) | instskip(SKIP_1) | instid1(VALU_DEP_2)
	v_cvt_u32_f32_e32 v4, v1
	v_lshrrev_b32_e32 v1, 5, v0
	v_mul_lo_u32 v5, s5, v4
	s_delay_alu instid0(VALU_DEP_2) | instskip(NEXT) | instid1(VALU_DEP_2)
	v_mad_u64_u32 v[2:3], null, s15, s4, v[1:2]
	v_mul_hi_u32 v1, v4, v5
	s_delay_alu instid0(VALU_DEP_2) | instskip(NEXT) | instid1(VALU_DEP_1)
	v_sub_nc_u32_e32 v3, 0, v2
	v_max_i32_e32 v3, v2, v3
	s_delay_alu instid0(VALU_DEP_3) | instskip(NEXT) | instid1(VALU_DEP_1)
	v_add_nc_u32_e32 v1, v4, v1
	v_mul_hi_u32 v1, v3, v1
	s_delay_alu instid0(VALU_DEP_1) | instskip(NEXT) | instid1(VALU_DEP_1)
	v_mul_lo_u32 v4, v1, s3
	v_sub_nc_u32_e32 v3, v3, v4
	v_add_nc_u32_e32 v4, 1, v1
	s_delay_alu instid0(VALU_DEP_2) | instskip(SKIP_1) | instid1(VALU_DEP_3)
	v_subrev_nc_u32_e32 v5, s3, v3
	v_cmp_le_u32_e32 vcc_lo, s3, v3
	v_cndmask_b32_e32 v1, v1, v4, vcc_lo
	s_delay_alu instid0(VALU_DEP_3) | instskip(SKIP_1) | instid1(VALU_DEP_3)
	v_cndmask_b32_e32 v3, v3, v5, vcc_lo
	v_xor_b32_e32 v4, s2, v2
	v_add_nc_u32_e32 v5, 1, v1
	s_delay_alu instid0(VALU_DEP_3) | instskip(NEXT) | instid1(VALU_DEP_3)
	v_cmp_le_u32_e32 vcc_lo, s3, v3
	v_ashrrev_i32_e32 v4, 31, v4
	s_mov_b32 s3, exec_lo
	s_delay_alu instid0(VALU_DEP_3) | instskip(NEXT) | instid1(VALU_DEP_1)
	v_cndmask_b32_e32 v1, v1, v5, vcc_lo
	v_xor_b32_e32 v1, v1, v4
	s_delay_alu instid0(VALU_DEP_1) | instskip(NEXT) | instid1(VALU_DEP_1)
	v_sub_nc_u32_e32 v1, v1, v4
	v_cmpx_gt_i32_e64 s12, v1
	s_cbranch_execz .LBB99_20
; %bb.1:
	v_mul_lo_u32 v3, v1, s2
	s_add_i32 s2, s2, s10
	v_and_b32_e32 v0, 31, v0
	v_mul_lo_u32 v4, v1, s2
	s_load_b64 s[2:3], s[0:1], 0x0
	v_mbcnt_lo_u32_b32 v8, -1, 0
	s_delay_alu instid0(VALU_DEP_3) | instskip(SKIP_1) | instid1(VALU_DEP_3)
	v_lshlrev_b32_e32 v5, 2, v0
	v_sub_nc_u32_e32 v2, v2, v3
	v_xor_b32_e32 v13, 16, v8
	v_xor_b32_e32 v14, 8, v8
	s_delay_alu instid0(VALU_DEP_3) | instskip(SKIP_1) | instid1(VALU_DEP_1)
	v_cmp_gt_i32_e32 vcc_lo, s8, v2
	v_cndmask_b32_e64 v3, s8, 0, vcc_lo
	v_sub_nc_u32_e32 v2, v2, v3
	s_delay_alu instid0(VALU_DEP_1) | instskip(NEXT) | instid1(VALU_DEP_1)
	v_add3_u32 v2, v4, v3, v2
	v_lshl_or_b32 v2, v2, 7, v5
	s_delay_alu instid0(VALU_DEP_1) | instskip(NEXT) | instid1(VALU_DEP_1)
	v_ashrrev_i32_e32 v3, 31, v2
	v_lshlrev_b64 v[2:3], 1, v[2:3]
	s_waitcnt lgkmcnt(0)
	s_delay_alu instid0(VALU_DEP_1) | instskip(NEXT) | instid1(VALU_DEP_1)
	v_add_co_u32 v4, s2, s2, v2
	v_add_co_ci_u32_e64 v5, s2, s3, v3, s2
	s_load_b256 s[0:7], s[0:1], 0x18
	global_load_b64 v[2:3], v[4:5], off
	s_waitcnt lgkmcnt(0)
	v_dual_mov_b32 v6, s0 :: v_dual_mov_b32 v7, s1
	v_lshlrev_b32_e32 v10, 3, v0
	s_ashr_i32 s1, s13, 31
	s_delay_alu instid0(VALU_DEP_2) | instskip(NEXT) | instid1(VALU_DEP_3)
	v_cndmask_b32_e32 v6, s2, v6, vcc_lo
	v_cndmask_b32_e32 v7, s3, v7, vcc_lo
	s_lshr_b32 s0, s1, 30
	s_delay_alu instid0(SALU_CYCLE_1) | instskip(NEXT) | instid1(VALU_DEP_2)
	s_add_i32 s0, s13, s0
	v_add_co_u32 v6, vcc_lo, v6, v10
	s_delay_alu instid0(VALU_DEP_2)
	v_add_co_ci_u32_e32 v7, vcc_lo, 0, v7, vcc_lo
	v_cmp_gt_i32_e32 vcc_lo, 32, v13
	s_ashr_i32 s0, s0, 2
	global_load_b64 v[6:7], v[6:7], off
	v_cndmask_b32_e32 v13, v8, v13, vcc_lo
	v_cmp_gt_i32_e32 vcc_lo, 32, v14
	s_delay_alu instid0(VALU_DEP_2) | instskip(NEXT) | instid1(VALU_DEP_1)
	v_dual_cndmask_b32 v14, v8, v14 :: v_dual_lshlrev_b32 v13, 2, v13
	v_lshlrev_b32_e32 v14, 2, v14
	s_waitcnt vmcnt(1)
	v_lshlrev_b32_e32 v9, 16, v2
	v_and_b32_e32 v11, 0xffff0000, v2
	v_alignbit_b32 v2, v3, v2, 16
	s_delay_alu instid0(VALU_DEP_2) | instskip(NEXT) | instid1(VALU_DEP_2)
	v_mul_f32_e32 v12, v11, v11
	v_and_b32_e32 v2, 0xffff0000, v2
	s_delay_alu instid0(VALU_DEP_2) | instskip(NEXT) | instid1(VALU_DEP_1)
	v_dual_fmac_f32 v12, v9, v9 :: v_dual_and_b32 v3, 0xffff0000, v3
	v_fmac_f32_e32 v12, v2, v2
	s_delay_alu instid0(VALU_DEP_1)
	v_fmac_f32_e32 v12, v3, v3
	ds_bpermute_b32 v13, v13, v12
	s_waitcnt lgkmcnt(0)
	v_add_f32_e32 v12, v12, v13
	ds_bpermute_b32 v13, v14, v12
	v_xor_b32_e32 v14, 4, v8
	s_delay_alu instid0(VALU_DEP_1) | instskip(SKIP_1) | instid1(VALU_DEP_1)
	v_cmp_gt_i32_e32 vcc_lo, 32, v14
	v_cndmask_b32_e32 v14, v8, v14, vcc_lo
	v_lshlrev_b32_e32 v14, 2, v14
	s_waitcnt lgkmcnt(0)
	v_add_f32_e32 v12, v12, v13
	ds_bpermute_b32 v13, v14, v12
	v_xor_b32_e32 v14, 2, v8
	s_delay_alu instid0(VALU_DEP_1) | instskip(SKIP_1) | instid1(VALU_DEP_1)
	v_cmp_gt_i32_e32 vcc_lo, 32, v14
	v_cndmask_b32_e32 v14, v8, v14, vcc_lo
	v_lshlrev_b32_e32 v14, 2, v14
	;; [unrolled: 8-line block ×3, first 2 shown]
	s_waitcnt lgkmcnt(0)
	v_add_f32_e32 v12, v12, v13
	ds_bpermute_b32 v13, v14, v12
	v_mov_b32_e32 v14, s11
	s_waitcnt lgkmcnt(0)
	v_add_f32_e32 v12, v12, v13
	s_delay_alu instid0(VALU_DEP_1) | instskip(SKIP_3) | instid1(VALU_DEP_3)
	v_fmamk_f32 v12, v12, 0x3c000000, v14
	s_waitcnt vmcnt(0)
	v_lshlrev_b32_e32 v14, 16, v6
	v_and_b32_e32 v6, 0xffff0000, v6
	v_mul_f32_e32 v13, 0x4b800000, v12
	v_cmp_gt_f32_e32 vcc_lo, 0x800000, v12
	s_delay_alu instid0(VALU_DEP_2) | instskip(NEXT) | instid1(VALU_DEP_1)
	v_cndmask_b32_e32 v12, v12, v13, vcc_lo
	v_rsq_f32_e32 v12, v12
	s_waitcnt_depctr 0xfff
	v_mul_f32_e32 v13, 0x45800000, v12
	s_delay_alu instid0(VALU_DEP_1) | instskip(SKIP_2) | instid1(VALU_DEP_3)
	v_dual_cndmask_b32 v12, v12, v13 :: v_dual_lshlrev_b32 v13, 16, v7
	v_and_b32_e32 v7, 0xffff0000, v7
	v_cmp_gt_i32_e32 vcc_lo, s0, v0
	v_mul_f32_e32 v14, v12, v14
	v_mul_f32_e32 v6, v12, v6
	;; [unrolled: 1-line block ×3, first 2 shown]
	s_delay_alu instid0(VALU_DEP_3) | instskip(NEXT) | instid1(VALU_DEP_2)
	v_dual_mul_f32 v12, v12, v7 :: v_dual_mul_f32 v9, v14, v9
	v_dual_mul_f32 v7, v6, v11 :: v_dual_mul_f32 v6, v13, v2
	s_delay_alu instid0(VALU_DEP_2)
	v_mul_f32_e32 v3, v12, v3
	s_and_saveexec_b32 s0, vcc_lo
	s_cbranch_execz .LBB99_3
; %bb.2:
	v_ashrrev_i32_e32 v2, 31, v1
	v_or_b32_e32 v13, 4, v10
	v_or_b32_e32 v14, 6, v10
	s_delay_alu instid0(VALU_DEP_3) | instskip(NEXT) | instid1(VALU_DEP_1)
	v_lshlrev_b64 v[1:2], 3, v[1:2]
	v_add_co_u32 v1, vcc_lo, s6, v1
	s_delay_alu instid0(VALU_DEP_2) | instskip(SKIP_1) | instid1(SALU_CYCLE_1)
	v_add_co_ci_u32_e32 v2, vcc_lo, s7, v2, vcc_lo
	s_abs_i32 s6, s13
	v_cvt_f32_u32_e32 v11, s6
	global_load_b64 v[1:2], v[1:2], off
	s_sub_i32 s2, 0, s6
	; wave barrier
	v_rcp_iflag_f32_e32 v11, v11
	s_waitcnt_depctr 0xfff
	v_mul_f32_e32 v11, 0x4f7ffffe, v11
	s_delay_alu instid0(VALU_DEP_1) | instskip(NEXT) | instid1(VALU_DEP_1)
	v_cvt_u32_f32_e32 v11, v11
	v_mul_lo_u32 v12, s2, v11
	s_lshr_b32 s2, s13, 31
	s_delay_alu instid0(SALU_CYCLE_1) | instskip(NEXT) | instid1(SALU_CYCLE_1)
	s_add_i32 s2, s13, s2
	s_ashr_i32 s2, s2, 1
	s_delay_alu instid0(SALU_CYCLE_1) | instskip(NEXT) | instid1(VALU_DEP_1)
	s_ashr_i32 s3, s2, 31
	v_mul_hi_u32 v12, v11, v12
	s_lshl_b64 s[2:3], s[2:3], 1
	s_delay_alu instid0(VALU_DEP_1) | instskip(SKIP_1) | instid1(VALU_DEP_2)
	v_add_nc_u32_e32 v11, v11, v12
	v_or_b32_e32 v12, 2, v10
	v_mul_hi_u32 v15, v10, v11
	s_delay_alu instid0(VALU_DEP_2) | instskip(SKIP_2) | instid1(VALU_DEP_4)
	v_mul_hi_u32 v16, v12, v11
	v_mul_hi_u32 v17, v13, v11
	;; [unrolled: 1-line block ×3, first 2 shown]
	v_mul_lo_u32 v15, v15, s6
	s_delay_alu instid0(VALU_DEP_4) | instskip(NEXT) | instid1(VALU_DEP_4)
	v_mul_lo_u32 v16, v16, s6
	v_mul_lo_u32 v17, v17, s6
	s_delay_alu instid0(VALU_DEP_4) | instskip(NEXT) | instid1(VALU_DEP_4)
	v_mul_lo_u32 v11, v11, s6
	v_sub_nc_u32_e32 v10, v10, v15
	s_delay_alu instid0(VALU_DEP_4) | instskip(NEXT) | instid1(VALU_DEP_4)
	v_sub_nc_u32_e32 v12, v12, v16
	v_sub_nc_u32_e32 v13, v13, v17
	s_delay_alu instid0(VALU_DEP_4) | instskip(NEXT) | instid1(VALU_DEP_4)
	v_sub_nc_u32_e32 v11, v14, v11
	v_subrev_nc_u32_e32 v14, s6, v10
	v_cmp_le_u32_e32 vcc_lo, s6, v10
	v_subrev_nc_u32_e32 v15, s6, v12
	v_subrev_nc_u32_e32 v16, s6, v13
	;; [unrolled: 1-line block ×3, first 2 shown]
	v_cndmask_b32_e32 v14, v10, v14, vcc_lo
	v_cmp_le_u32_e32 vcc_lo, s6, v12
	v_cndmask_b32_e32 v12, v12, v15, vcc_lo
	v_cmp_le_u32_e32 vcc_lo, s6, v13
	;; [unrolled: 2-line block ×4, first 2 shown]
	v_subrev_nc_u32_e32 v17, s6, v12
	s_waitcnt vmcnt(0)
	v_mul_lo_u32 v16, v1, s1
	v_mad_u64_u32 v[10:11], null, v1, s13, 0
	v_subrev_nc_u32_e32 v1, s6, v14
	v_mul_lo_u32 v2, v2, s13
	s_lshr_b32 s1, s1, 29
	s_delay_alu instid0(SALU_CYCLE_1) | instskip(NEXT) | instid1(VALU_DEP_2)
	s_add_i32 s1, s13, s1
	v_cndmask_b32_e32 v14, v14, v1, vcc_lo
	v_cmp_le_u32_e32 vcc_lo, s6, v12
	v_subrev_nc_u32_e32 v18, s6, v13
	s_ashr_i32 s1, s1, 3
	s_delay_alu instid0(VALU_DEP_4) | instskip(SKIP_2) | instid1(VALU_DEP_3)
	v_add3_u32 v11, v11, v16, v2
	v_cndmask_b32_e32 v12, v12, v17, vcc_lo
	v_cmp_le_u32_e32 vcc_lo, s6, v13
	v_lshlrev_b64 v[1:2], 1, v[10:11]
	v_and_b32_e32 v11, -2, v14
	s_delay_alu instid0(VALU_DEP_4) | instskip(SKIP_2) | instid1(VALU_DEP_3)
	v_dual_cndmask_b32 v13, v13, v18 :: v_dual_and_b32 v18, -2, v12
	v_subrev_nc_u32_e32 v19, s6, v15
	v_cmp_le_u32_e32 vcc_lo, s6, v15
	v_and_b32_e32 v20, -2, v13
	s_delay_alu instid0(VALU_DEP_3) | instskip(SKIP_2) | instid1(VALU_DEP_3)
	v_cndmask_b32_e32 v10, v15, v19, vcc_lo
	v_add_co_u32 v21, vcc_lo, s4, v1
	v_add_co_ci_u32_e32 v22, vcc_lo, s5, v2, vcc_lo
	v_and_b32_e32 v23, -2, v10
	s_delay_alu instid0(VALU_DEP_3) | instskip(NEXT) | instid1(VALU_DEP_3)
	v_add_co_u32 v16, vcc_lo, v21, s2
	v_add_co_ci_u32_e32 v17, vcc_lo, s3, v22, vcc_lo
	v_add_co_u32 v1, vcc_lo, v21, v11
	v_add_co_ci_u32_e32 v2, vcc_lo, 0, v22, vcc_lo
	s_delay_alu instid0(VALU_DEP_4) | instskip(NEXT) | instid1(VALU_DEP_4)
	v_add_co_u32 v10, vcc_lo, v16, v11
	v_add_co_ci_u32_e32 v11, vcc_lo, 0, v17, vcc_lo
	v_add_co_u32 v12, vcc_lo, v16, v18
	v_add_co_ci_u32_e32 v13, vcc_lo, 0, v17, vcc_lo
	;; [unrolled: 2-line block ×4, first 2 shown]
	v_add_co_u32 v18, vcc_lo, v21, v18
	s_clause 0x3
	global_load_u16 v24, v[10:11], off
	global_load_u16 v25, v[12:13], off
	;; [unrolled: 1-line block ×4, first 2 shown]
	v_add_co_ci_u32_e32 v19, vcc_lo, 0, v22, vcc_lo
	v_add_co_u32 v10, vcc_lo, v21, v20
	v_add_co_ci_u32_e32 v11, vcc_lo, 0, v22, vcc_lo
	v_add_co_u32 v12, vcc_lo, v21, v23
	v_add_co_ci_u32_e32 v13, vcc_lo, 0, v22, vcc_lo
	s_clause 0x3
	global_load_u16 v1, v[1:2], off
	global_load_u16 v2, v[18:19], off
	;; [unrolled: 1-line block ×4, first 2 shown]
	v_xor_b32_e32 v12, s1, v8
	; wave barrier
	s_delay_alu instid0(VALU_DEP_1) | instskip(SKIP_2) | instid1(VALU_DEP_2)
	v_cmp_gt_i32_e32 vcc_lo, 32, v12
	v_cndmask_b32_e32 v8, v8, v12, vcc_lo
	v_cmp_gt_i32_e32 vcc_lo, s1, v0
	v_lshlrev_b32_e32 v8, 2, v8
	ds_bpermute_b32 v12, v8, v9
	ds_bpermute_b32 v13, v8, v7
	;; [unrolled: 1-line block ×4, first 2 shown]
	s_waitcnt lgkmcnt(3)
	v_cndmask_b32_e64 v0, v12, -v12, vcc_lo
	s_waitcnt lgkmcnt(2)
	v_cndmask_b32_e64 v12, v13, -v13, vcc_lo
	;; [unrolled: 2-line block ×4, first 2 shown]
	s_waitcnt vmcnt(7)
	v_cvt_f32_f16_e32 v16, v24
	s_waitcnt vmcnt(6)
	v_cvt_f32_f16_e32 v17, v25
	;; [unrolled: 2-line block ×4, first 2 shown]
	v_mul_f32_e32 v0, v0, v16
	s_delay_alu instid0(VALU_DEP_3) | instskip(NEXT) | instid1(VALU_DEP_3)
	v_dual_mul_f32 v12, v12, v17 :: v_dual_mul_f32 v13, v13, v14
	v_mul_f32_e32 v8, v8, v15
	s_waitcnt vmcnt(3)
	s_delay_alu instid0(VALU_DEP_3)
	v_fma_mix_f32 v9, v9, v1, v0 op_sel_hi:[0,1,0]
	s_waitcnt vmcnt(2)
	v_fma_mix_f32 v7, v7, v2, v12 op_sel_hi:[0,1,0]
	s_waitcnt vmcnt(1)
	;; [unrolled: 2-line block ×3, first 2 shown]
	v_fma_mix_f32 v3, v3, v11, v8 op_sel_hi:[0,1,0]
.LBB99_3:
	s_or_b32 exec_lo, exec_lo, s0
	v_and_b32_e32 v0, 0x7f800000, v9
	s_mov_b32 s0, exec_lo
                                        ; implicit-def: $vgpr8
	s_delay_alu instid0(VALU_DEP_1)
	v_cmpx_ne_u32_e32 0x7f800000, v0
	s_xor_b32 s0, exec_lo, s0
; %bb.4:
	v_bfe_u32 v0, v9, 16, 1
	s_delay_alu instid0(VALU_DEP_1)
	v_add3_u32 v8, v9, v0, 0x7fff
; %bb.5:
	s_and_not1_saveexec_b32 s0, s0
; %bb.6:
	v_and_b32_e32 v0, 0xffff, v9
	v_or_b32_e32 v1, 0x10000, v9
	s_delay_alu instid0(VALU_DEP_2) | instskip(NEXT) | instid1(VALU_DEP_2)
	v_cmp_eq_u32_e32 vcc_lo, 0, v0
	v_cndmask_b32_e32 v8, v1, v9, vcc_lo
; %bb.7:
	s_or_b32 exec_lo, exec_lo, s0
	v_and_b32_e32 v0, 0x7f800000, v7
	s_mov_b32 s0, exec_lo
                                        ; implicit-def: $vgpr9
	s_delay_alu instid0(VALU_DEP_1)
	v_cmpx_ne_u32_e32 0x7f800000, v0
	s_xor_b32 s0, exec_lo, s0
; %bb.8:
	v_bfe_u32 v0, v7, 16, 1
	s_delay_alu instid0(VALU_DEP_1)
	v_add3_u32 v9, v7, v0, 0x7fff
; %bb.9:
	s_and_not1_saveexec_b32 s0, s0
; %bb.10:
	v_and_b32_e32 v0, 0xffff, v7
	v_or_b32_e32 v1, 0x10000, v7
	s_delay_alu instid0(VALU_DEP_2) | instskip(NEXT) | instid1(VALU_DEP_2)
	v_cmp_eq_u32_e32 vcc_lo, 0, v0
	v_cndmask_b32_e32 v9, v1, v7, vcc_lo
; %bb.11:
	s_or_b32 exec_lo, exec_lo, s0
	v_and_b32_e32 v0, 0x7f800000, v6
	s_mov_b32 s0, exec_lo
                                        ; implicit-def: $vgpr7
	s_delay_alu instid0(VALU_DEP_1)
	v_cmpx_ne_u32_e32 0x7f800000, v0
	s_xor_b32 s0, exec_lo, s0
; %bb.12:
	v_bfe_u32 v0, v6, 16, 1
	s_delay_alu instid0(VALU_DEP_1)
	v_add3_u32 v7, v6, v0, 0x7fff
; %bb.13:
	s_and_not1_saveexec_b32 s0, s0
; %bb.14:
	v_and_b32_e32 v0, 0xffff, v6
	v_or_b32_e32 v1, 0x10000, v6
	s_delay_alu instid0(VALU_DEP_2) | instskip(NEXT) | instid1(VALU_DEP_2)
	v_cmp_eq_u32_e32 vcc_lo, 0, v0
	v_cndmask_b32_e32 v7, v1, v6, vcc_lo
; %bb.15:
	s_or_b32 exec_lo, exec_lo, s0
	v_and_b32_e32 v0, 0x7f800000, v3
	s_mov_b32 s0, exec_lo
                                        ; implicit-def: $vgpr6
	s_delay_alu instid0(VALU_DEP_1)
	v_cmpx_ne_u32_e32 0x7f800000, v0
	s_xor_b32 s0, exec_lo, s0
; %bb.16:
	v_bfe_u32 v0, v3, 16, 1
	s_delay_alu instid0(VALU_DEP_1)
	v_add3_u32 v6, v3, v0, 0x7fff
                                        ; implicit-def: $vgpr0_vgpr1_vgpr2_vgpr3
; %bb.17:
	s_and_not1_saveexec_b32 s0, s0
; %bb.18:
	v_and_b32_e32 v0, 0xffff, v3
	v_or_b32_e32 v1, 0x10000, v3
	s_delay_alu instid0(VALU_DEP_2) | instskip(NEXT) | instid1(VALU_DEP_2)
	v_cmp_eq_u32_e32 vcc_lo, 0, v0
	v_cndmask_b32_e32 v6, v1, v3, vcc_lo
; %bb.19:
	s_or_b32 exec_lo, exec_lo, s0
	v_lshrrev_b32_e32 v0, 16, v7
	s_delay_alu instid0(VALU_DEP_2) | instskip(SKIP_1) | instid1(VALU_DEP_2)
	v_and_b32_e32 v1, 0xffff0000, v6
	v_lshrrev_b32_e32 v2, 16, v8
	v_or_b32_e32 v1, v1, v0
	s_delay_alu instid0(VALU_DEP_2)
	v_and_or_b32 v0, 0xffff0000, v9, v2
	global_store_b64 v[4:5], v[0:1], off
.LBB99_20:
	s_nop 0
	s_sendmsg sendmsg(MSG_DEALLOC_VGPRS)
	s_endpgm
	.section	.rodata,"a",@progbits
	.p2align	6, 0x0
	.amdhsa_kernel _ZN12tensorrt_llm7kernels21fusedQKNormRopeKernelIN3c108BFloat16ENS2_4HalfELi128ELb0EEEvPviiifPKvS7_S7_PKlii
		.amdhsa_group_segment_fixed_size 0
		.amdhsa_private_segment_fixed_size 0
		.amdhsa_kernarg_size 320
		.amdhsa_user_sgpr_count 15
		.amdhsa_user_sgpr_dispatch_ptr 0
		.amdhsa_user_sgpr_queue_ptr 0
		.amdhsa_user_sgpr_kernarg_segment_ptr 1
		.amdhsa_user_sgpr_dispatch_id 0
		.amdhsa_user_sgpr_private_segment_size 0
		.amdhsa_wavefront_size32 1
		.amdhsa_uses_dynamic_stack 0
		.amdhsa_enable_private_segment 0
		.amdhsa_system_sgpr_workgroup_id_x 1
		.amdhsa_system_sgpr_workgroup_id_y 0
		.amdhsa_system_sgpr_workgroup_id_z 0
		.amdhsa_system_sgpr_workgroup_info 0
		.amdhsa_system_vgpr_workitem_id 0
		.amdhsa_next_free_vgpr 26
		.amdhsa_next_free_sgpr 16
		.amdhsa_reserve_vcc 1
		.amdhsa_float_round_mode_32 0
		.amdhsa_float_round_mode_16_64 0
		.amdhsa_float_denorm_mode_32 3
		.amdhsa_float_denorm_mode_16_64 3
		.amdhsa_dx10_clamp 1
		.amdhsa_ieee_mode 1
		.amdhsa_fp16_overflow 0
		.amdhsa_workgroup_processor_mode 1
		.amdhsa_memory_ordered 1
		.amdhsa_forward_progress 0
		.amdhsa_shared_vgpr_count 0
		.amdhsa_exception_fp_ieee_invalid_op 0
		.amdhsa_exception_fp_denorm_src 0
		.amdhsa_exception_fp_ieee_div_zero 0
		.amdhsa_exception_fp_ieee_overflow 0
		.amdhsa_exception_fp_ieee_underflow 0
		.amdhsa_exception_fp_ieee_inexact 0
		.amdhsa_exception_int_div_zero 0
	.end_amdhsa_kernel
	.section	.text._ZN12tensorrt_llm7kernels21fusedQKNormRopeKernelIN3c108BFloat16ENS2_4HalfELi128ELb0EEEvPviiifPKvS7_S7_PKlii,"axG",@progbits,_ZN12tensorrt_llm7kernels21fusedQKNormRopeKernelIN3c108BFloat16ENS2_4HalfELi128ELb0EEEvPviiifPKvS7_S7_PKlii,comdat
.Lfunc_end99:
	.size	_ZN12tensorrt_llm7kernels21fusedQKNormRopeKernelIN3c108BFloat16ENS2_4HalfELi128ELb0EEEvPviiifPKvS7_S7_PKlii, .Lfunc_end99-_ZN12tensorrt_llm7kernels21fusedQKNormRopeKernelIN3c108BFloat16ENS2_4HalfELi128ELb0EEEvPviiifPKvS7_S7_PKlii
                                        ; -- End function
	.section	.AMDGPU.csdata,"",@progbits
; Kernel info:
; codeLenInByte = 2100
; NumSgprs: 18
; NumVgprs: 26
; ScratchSize: 0
; MemoryBound: 0
; FloatMode: 240
; IeeeMode: 1
; LDSByteSize: 0 bytes/workgroup (compile time only)
; SGPRBlocks: 2
; VGPRBlocks: 3
; NumSGPRsForWavesPerEU: 18
; NumVGPRsForWavesPerEU: 26
; Occupancy: 16
; WaveLimiterHint : 1
; COMPUTE_PGM_RSRC2:SCRATCH_EN: 0
; COMPUTE_PGM_RSRC2:USER_SGPR: 15
; COMPUTE_PGM_RSRC2:TRAP_HANDLER: 0
; COMPUTE_PGM_RSRC2:TGID_X_EN: 1
; COMPUTE_PGM_RSRC2:TGID_Y_EN: 0
; COMPUTE_PGM_RSRC2:TGID_Z_EN: 0
; COMPUTE_PGM_RSRC2:TIDIG_COMP_CNT: 0
	.section	.text._ZN12tensorrt_llm7kernels21fusedQKNormRopeKernelIN3c108BFloat16ENS2_4HalfELi256ELb1EEEvPviiifPKvS7_S7_PKlii,"axG",@progbits,_ZN12tensorrt_llm7kernels21fusedQKNormRopeKernelIN3c108BFloat16ENS2_4HalfELi256ELb1EEEvPviiifPKvS7_S7_PKlii,comdat
	.protected	_ZN12tensorrt_llm7kernels21fusedQKNormRopeKernelIN3c108BFloat16ENS2_4HalfELi256ELb1EEEvPviiifPKvS7_S7_PKlii ; -- Begin function _ZN12tensorrt_llm7kernels21fusedQKNormRopeKernelIN3c108BFloat16ENS2_4HalfELi256ELb1EEEvPviiifPKvS7_S7_PKlii
	.globl	_ZN12tensorrt_llm7kernels21fusedQKNormRopeKernelIN3c108BFloat16ENS2_4HalfELi256ELb1EEEvPviiifPKvS7_S7_PKlii
	.p2align	8
	.type	_ZN12tensorrt_llm7kernels21fusedQKNormRopeKernelIN3c108BFloat16ENS2_4HalfELi256ELb1EEEvPviiifPKvS7_S7_PKlii,@function
_ZN12tensorrt_llm7kernels21fusedQKNormRopeKernelIN3c108BFloat16ENS2_4HalfELi256ELb1EEEvPviiifPKvS7_S7_PKlii: ; @_ZN12tensorrt_llm7kernels21fusedQKNormRopeKernelIN3c108BFloat16ENS2_4HalfELi256ELb1EEEvPviiifPKvS7_S7_PKlii
; %bb.0:
	s_clause 0x2
	s_load_b128 s[8:11], s[0:1], 0x8
	s_load_b64 s[12:13], s[0:1], 0x38
	s_load_b32 s4, s[0:1], 0x4c
	v_lshrrev_b32_e32 v3, 5, v0
	s_waitcnt lgkmcnt(0)
	s_add_i32 s2, s9, s8
	s_bfe_u32 s4, s4, 0xb0005
	s_abs_i32 s3, s2
	s_delay_alu instid0(SALU_CYCLE_1) | instskip(SKIP_1) | instid1(VALU_DEP_1)
	v_cvt_f32_u32_e32 v1, s3
	s_sub_i32 s5, 0, s3
	v_rcp_iflag_f32_e32 v1, v1
	s_waitcnt_depctr 0xfff
	v_mul_f32_e32 v1, 0x4f7ffffe, v1
	s_delay_alu instid0(VALU_DEP_1) | instskip(NEXT) | instid1(VALU_DEP_1)
	v_cvt_u32_f32_e32 v4, v1
	v_mul_lo_u32 v5, s5, v4
	v_mad_u64_u32 v[1:2], null, s15, s4, v[3:4]
	s_delay_alu instid0(VALU_DEP_2) | instskip(NEXT) | instid1(VALU_DEP_2)
	v_mul_hi_u32 v2, v4, v5
	v_sub_nc_u32_e32 v3, 0, v1
	s_delay_alu instid0(VALU_DEP_1) | instskip(NEXT) | instid1(VALU_DEP_3)
	v_max_i32_e32 v3, v1, v3
	v_add_nc_u32_e32 v2, v4, v2
	s_delay_alu instid0(VALU_DEP_1) | instskip(NEXT) | instid1(VALU_DEP_1)
	v_mul_hi_u32 v2, v3, v2
	v_mul_lo_u32 v4, v2, s3
	s_delay_alu instid0(VALU_DEP_1) | instskip(NEXT) | instid1(VALU_DEP_1)
	v_sub_nc_u32_e32 v3, v3, v4
	v_subrev_nc_u32_e32 v5, s3, v3
	v_cmp_le_u32_e32 vcc_lo, s3, v3
	s_delay_alu instid0(VALU_DEP_2) | instskip(NEXT) | instid1(VALU_DEP_1)
	v_dual_cndmask_b32 v3, v3, v5 :: v_dual_add_nc_u32 v4, 1, v2
	v_cndmask_b32_e32 v2, v2, v4, vcc_lo
	v_xor_b32_e32 v4, s2, v1
	s_delay_alu instid0(VALU_DEP_3) | instskip(NEXT) | instid1(VALU_DEP_3)
	v_cmp_le_u32_e32 vcc_lo, s3, v3
	v_add_nc_u32_e32 v5, 1, v2
	s_delay_alu instid0(VALU_DEP_3) | instskip(SKIP_1) | instid1(VALU_DEP_2)
	v_ashrrev_i32_e32 v4, 31, v4
	s_mov_b32 s3, exec_lo
	v_cndmask_b32_e32 v2, v2, v5, vcc_lo
	s_delay_alu instid0(VALU_DEP_1) | instskip(NEXT) | instid1(VALU_DEP_1)
	v_xor_b32_e32 v2, v2, v4
	v_sub_nc_u32_e32 v2, v2, v4
	s_delay_alu instid0(VALU_DEP_1)
	v_cmpx_gt_i32_e64 s12, v2
	s_cbranch_execz .LBB100_36
; %bb.1:
	v_mul_lo_u32 v3, v2, s2
	s_add_i32 s2, s2, s10
	v_and_b32_e32 v14, 31, v0
	v_mul_lo_u32 v4, v2, s2
	s_load_b64 s[2:3], s[0:1], 0x0
	v_mbcnt_lo_u32_b32 v17, -1, 0
	s_delay_alu instid0(VALU_DEP_3) | instskip(SKIP_1) | instid1(VALU_DEP_3)
	v_lshlrev_b32_e32 v9, 3, v14
	v_sub_nc_u32_e32 v1, v1, v3
	v_xor_b32_e32 v18, 16, v17
	s_delay_alu instid0(VALU_DEP_2) | instskip(SKIP_1) | instid1(VALU_DEP_1)
	v_cmp_gt_i32_e32 vcc_lo, s8, v1
	v_cndmask_b32_e64 v3, s8, 0, vcc_lo
	v_sub_nc_u32_e32 v0, v1, v3
	s_delay_alu instid0(VALU_DEP_1) | instskip(NEXT) | instid1(VALU_DEP_1)
	v_add3_u32 v0, v4, v3, v0
	v_lshl_or_b32 v0, v0, 8, v9
	s_delay_alu instid0(VALU_DEP_1) | instskip(NEXT) | instid1(VALU_DEP_1)
	v_ashrrev_i32_e32 v1, 31, v0
	v_lshlrev_b64 v[0:1], 1, v[0:1]
	s_waitcnt lgkmcnt(0)
	s_delay_alu instid0(VALU_DEP_1) | instskip(NEXT) | instid1(VALU_DEP_1)
	v_add_co_u32 v0, s2, s2, v0
	v_add_co_ci_u32_e64 v1, s2, s3, v1, s2
	s_load_b256 s[0:7], s[0:1], 0x18
	global_load_b128 v[3:6], v[0:1], off
	s_waitcnt lgkmcnt(0)
	v_dual_mov_b32 v8, s1 :: v_dual_mov_b32 v7, s0
	v_lshlrev_b32_e32 v10, 4, v14
	s_ashr_i32 s1, s13, 31
	s_delay_alu instid0(VALU_DEP_2) | instskip(NEXT) | instid1(VALU_DEP_3)
	v_cndmask_b32_e32 v8, s3, v8, vcc_lo
	v_cndmask_b32_e32 v7, s2, v7, vcc_lo
	s_lshr_b32 s0, s1, 29
	s_delay_alu instid0(SALU_CYCLE_1) | instskip(NEXT) | instid1(VALU_DEP_1)
	s_add_i32 s0, s13, s0
	v_add_co_u32 v7, vcc_lo, v7, v10
	v_add_co_ci_u32_e32 v8, vcc_lo, 0, v8, vcc_lo
	v_cmp_gt_i32_e32 vcc_lo, 32, v18
	s_ashr_i32 s0, s0, 3
	global_load_b128 v[10:13], v[7:8], off
	s_waitcnt vmcnt(1)
	v_dual_cndmask_b32 v18, v17, v18 :: v_dual_lshlrev_b32 v15, 16, v4
	v_and_b32_e32 v4, 0xffff0000, v4
	v_and_b32_e32 v7, 0xffff0000, v3
	v_lshlrev_b32_e32 v3, 16, v3
	v_lshlrev_b32_e32 v16, 16, v5
	v_and_b32_e32 v5, 0xffff0000, v5
	v_and_b32_e32 v20, 0xffff0000, v6
	v_dual_mul_f32 v8, v7, v7 :: v_dual_lshlrev_b32 v19, 16, v6
	s_delay_alu instid0(VALU_DEP_1) | instskip(NEXT) | instid1(VALU_DEP_1)
	v_fmac_f32_e32 v8, v3, v3
	v_fmac_f32_e32 v8, v15, v15
	s_delay_alu instid0(VALU_DEP_1) | instskip(SKIP_2) | instid1(VALU_DEP_3)
	v_fmac_f32_e32 v8, v4, v4
	v_lshlrev_b32_e32 v6, 2, v18
	v_xor_b32_e32 v18, 8, v17
	v_fmac_f32_e32 v8, v16, v16
	s_delay_alu instid0(VALU_DEP_2) | instskip(NEXT) | instid1(VALU_DEP_2)
	v_cmp_gt_i32_e32 vcc_lo, 32, v18
	v_fmac_f32_e32 v8, v5, v5
	s_waitcnt vmcnt(0)
	v_dual_cndmask_b32 v18, v17, v18 :: v_dual_and_b32 v21, 0xffff0000, v13
	s_delay_alu instid0(VALU_DEP_2) | instskip(NEXT) | instid1(VALU_DEP_2)
	v_dual_fmac_f32 v8, v19, v19 :: v_dual_lshlrev_b32 v13, 16, v13
	v_lshlrev_b32_e32 v18, 2, v18
	s_delay_alu instid0(VALU_DEP_2)
	v_fmac_f32_e32 v8, v20, v20
	ds_bpermute_b32 v6, v6, v8
	s_waitcnt lgkmcnt(0)
	v_add_f32_e32 v6, v8, v6
	ds_bpermute_b32 v8, v18, v6
	v_xor_b32_e32 v18, 4, v17
	s_delay_alu instid0(VALU_DEP_1) | instskip(SKIP_1) | instid1(VALU_DEP_1)
	v_cmp_gt_i32_e32 vcc_lo, 32, v18
	v_cndmask_b32_e32 v18, v17, v18, vcc_lo
	v_lshlrev_b32_e32 v18, 2, v18
	s_waitcnt lgkmcnt(0)
	v_add_f32_e32 v6, v6, v8
	ds_bpermute_b32 v8, v18, v6
	v_xor_b32_e32 v18, 2, v17
	s_delay_alu instid0(VALU_DEP_1) | instskip(SKIP_1) | instid1(VALU_DEP_1)
	v_cmp_gt_i32_e32 vcc_lo, 32, v18
	v_cndmask_b32_e32 v18, v17, v18, vcc_lo
	v_lshlrev_b32_e32 v18, 2, v18
	s_waitcnt lgkmcnt(0)
	v_add_f32_e32 v6, v6, v8
	ds_bpermute_b32 v8, v18, v6
	v_xor_b32_e32 v18, 1, v17
	s_delay_alu instid0(VALU_DEP_1) | instskip(SKIP_3) | instid1(VALU_DEP_2)
	v_cmp_gt_i32_e32 vcc_lo, 32, v18
	v_dual_cndmask_b32 v17, v17, v18 :: v_dual_and_b32 v18, 0xffff0000, v11
	v_lshlrev_b32_e32 v11, 16, v11
	s_waitcnt lgkmcnt(0)
	v_dual_add_f32 v6, v6, v8 :: v_dual_lshlrev_b32 v17, 2, v17
	ds_bpermute_b32 v8, v17, v6
	s_waitcnt lgkmcnt(0)
	v_dual_mov_b32 v17, s11 :: v_dual_add_f32 v6, v6, v8
	s_delay_alu instid0(VALU_DEP_1) | instskip(SKIP_2) | instid1(VALU_DEP_3)
	v_fmamk_f32 v6, v6, 0x3b800000, v17
	v_and_b32_e32 v17, 0xffff0000, v10
	v_lshlrev_b32_e32 v10, 16, v10
	v_mul_f32_e32 v8, 0x4b800000, v6
	v_cmp_gt_f32_e32 vcc_lo, 0x800000, v6
	s_delay_alu instid0(VALU_DEP_2) | instskip(NEXT) | instid1(VALU_DEP_1)
	v_cndmask_b32_e32 v6, v6, v8, vcc_lo
	v_rsq_f32_e32 v6, v6
	s_waitcnt_depctr 0xfff
	v_mul_f32_e32 v8, 0x45800000, v6
	s_delay_alu instid0(VALU_DEP_1) | instskip(SKIP_3) | instid1(VALU_DEP_4)
	v_cndmask_b32_e32 v6, v6, v8, vcc_lo
	v_and_b32_e32 v8, 0xffff0000, v12
	v_lshlrev_b32_e32 v12, 16, v12
	v_cmp_gt_i32_e32 vcc_lo, s0, v14
	v_mul_f32_e32 v10, v6, v10
	v_mul_f32_e32 v17, v6, v17
	;; [unrolled: 1-line block ×12, first 2 shown]
	v_dual_mul_f32 v6, v24, v5 :: v_dual_mul_f32 v5, v13, v19
	v_mul_f32_e32 v7, v23, v16
	v_mul_f32_e32 v4, v21, v20
	s_and_saveexec_b32 s0, vcc_lo
	s_cbranch_execz .LBB100_3
; %bb.2:
	v_ashrrev_i32_e32 v3, 31, v2
	s_delay_alu instid0(VALU_DEP_1) | instskip(NEXT) | instid1(VALU_DEP_1)
	v_lshlrev_b64 v[2:3], 3, v[2:3]
	v_add_co_u32 v2, vcc_lo, s6, v2
	s_delay_alu instid0(VALU_DEP_2)
	v_add_co_ci_u32_e32 v3, vcc_lo, s7, v3, vcc_lo
	global_load_b64 v[2:3], v[2:3], off
	s_waitcnt vmcnt(0)
	v_mul_lo_u32 v3, v3, s13
	v_mul_lo_u32 v15, v2, s1
	v_mad_u64_u32 v[13:14], null, v2, s13, 0
	s_lshr_b32 s1, s13, 31
	s_delay_alu instid0(SALU_CYCLE_1) | instskip(NEXT) | instid1(SALU_CYCLE_1)
	s_add_i32 s1, s13, s1
	s_ashr_i32 s2, s1, 1
	s_delay_alu instid0(VALU_DEP_1) | instskip(SKIP_1) | instid1(SALU_CYCLE_1)
	v_add3_u32 v14, v14, v15, v3
	s_ashr_i32 s3, s2, 31
	s_lshl_b64 s[2:3], s[2:3], 1
	s_delay_alu instid0(VALU_DEP_1) | instskip(NEXT) | instid1(VALU_DEP_1)
	v_lshlrev_b64 v[2:3], 1, v[13:14]
	v_add_co_u32 v2, vcc_lo, s4, v2
	s_delay_alu instid0(VALU_DEP_2) | instskip(NEXT) | instid1(VALU_DEP_2)
	v_add_co_ci_u32_e32 v3, vcc_lo, s5, v3, vcc_lo
	v_add_co_u32 v2, vcc_lo, v2, v9
	s_delay_alu instid0(VALU_DEP_2) | instskip(NEXT) | instid1(VALU_DEP_2)
	v_add_co_ci_u32_e32 v3, vcc_lo, 0, v3, vcc_lo
	v_add_co_u32 v13, vcc_lo, v2, s2
	s_delay_alu instid0(VALU_DEP_2)
	v_add_co_ci_u32_e32 v14, vcc_lo, s3, v3, vcc_lo
	s_clause 0x1
	global_load_b64 v[2:3], v[2:3], off
	global_load_b64 v[13:14], v[13:14], off
	s_waitcnt vmcnt(1)
	v_cvt_f32_f16_e32 v15, v2
	v_lshrrev_b32_e32 v16, 16, v3
	v_lshrrev_b32_e32 v9, 16, v2
	v_cvt_f32_f16_e32 v17, v3
	s_waitcnt vmcnt(0)
	v_lshrrev_b32_e32 v18, 16, v13
	v_lshrrev_b32_e32 v19, 16, v14
	v_mul_f32_e32 v20, v12, v15
	v_cvt_f32_f16_e32 v16, v16
	v_mul_f32_e32 v17, v6, v17
	v_mul_f32_e32 v15, v11, v15
	v_cvt_f32_f16_e32 v9, v9
	v_cvt_f32_f16_e32 v21, v14
	v_mul_f32_e32 v16, v4, v16
	s_delay_alu instid0(VALU_DEP_4)
	v_fma_mix_f32 v15, v12, v13, v15 op_sel_hi:[0,1,0]
	v_cvt_f32_f16_e32 v12, v18
	v_cvt_f32_f16_e32 v18, v19
	v_mul_f32_e32 v9, v8, v9
	v_mul_f32_e32 v19, v6, v21
	v_fma_mix_f32 v6, v7, v14, v17 op_sel_hi:[0,1,0]
	v_mul_f32_e32 v17, v8, v12
	v_mul_f32_e32 v4, v4, v18
	v_fma_mix_f32 v8, v10, v13, v9 op_sel:[0,1,0] op_sel_hi:[0,1,0]
	v_fma_mix_f32 v12, -v11, v13, v20 op_sel_hi:[0,1,0]
	v_fma_mix_f32 v7, v7, v3, -v19 op_sel_hi:[0,1,0]
	v_fma_mix_f32 v10, v10, v2, -v17 op_sel:[0,1,0] op_sel_hi:[0,1,0]
	v_fma_mix_f32 v2, v5, v3, -v4 op_sel:[0,1,0] op_sel_hi:[0,1,0]
	v_fma_mix_f32 v4, v5, v14, v16 op_sel:[0,1,0] op_sel_hi:[0,1,0]
	v_mov_b32_e32 v11, v15
	s_delay_alu instid0(VALU_DEP_3)
	v_mov_b32_e32 v5, v2
.LBB100_3:
	s_or_b32 exec_lo, exec_lo, s0
	v_and_b32_e32 v2, 0x7f800000, v12
	s_delay_alu instid0(VALU_DEP_1) | instskip(SKIP_1) | instid1(SALU_CYCLE_1)
	v_cmp_ne_u32_e32 vcc_lo, 0x7f800000, v2
                                        ; implicit-def: $vgpr2
	s_and_saveexec_b32 s0, vcc_lo
	s_xor_b32 s0, exec_lo, s0
; %bb.4:
	v_bfe_u32 v2, v12, 16, 1
	s_delay_alu instid0(VALU_DEP_1)
	v_add3_u32 v2, v12, v2, 0x7fff
                                        ; implicit-def: $vgpr12
; %bb.5:
	s_and_not1_saveexec_b32 s0, s0
; %bb.6:
	v_and_b32_e32 v2, 0xffff, v12
	v_or_b32_e32 v3, 0x10000, v12
	s_delay_alu instid0(VALU_DEP_2) | instskip(NEXT) | instid1(VALU_DEP_2)
	v_cmp_eq_u32_e32 vcc_lo, 0, v2
	v_cndmask_b32_e32 v2, v3, v12, vcc_lo
; %bb.7:
	s_or_b32 exec_lo, exec_lo, s0
	v_and_b32_e32 v3, 0x7f800000, v11
	s_delay_alu instid0(VALU_DEP_1) | instskip(SKIP_1) | instid1(SALU_CYCLE_1)
	v_cmp_ne_u32_e32 vcc_lo, 0x7f800000, v3
                                        ; implicit-def: $vgpr3
	s_and_saveexec_b32 s0, vcc_lo
	s_xor_b32 s0, exec_lo, s0
; %bb.8:
	v_bfe_u32 v3, v11, 16, 1
	s_delay_alu instid0(VALU_DEP_1)
	v_add3_u32 v3, v11, v3, 0x7fff
                                        ; implicit-def: $vgpr11
; %bb.9:
	s_and_not1_saveexec_b32 s0, s0
; %bb.10:
	v_and_b32_e32 v3, 0xffff, v11
	v_or_b32_e32 v9, 0x10000, v11
	s_delay_alu instid0(VALU_DEP_2) | instskip(NEXT) | instid1(VALU_DEP_2)
	v_cmp_eq_u32_e32 vcc_lo, 0, v3
	v_cndmask_b32_e32 v3, v9, v11, vcc_lo
; %bb.11:
	s_or_b32 exec_lo, exec_lo, s0
	v_and_b32_e32 v9, 0x7f800000, v10
	s_delay_alu instid0(VALU_DEP_1) | instskip(SKIP_1) | instid1(SALU_CYCLE_1)
	v_cmp_ne_u32_e32 vcc_lo, 0x7f800000, v9
                                        ; implicit-def: $vgpr9
	s_and_saveexec_b32 s0, vcc_lo
	s_xor_b32 s0, exec_lo, s0
; %bb.12:
	v_bfe_u32 v9, v10, 16, 1
	s_delay_alu instid0(VALU_DEP_1)
	v_add3_u32 v9, v10, v9, 0x7fff
                                        ; implicit-def: $vgpr10
; %bb.13:
	s_and_not1_saveexec_b32 s0, s0
; %bb.14:
	v_and_b32_e32 v9, 0xffff, v10
	v_or_b32_e32 v11, 0x10000, v10
	s_delay_alu instid0(VALU_DEP_2) | instskip(NEXT) | instid1(VALU_DEP_2)
	v_cmp_eq_u32_e32 vcc_lo, 0, v9
	v_cndmask_b32_e32 v9, v11, v10, vcc_lo
; %bb.15:
	s_or_b32 exec_lo, exec_lo, s0
	v_and_b32_e32 v10, 0x7f800000, v8
	s_delay_alu instid0(VALU_DEP_1) | instskip(SKIP_1) | instid1(SALU_CYCLE_1)
	v_cmp_ne_u32_e32 vcc_lo, 0x7f800000, v10
                                        ; implicit-def: $vgpr10
	s_and_saveexec_b32 s0, vcc_lo
	s_xor_b32 s0, exec_lo, s0
; %bb.16:
	v_bfe_u32 v10, v8, 16, 1
	s_delay_alu instid0(VALU_DEP_1)
	v_add3_u32 v10, v8, v10, 0x7fff
                                        ; implicit-def: $vgpr8
; %bb.17:
	s_and_not1_saveexec_b32 s0, s0
; %bb.18:
	v_and_b32_e32 v10, 0xffff, v8
	v_or_b32_e32 v11, 0x10000, v8
	s_delay_alu instid0(VALU_DEP_2) | instskip(NEXT) | instid1(VALU_DEP_2)
	v_cmp_eq_u32_e32 vcc_lo, 0, v10
	v_cndmask_b32_e32 v10, v11, v8, vcc_lo
; %bb.19:
	s_or_b32 exec_lo, exec_lo, s0
	v_and_b32_e32 v8, 0x7f800000, v7
	s_delay_alu instid0(VALU_DEP_1) | instskip(SKIP_1) | instid1(SALU_CYCLE_1)
	v_cmp_ne_u32_e32 vcc_lo, 0x7f800000, v8
                                        ; implicit-def: $vgpr8
	s_and_saveexec_b32 s0, vcc_lo
	s_xor_b32 s0, exec_lo, s0
; %bb.20:
	v_bfe_u32 v8, v7, 16, 1
	s_delay_alu instid0(VALU_DEP_1)
	v_add3_u32 v8, v7, v8, 0x7fff
                                        ; implicit-def: $vgpr7
; %bb.21:
	s_and_not1_saveexec_b32 s0, s0
; %bb.22:
	v_and_b32_e32 v8, 0xffff, v7
	v_or_b32_e32 v11, 0x10000, v7
	s_delay_alu instid0(VALU_DEP_2) | instskip(NEXT) | instid1(VALU_DEP_2)
	v_cmp_eq_u32_e32 vcc_lo, 0, v8
	v_cndmask_b32_e32 v8, v11, v7, vcc_lo
; %bb.23:
	s_or_b32 exec_lo, exec_lo, s0
	v_and_b32_e32 v7, 0x7f800000, v6
	s_delay_alu instid0(VALU_DEP_1) | instskip(SKIP_1) | instid1(SALU_CYCLE_1)
	v_cmp_ne_u32_e32 vcc_lo, 0x7f800000, v7
                                        ; implicit-def: $vgpr7
	s_and_saveexec_b32 s0, vcc_lo
	s_xor_b32 s0, exec_lo, s0
; %bb.24:
	v_bfe_u32 v7, v6, 16, 1
	s_delay_alu instid0(VALU_DEP_1)
	v_add3_u32 v7, v6, v7, 0x7fff
                                        ; implicit-def: $vgpr6
; %bb.25:
	s_and_not1_saveexec_b32 s0, s0
; %bb.26:
	v_and_b32_e32 v7, 0xffff, v6
	v_or_b32_e32 v11, 0x10000, v6
	s_delay_alu instid0(VALU_DEP_2) | instskip(NEXT) | instid1(VALU_DEP_2)
	v_cmp_eq_u32_e32 vcc_lo, 0, v7
	v_cndmask_b32_e32 v7, v11, v6, vcc_lo
; %bb.27:
	s_or_b32 exec_lo, exec_lo, s0
	v_and_b32_e32 v6, 0x7f800000, v5
	s_delay_alu instid0(VALU_DEP_1) | instskip(SKIP_1) | instid1(SALU_CYCLE_1)
	v_cmp_ne_u32_e32 vcc_lo, 0x7f800000, v6
                                        ; implicit-def: $vgpr6
	s_and_saveexec_b32 s0, vcc_lo
	s_xor_b32 s0, exec_lo, s0
; %bb.28:
	v_bfe_u32 v6, v5, 16, 1
	s_delay_alu instid0(VALU_DEP_1)
	v_add3_u32 v6, v5, v6, 0x7fff
                                        ; implicit-def: $vgpr5
; %bb.29:
	s_and_not1_saveexec_b32 s0, s0
; %bb.30:
	v_and_b32_e32 v6, 0xffff, v5
	v_or_b32_e32 v11, 0x10000, v5
	s_delay_alu instid0(VALU_DEP_2) | instskip(NEXT) | instid1(VALU_DEP_2)
	v_cmp_eq_u32_e32 vcc_lo, 0, v6
	v_cndmask_b32_e32 v6, v11, v5, vcc_lo
; %bb.31:
	s_or_b32 exec_lo, exec_lo, s0
	v_and_b32_e32 v5, 0x7f800000, v4
	s_delay_alu instid0(VALU_DEP_1) | instskip(SKIP_1) | instid1(SALU_CYCLE_1)
	v_cmp_ne_u32_e32 vcc_lo, 0x7f800000, v5
                                        ; implicit-def: $vgpr5
	s_and_saveexec_b32 s0, vcc_lo
	s_xor_b32 s0, exec_lo, s0
; %bb.32:
	v_bfe_u32 v5, v4, 16, 1
	s_delay_alu instid0(VALU_DEP_1)
	v_add3_u32 v5, v4, v5, 0x7fff
                                        ; implicit-def: $vgpr4
; %bb.33:
	s_and_not1_saveexec_b32 s0, s0
; %bb.34:
	v_and_b32_e32 v5, 0xffff, v4
	v_or_b32_e32 v11, 0x10000, v4
	s_delay_alu instid0(VALU_DEP_2) | instskip(NEXT) | instid1(VALU_DEP_2)
	v_cmp_eq_u32_e32 vcc_lo, 0, v5
	v_cndmask_b32_e32 v5, v11, v4, vcc_lo
; %bb.35:
	s_or_b32 exec_lo, exec_lo, s0
	s_delay_alu instid0(VALU_DEP_1)
	v_perm_b32 v6, v5, v6, 0x7060302
	v_perm_b32 v5, v7, v8, 0x7060302
	;; [unrolled: 1-line block ×4, first 2 shown]
	global_store_b128 v[0:1], v[3:6], off
.LBB100_36:
	s_nop 0
	s_sendmsg sendmsg(MSG_DEALLOC_VGPRS)
	s_endpgm
	.section	.rodata,"a",@progbits
	.p2align	6, 0x0
	.amdhsa_kernel _ZN12tensorrt_llm7kernels21fusedQKNormRopeKernelIN3c108BFloat16ENS2_4HalfELi256ELb1EEEvPviiifPKvS7_S7_PKlii
		.amdhsa_group_segment_fixed_size 0
		.amdhsa_private_segment_fixed_size 0
		.amdhsa_kernarg_size 320
		.amdhsa_user_sgpr_count 15
		.amdhsa_user_sgpr_dispatch_ptr 0
		.amdhsa_user_sgpr_queue_ptr 0
		.amdhsa_user_sgpr_kernarg_segment_ptr 1
		.amdhsa_user_sgpr_dispatch_id 0
		.amdhsa_user_sgpr_private_segment_size 0
		.amdhsa_wavefront_size32 1
		.amdhsa_uses_dynamic_stack 0
		.amdhsa_enable_private_segment 0
		.amdhsa_system_sgpr_workgroup_id_x 1
		.amdhsa_system_sgpr_workgroup_id_y 0
		.amdhsa_system_sgpr_workgroup_id_z 0
		.amdhsa_system_sgpr_workgroup_info 0
		.amdhsa_system_vgpr_workitem_id 0
		.amdhsa_next_free_vgpr 25
		.amdhsa_next_free_sgpr 16
		.amdhsa_reserve_vcc 1
		.amdhsa_float_round_mode_32 0
		.amdhsa_float_round_mode_16_64 0
		.amdhsa_float_denorm_mode_32 3
		.amdhsa_float_denorm_mode_16_64 3
		.amdhsa_dx10_clamp 1
		.amdhsa_ieee_mode 1
		.amdhsa_fp16_overflow 0
		.amdhsa_workgroup_processor_mode 1
		.amdhsa_memory_ordered 1
		.amdhsa_forward_progress 0
		.amdhsa_shared_vgpr_count 0
		.amdhsa_exception_fp_ieee_invalid_op 0
		.amdhsa_exception_fp_denorm_src 0
		.amdhsa_exception_fp_ieee_div_zero 0
		.amdhsa_exception_fp_ieee_overflow 0
		.amdhsa_exception_fp_ieee_underflow 0
		.amdhsa_exception_fp_ieee_inexact 0
		.amdhsa_exception_int_div_zero 0
	.end_amdhsa_kernel
	.section	.text._ZN12tensorrt_llm7kernels21fusedQKNormRopeKernelIN3c108BFloat16ENS2_4HalfELi256ELb1EEEvPviiifPKvS7_S7_PKlii,"axG",@progbits,_ZN12tensorrt_llm7kernels21fusedQKNormRopeKernelIN3c108BFloat16ENS2_4HalfELi256ELb1EEEvPviiifPKvS7_S7_PKlii,comdat
.Lfunc_end100:
	.size	_ZN12tensorrt_llm7kernels21fusedQKNormRopeKernelIN3c108BFloat16ENS2_4HalfELi256ELb1EEEvPviiifPKvS7_S7_PKlii, .Lfunc_end100-_ZN12tensorrt_llm7kernels21fusedQKNormRopeKernelIN3c108BFloat16ENS2_4HalfELi256ELb1EEEvPviiifPKvS7_S7_PKlii
                                        ; -- End function
	.section	.AMDGPU.csdata,"",@progbits
; Kernel info:
; codeLenInByte = 2056
; NumSgprs: 18
; NumVgprs: 25
; ScratchSize: 0
; MemoryBound: 0
; FloatMode: 240
; IeeeMode: 1
; LDSByteSize: 0 bytes/workgroup (compile time only)
; SGPRBlocks: 2
; VGPRBlocks: 3
; NumSGPRsForWavesPerEU: 18
; NumVGPRsForWavesPerEU: 25
; Occupancy: 16
; WaveLimiterHint : 1
; COMPUTE_PGM_RSRC2:SCRATCH_EN: 0
; COMPUTE_PGM_RSRC2:USER_SGPR: 15
; COMPUTE_PGM_RSRC2:TRAP_HANDLER: 0
; COMPUTE_PGM_RSRC2:TGID_X_EN: 1
; COMPUTE_PGM_RSRC2:TGID_Y_EN: 0
; COMPUTE_PGM_RSRC2:TGID_Z_EN: 0
; COMPUTE_PGM_RSRC2:TIDIG_COMP_CNT: 0
	.section	.text._ZN12tensorrt_llm7kernels21fusedQKNormRopeKernelIN3c108BFloat16ENS2_4HalfELi256ELb0EEEvPviiifPKvS7_S7_PKlii,"axG",@progbits,_ZN12tensorrt_llm7kernels21fusedQKNormRopeKernelIN3c108BFloat16ENS2_4HalfELi256ELb0EEEvPviiifPKvS7_S7_PKlii,comdat
	.protected	_ZN12tensorrt_llm7kernels21fusedQKNormRopeKernelIN3c108BFloat16ENS2_4HalfELi256ELb0EEEvPviiifPKvS7_S7_PKlii ; -- Begin function _ZN12tensorrt_llm7kernels21fusedQKNormRopeKernelIN3c108BFloat16ENS2_4HalfELi256ELb0EEEvPviiifPKvS7_S7_PKlii
	.globl	_ZN12tensorrt_llm7kernels21fusedQKNormRopeKernelIN3c108BFloat16ENS2_4HalfELi256ELb0EEEvPviiifPKvS7_S7_PKlii
	.p2align	8
	.type	_ZN12tensorrt_llm7kernels21fusedQKNormRopeKernelIN3c108BFloat16ENS2_4HalfELi256ELb0EEEvPviiifPKvS7_S7_PKlii,@function
_ZN12tensorrt_llm7kernels21fusedQKNormRopeKernelIN3c108BFloat16ENS2_4HalfELi256ELb0EEEvPviiifPKvS7_S7_PKlii: ; @_ZN12tensorrt_llm7kernels21fusedQKNormRopeKernelIN3c108BFloat16ENS2_4HalfELi256ELb0EEEvPviiifPKvS7_S7_PKlii
; %bb.0:
	s_clause 0x2
	s_load_b128 s[8:11], s[0:1], 0x8
	s_load_b64 s[12:13], s[0:1], 0x38
	s_load_b32 s4, s[0:1], 0x4c
	s_waitcnt lgkmcnt(0)
	s_add_i32 s2, s9, s8
	s_bfe_u32 s4, s4, 0xb0005
	s_abs_i32 s3, s2
	s_delay_alu instid0(SALU_CYCLE_1) | instskip(SKIP_1) | instid1(VALU_DEP_1)
	v_cvt_f32_u32_e32 v1, s3
	s_sub_i32 s5, 0, s3
	v_rcp_iflag_f32_e32 v1, v1
	s_waitcnt_depctr 0xfff
	v_mul_f32_e32 v1, 0x4f7ffffe, v1
	s_delay_alu instid0(VALU_DEP_1) | instskip(SKIP_1) | instid1(VALU_DEP_2)
	v_cvt_u32_f32_e32 v4, v1
	v_lshrrev_b32_e32 v1, 5, v0
	v_mul_lo_u32 v5, s5, v4
	s_delay_alu instid0(VALU_DEP_2) | instskip(NEXT) | instid1(VALU_DEP_2)
	v_mad_u64_u32 v[2:3], null, s15, s4, v[1:2]
	v_mul_hi_u32 v1, v4, v5
	s_delay_alu instid0(VALU_DEP_2) | instskip(NEXT) | instid1(VALU_DEP_1)
	v_sub_nc_u32_e32 v3, 0, v2
	v_max_i32_e32 v3, v2, v3
	s_delay_alu instid0(VALU_DEP_3) | instskip(NEXT) | instid1(VALU_DEP_1)
	v_add_nc_u32_e32 v1, v4, v1
	v_mul_hi_u32 v1, v3, v1
	s_delay_alu instid0(VALU_DEP_1) | instskip(NEXT) | instid1(VALU_DEP_1)
	v_mul_lo_u32 v4, v1, s3
	v_sub_nc_u32_e32 v3, v3, v4
	v_add_nc_u32_e32 v4, 1, v1
	s_delay_alu instid0(VALU_DEP_2) | instskip(SKIP_1) | instid1(VALU_DEP_3)
	v_subrev_nc_u32_e32 v5, s3, v3
	v_cmp_le_u32_e32 vcc_lo, s3, v3
	v_cndmask_b32_e32 v1, v1, v4, vcc_lo
	s_delay_alu instid0(VALU_DEP_3) | instskip(SKIP_1) | instid1(VALU_DEP_3)
	v_cndmask_b32_e32 v3, v3, v5, vcc_lo
	v_xor_b32_e32 v4, s2, v2
	v_add_nc_u32_e32 v5, 1, v1
	s_delay_alu instid0(VALU_DEP_3) | instskip(NEXT) | instid1(VALU_DEP_3)
	v_cmp_le_u32_e32 vcc_lo, s3, v3
	v_ashrrev_i32_e32 v4, 31, v4
	s_mov_b32 s3, exec_lo
	s_delay_alu instid0(VALU_DEP_3) | instskip(NEXT) | instid1(VALU_DEP_1)
	v_cndmask_b32_e32 v1, v1, v5, vcc_lo
	v_xor_b32_e32 v1, v1, v4
	s_delay_alu instid0(VALU_DEP_1) | instskip(NEXT) | instid1(VALU_DEP_1)
	v_sub_nc_u32_e32 v1, v1, v4
	v_cmpx_gt_i32_e64 s12, v1
	s_cbranch_execz .LBB101_36
; %bb.1:
	v_mul_lo_u32 v3, v1, s2
	s_add_i32 s2, s2, s10
	v_mbcnt_lo_u32_b32 v12, -1, 0
	v_mul_lo_u32 v5, v1, s2
	s_load_b64 s[2:3], s[0:1], 0x0
	s_delay_alu instid0(VALU_DEP_2) | instskip(NEXT) | instid1(VALU_DEP_4)
	v_xor_b32_e32 v10, 16, v12
	v_sub_nc_u32_e32 v2, v2, v3
	v_xor_b32_e32 v11, 8, v12
	s_delay_alu instid0(VALU_DEP_2) | instskip(SKIP_2) | instid1(VALU_DEP_1)
	v_cmp_gt_i32_e32 vcc_lo, s8, v2
	v_and_b32_e32 v4, 31, v0
	v_cndmask_b32_e64 v3, s8, 0, vcc_lo
	v_sub_nc_u32_e32 v0, v2, v3
	s_delay_alu instid0(VALU_DEP_3) | instskip(NEXT) | instid1(VALU_DEP_2)
	v_lshlrev_b32_e32 v2, 3, v4
	v_add3_u32 v0, v5, v3, v0
	s_delay_alu instid0(VALU_DEP_1) | instskip(NEXT) | instid1(VALU_DEP_1)
	v_lshl_or_b32 v2, v0, 8, v2
	v_ashrrev_i32_e32 v3, 31, v2
	s_delay_alu instid0(VALU_DEP_1) | instskip(SKIP_1) | instid1(VALU_DEP_1)
	v_lshlrev_b64 v[2:3], 1, v[2:3]
	s_waitcnt lgkmcnt(0)
	v_add_co_u32 v8, s2, s2, v2
	s_delay_alu instid0(VALU_DEP_1)
	v_add_co_ci_u32_e64 v9, s2, s3, v3, s2
	s_load_b256 s[0:7], s[0:1], 0x18
	global_load_b128 v[15:18], v[8:9], off
	s_waitcnt lgkmcnt(0)
	v_mov_b32_e32 v0, s0
	v_mov_b32_e32 v2, s1
	s_ashr_i32 s1, s13, 31
	s_delay_alu instid0(SALU_CYCLE_1) | instskip(NEXT) | instid1(VALU_DEP_1)
	s_lshr_b32 s0, s1, 29
	v_dual_cndmask_b32 v3, s3, v2 :: v_dual_lshlrev_b32 v14, 4, v4
	s_add_i32 s0, s13, s0
	s_delay_alu instid0(SALU_CYCLE_1)
	s_ashr_i32 s0, s0, 3
	s_waitcnt vmcnt(0)
	v_lshlrev_b32_e32 v5, 16, v16
	v_dual_cndmask_b32 v0, s2, v0 :: v_dual_lshlrev_b32 v7, 16, v17
	v_and_b32_e32 v6, 0xffff0000, v16
	v_lshlrev_b32_e32 v16, 16, v18
	s_delay_alu instid0(VALU_DEP_3)
	v_add_co_u32 v2, vcc_lo, v0, v14
	v_add_co_ci_u32_e32 v3, vcc_lo, 0, v3, vcc_lo
	v_and_b32_e32 v0, 0xffff0000, v15
	v_cmp_gt_i32_e32 vcc_lo, 32, v10
	global_load_b128 v[19:22], v[2:3], off
	v_dual_mul_f32 v3, v0, v0 :: v_dual_lshlrev_b32 v2, 16, v15
	v_dual_cndmask_b32 v10, v12, v10 :: v_dual_and_b32 v15, 0xffff0000, v17
	v_and_b32_e32 v17, 0xffff0000, v18
	v_cmp_gt_i32_e32 vcc_lo, 32, v11
	s_delay_alu instid0(VALU_DEP_4) | instskip(SKIP_1) | instid1(VALU_DEP_2)
	v_fmac_f32_e32 v3, v2, v2
	v_cndmask_b32_e32 v11, v12, v11, vcc_lo
	v_fmac_f32_e32 v3, v5, v5
	s_delay_alu instid0(VALU_DEP_1) | instskip(NEXT) | instid1(VALU_DEP_1)
	v_fmac_f32_e32 v3, v6, v6
	v_fmac_f32_e32 v3, v7, v7
	s_delay_alu instid0(VALU_DEP_1) | instskip(NEXT) | instid1(VALU_DEP_1)
	v_fmac_f32_e32 v3, v15, v15
	v_dual_fmac_f32 v3, v16, v16 :: v_dual_lshlrev_b32 v10, 2, v10
	s_delay_alu instid0(VALU_DEP_1)
	v_fmac_f32_e32 v3, v17, v17
	ds_bpermute_b32 v10, v10, v3
	s_waitcnt vmcnt(0) lgkmcnt(0)
	v_dual_add_f32 v3, v3, v10 :: v_dual_lshlrev_b32 v18, 16, v20
	v_lshlrev_b32_e32 v11, 2, v11
	v_and_b32_e32 v13, 0xffff0000, v19
	ds_bpermute_b32 v10, v11, v3
	v_xor_b32_e32 v11, 4, v12
	s_delay_alu instid0(VALU_DEP_1) | instskip(SKIP_1) | instid1(VALU_DEP_1)
	v_cmp_gt_i32_e32 vcc_lo, 32, v11
	v_cndmask_b32_e32 v11, v12, v11, vcc_lo
	v_lshlrev_b32_e32 v11, 2, v11
	s_waitcnt lgkmcnt(0)
	v_add_f32_e32 v3, v3, v10
	ds_bpermute_b32 v10, v11, v3
	v_xor_b32_e32 v11, 2, v12
	s_delay_alu instid0(VALU_DEP_1) | instskip(SKIP_1) | instid1(VALU_DEP_1)
	v_cmp_gt_i32_e32 vcc_lo, 32, v11
	v_cndmask_b32_e32 v11, v12, v11, vcc_lo
	v_lshlrev_b32_e32 v11, 2, v11
	s_waitcnt lgkmcnt(0)
	v_add_f32_e32 v3, v3, v10
	;; [unrolled: 8-line block ×3, first 2 shown]
	ds_bpermute_b32 v10, v11, v3
	v_mov_b32_e32 v11, s11
	s_waitcnt lgkmcnt(0)
	v_add_f32_e32 v3, v3, v10
	s_delay_alu instid0(VALU_DEP_1) | instskip(SKIP_3) | instid1(VALU_DEP_4)
	v_fmamk_f32 v3, v3, 0x3b800000, v11
	v_lshlrev_b32_e32 v11, 16, v19
	v_and_b32_e32 v19, 0xffff0000, v20
	v_and_b32_e32 v20, 0xffff0000, v21
	v_mul_f32_e32 v10, 0x4b800000, v3
	v_cmp_gt_f32_e32 vcc_lo, 0x800000, v3
	s_delay_alu instid0(VALU_DEP_2) | instskip(NEXT) | instid1(VALU_DEP_1)
	v_cndmask_b32_e32 v3, v3, v10, vcc_lo
	v_rsq_f32_e32 v3, v3
	s_waitcnt_depctr 0xfff
	v_mul_f32_e32 v10, 0x45800000, v3
	s_delay_alu instid0(VALU_DEP_1) | instskip(SKIP_3) | instid1(VALU_DEP_4)
	v_dual_cndmask_b32 v3, v3, v10 :: v_dual_lshlrev_b32 v10, 16, v21
	v_lshlrev_b32_e32 v21, 16, v22
	v_and_b32_e32 v22, 0xffff0000, v22
	v_cmp_gt_i32_e32 vcc_lo, s0, v4
	v_mul_f32_e32 v11, v3, v11
	v_mul_f32_e32 v23, v3, v13
	;; [unrolled: 1-line block ×9, first 2 shown]
	v_dual_mul_f32 v11, v23, v0 :: v_dual_mul_f32 v10, v18, v5
	v_dual_mul_f32 v6, v19, v6 :: v_dual_mul_f32 v5, v24, v7
	;; [unrolled: 1-line block ×3, first 2 shown]
	v_mul_f32_e32 v7, v22, v17
	s_and_saveexec_b32 s0, vcc_lo
	s_cbranch_execz .LBB101_3
; %bb.2:
	v_ashrrev_i32_e32 v2, 31, v1
	s_abs_i32 s2, s13
	v_or_b32_e32 v17, 2, v14
	v_cvt_f32_u32_e32 v15, s2
	s_sub_i32 s3, 0, s2
	v_lshlrev_b64 v[1:2], 3, v[1:2]
	v_or_b32_e32 v18, 4, v14
	v_or_b32_e32 v19, 6, v14
	v_rcp_iflag_f32_e32 v15, v15
	v_or_b32_e32 v20, 8, v14
	v_or_b32_e32 v21, 10, v14
	v_add_co_u32 v1, vcc_lo, s6, v1
	v_add_co_ci_u32_e32 v2, vcc_lo, s7, v2, vcc_lo
	v_or_b32_e32 v22, 12, v14
	s_waitcnt_depctr 0xfff
	v_mul_f32_e32 v15, 0x4f7ffffe, v15
	global_load_b64 v[1:2], v[1:2], off
	; wave barrier
	v_cvt_u32_f32_e32 v15, v15
	s_delay_alu instid0(VALU_DEP_1) | instskip(SKIP_1) | instid1(SALU_CYCLE_1)
	v_mul_lo_u32 v16, s3, v15
	s_lshr_b32 s3, s13, 31
	s_add_i32 s3, s13, s3
	s_delay_alu instid0(SALU_CYCLE_1) | instskip(NEXT) | instid1(SALU_CYCLE_1)
	s_ashr_i32 s6, s3, 1
	s_ashr_i32 s7, s6, 31
	s_delay_alu instid0(VALU_DEP_1) | instskip(SKIP_1) | instid1(VALU_DEP_1)
	v_mul_hi_u32 v16, v15, v16
	s_lshl_b64 s[6:7], s[6:7], 1
	v_add_nc_u32_e32 v15, v15, v16
	v_or_b32_e32 v16, 14, v14
	s_delay_alu instid0(VALU_DEP_2)
	v_mul_hi_u32 v23, v14, v15
	v_mul_hi_u32 v24, v17, v15
	;; [unrolled: 1-line block ×8, first 2 shown]
	v_mul_lo_u32 v23, v23, s2
	v_mul_lo_u32 v24, v24, s2
	;; [unrolled: 1-line block ×8, first 2 shown]
	v_sub_nc_u32_e32 v14, v14, v23
	v_sub_nc_u32_e32 v17, v17, v24
	;; [unrolled: 1-line block ×5, first 2 shown]
	v_cmp_le_u32_e32 vcc_lo, s2, v14
	v_subrev_nc_u32_e32 v23, s2, v17
	v_sub_nc_u32_e32 v15, v16, v15
	v_subrev_nc_u32_e32 v16, s2, v14
	v_subrev_nc_u32_e32 v24, s2, v18
	v_subrev_nc_u32_e32 v25, s2, v19
	v_sub_nc_u32_e32 v21, v21, v28
	v_subrev_nc_u32_e32 v26, s2, v20
	v_cndmask_b32_e32 v14, v14, v16, vcc_lo
	v_cmp_le_u32_e32 vcc_lo, s2, v17
	v_sub_nc_u32_e32 v22, v22, v29
	v_subrev_nc_u32_e32 v27, s2, v21
	v_subrev_nc_u32_e32 v29, s2, v15
	v_cndmask_b32_e32 v16, v17, v23, vcc_lo
	v_cmp_le_u32_e32 vcc_lo, s2, v18
	v_subrev_nc_u32_e32 v28, s2, v22
	s_delay_alu instid0(VALU_DEP_3) | instskip(SKIP_4) | instid1(VALU_DEP_4)
	v_subrev_nc_u32_e32 v23, s2, v16
	v_cndmask_b32_e32 v17, v18, v24, vcc_lo
	v_cmp_le_u32_e32 vcc_lo, s2, v19
	v_cndmask_b32_e32 v18, v19, v25, vcc_lo
	v_cmp_le_u32_e32 vcc_lo, s2, v20
	v_subrev_nc_u32_e32 v24, s2, v17
	s_delay_alu instid0(VALU_DEP_3) | instskip(SKIP_4) | instid1(VALU_DEP_4)
	v_subrev_nc_u32_e32 v25, s2, v18
	v_cndmask_b32_e32 v19, v20, v26, vcc_lo
	v_cmp_le_u32_e32 vcc_lo, s2, v21
	v_cndmask_b32_e32 v20, v21, v27, vcc_lo
	v_cmp_le_u32_e32 vcc_lo, s2, v22
	v_subrev_nc_u32_e32 v26, s2, v19
	s_delay_alu instid0(VALU_DEP_3)
	v_subrev_nc_u32_e32 v27, s2, v20
	v_cndmask_b32_e32 v21, v22, v28, vcc_lo
	v_cmp_le_u32_e32 vcc_lo, s2, v15
	v_cndmask_b32_e32 v22, v15, v29, vcc_lo
	v_subrev_nc_u32_e32 v15, s2, v14
	v_cmp_le_u32_e32 vcc_lo, s2, v14
	v_subrev_nc_u32_e32 v28, s2, v21
	s_delay_alu instid0(VALU_DEP_4) | instskip(NEXT) | instid1(VALU_DEP_4)
	v_subrev_nc_u32_e32 v29, s2, v22
	v_cndmask_b32_e32 v30, v14, v15, vcc_lo
	v_cmp_le_u32_e32 vcc_lo, s2, v16
	v_cndmask_b32_e32 v16, v16, v23, vcc_lo
	v_cmp_le_u32_e32 vcc_lo, s2, v17
	;; [unrolled: 2-line block ×5, first 2 shown]
	v_and_b32_e32 v24, -2, v16
	v_and_b32_e32 v26, -2, v17
	v_cndmask_b32_e32 v20, v20, v27, vcc_lo
	v_cmp_le_u32_e32 vcc_lo, s2, v21
	v_cndmask_b32_e32 v21, v21, v28, vcc_lo
	v_cmp_le_u32_e32 vcc_lo, s2, v22
	v_and_b32_e32 v28, -2, v18
	s_delay_alu instid0(VALU_DEP_3) | instskip(SKIP_1) | instid1(VALU_DEP_1)
	v_and_b32_e32 v39, -2, v21
	v_cndmask_b32_e32 v22, v22, v29, vcc_lo
	v_and_b32_e32 v42, -2, v22
	s_waitcnt vmcnt(0)
	v_mul_lo_u32 v2, v2, s13
	v_mul_lo_u32 v23, v1, s1
	v_mad_u64_u32 v[14:15], null, v1, s13, 0
	s_lshr_b32 s1, s1, 28
	s_delay_alu instid0(SALU_CYCLE_1) | instskip(NEXT) | instid1(SALU_CYCLE_1)
	s_add_i32 s1, s13, s1
	s_ashr_i32 s1, s1, 4
	s_delay_alu instid0(VALU_DEP_1) | instskip(SKIP_3) | instid1(VALU_DEP_4)
	v_add3_u32 v15, v15, v23, v2
	v_and_b32_e32 v23, -2, v30
	v_and_b32_e32 v30, -2, v19
	;; [unrolled: 1-line block ×3, first 2 shown]
	v_lshlrev_b64 v[1:2], 1, v[14:15]
	s_delay_alu instid0(VALU_DEP_1) | instskip(NEXT) | instid1(VALU_DEP_2)
	v_add_co_u32 v40, vcc_lo, s4, v1
	v_add_co_ci_u32_e32 v41, vcc_lo, s5, v2, vcc_lo
	s_delay_alu instid0(VALU_DEP_2) | instskip(NEXT) | instid1(VALU_DEP_2)
	v_add_co_u32 v36, vcc_lo, v40, s6
	v_add_co_ci_u32_e32 v37, vcc_lo, s7, v41, vcc_lo
	v_add_co_u32 v1, vcc_lo, v40, v23
	v_add_co_ci_u32_e32 v2, vcc_lo, 0, v41, vcc_lo
	;; [unrolled: 2-line block ×14, first 2 shown]
	s_clause 0xa
	global_load_u16 v43, v[1:2], off
	global_load_u16 v22, v[22:23], off
	;; [unrolled: 1-line block ×11, first 2 shown]
	v_add_co_u32 v1, vcc_lo, v40, v38
	v_add_co_ci_u32_e32 v2, vcc_lo, 0, v41, vcc_lo
	v_add_co_u32 v14, vcc_lo, v40, v39
	v_add_co_ci_u32_e32 v15, vcc_lo, 0, v41, vcc_lo
	;; [unrolled: 2-line block ×3, first 2 shown]
	s_clause 0x4
	global_load_u16 v18, v[18:19], off
	global_load_u16 v19, v[20:21], off
	;; [unrolled: 1-line block ×5, first 2 shown]
	v_xor_b32_e32 v15, s1, v12
	; wave barrier
	s_delay_alu instid0(VALU_DEP_1) | instskip(SKIP_2) | instid1(VALU_DEP_2)
	v_cmp_gt_i32_e32 vcc_lo, 32, v15
	v_cndmask_b32_e32 v12, v12, v15, vcc_lo
	v_cmp_gt_i32_e32 vcc_lo, s1, v4
	v_lshlrev_b32_e32 v12, 2, v12
	ds_bpermute_b32 v15, v12, v13
	ds_bpermute_b32 v16, v12, v11
	;; [unrolled: 1-line block ×8, first 2 shown]
	s_waitcnt lgkmcnt(7)
	v_cndmask_b32_e64 v4, v15, -v15, vcc_lo
	s_waitcnt lgkmcnt(6)
	v_cndmask_b32_e64 v15, v16, -v16, vcc_lo
	;; [unrolled: 2-line block ×8, first 2 shown]
	s_waitcnt vmcnt(14)
	v_cvt_f32_f16_e32 v22, v22
	s_waitcnt vmcnt(12)
	v_cvt_f32_f16_e32 v24, v24
	;; [unrolled: 2-line block ×5, first 2 shown]
	v_mul_f32_e32 v15, v15, v24
	s_waitcnt vmcnt(7)
	v_cvt_f32_f16_e32 v29, v29
	s_waitcnt vmcnt(6)
	v_cvt_f32_f16_e32 v30, v30
	;; [unrolled: 2-line block ×3, first 2 shown]
	v_mul_f32_e32 v4, v4, v22
	v_dual_mul_f32 v16, v16, v26 :: v_dual_mul_f32 v17, v17, v27
	v_dual_mul_f32 v20, v20, v28 :: v_dual_mul_f32 v21, v21, v29
	v_mul_f32_e32 v22, v32, v30
	v_mul_f32_e32 v12, v12, v31
	v_fma_mix_f32 v13, v13, v43, v4 op_sel_hi:[0,1,0]
	v_fma_mix_f32 v11, v11, v23, v15 op_sel_hi:[0,1,0]
	;; [unrolled: 1-line block ×3, first 2 shown]
	s_waitcnt vmcnt(4)
	v_fma_mix_f32 v6, v6, v18, v17 op_sel_hi:[0,1,0]
	s_waitcnt vmcnt(3)
	v_fma_mix_f32 v5, v5, v19, v20 op_sel_hi:[0,1,0]
	;; [unrolled: 2-line block ×5, first 2 shown]
.LBB101_3:
	s_or_b32 exec_lo, exec_lo, s0
	v_and_b32_e32 v1, 0x7f800000, v13
	s_mov_b32 s0, exec_lo
                                        ; implicit-def: $vgpr12
	s_delay_alu instid0(VALU_DEP_1)
	v_cmpx_ne_u32_e32 0x7f800000, v1
	s_xor_b32 s0, exec_lo, s0
; %bb.4:
	v_bfe_u32 v1, v13, 16, 1
	s_delay_alu instid0(VALU_DEP_1)
	v_add3_u32 v12, v13, v1, 0x7fff
; %bb.5:
	s_and_not1_saveexec_b32 s0, s0
; %bb.6:
	v_and_b32_e32 v1, 0xffff, v13
	v_or_b32_e32 v2, 0x10000, v13
	s_delay_alu instid0(VALU_DEP_2) | instskip(NEXT) | instid1(VALU_DEP_2)
	v_cmp_eq_u32_e32 vcc_lo, 0, v1
	v_cndmask_b32_e32 v12, v2, v13, vcc_lo
; %bb.7:
	s_or_b32 exec_lo, exec_lo, s0
	v_and_b32_e32 v1, 0x7f800000, v11
	s_mov_b32 s0, exec_lo
                                        ; implicit-def: $vgpr13
	s_delay_alu instid0(VALU_DEP_1)
	v_cmpx_ne_u32_e32 0x7f800000, v1
	s_xor_b32 s0, exec_lo, s0
; %bb.8:
	v_bfe_u32 v1, v11, 16, 1
	s_delay_alu instid0(VALU_DEP_1)
	v_add3_u32 v13, v11, v1, 0x7fff
; %bb.9:
	s_and_not1_saveexec_b32 s0, s0
; %bb.10:
	v_and_b32_e32 v1, 0xffff, v11
	v_or_b32_e32 v2, 0x10000, v11
	s_delay_alu instid0(VALU_DEP_2) | instskip(NEXT) | instid1(VALU_DEP_2)
	v_cmp_eq_u32_e32 vcc_lo, 0, v1
	v_cndmask_b32_e32 v13, v2, v11, vcc_lo
; %bb.11:
	s_or_b32 exec_lo, exec_lo, s0
	v_and_b32_e32 v1, 0x7f800000, v10
	s_mov_b32 s0, exec_lo
                                        ; implicit-def: $vgpr11
	s_delay_alu instid0(VALU_DEP_1)
	v_cmpx_ne_u32_e32 0x7f800000, v1
	s_xor_b32 s0, exec_lo, s0
; %bb.12:
	v_bfe_u32 v1, v10, 16, 1
	s_delay_alu instid0(VALU_DEP_1)
	v_add3_u32 v11, v10, v1, 0x7fff
; %bb.13:
	s_and_not1_saveexec_b32 s0, s0
; %bb.14:
	v_and_b32_e32 v1, 0xffff, v10
	v_or_b32_e32 v2, 0x10000, v10
	s_delay_alu instid0(VALU_DEP_2) | instskip(NEXT) | instid1(VALU_DEP_2)
	v_cmp_eq_u32_e32 vcc_lo, 0, v1
	v_cndmask_b32_e32 v11, v2, v10, vcc_lo
; %bb.15:
	s_or_b32 exec_lo, exec_lo, s0
	v_and_b32_e32 v1, 0x7f800000, v6
	s_mov_b32 s0, exec_lo
                                        ; implicit-def: $vgpr10
	s_delay_alu instid0(VALU_DEP_1)
	v_cmpx_ne_u32_e32 0x7f800000, v1
	s_xor_b32 s0, exec_lo, s0
; %bb.16:
	v_bfe_u32 v1, v6, 16, 1
	s_delay_alu instid0(VALU_DEP_1)
	v_add3_u32 v10, v6, v1, 0x7fff
; %bb.17:
	s_and_not1_saveexec_b32 s0, s0
; %bb.18:
	v_and_b32_e32 v1, 0xffff, v6
	v_or_b32_e32 v2, 0x10000, v6
	s_delay_alu instid0(VALU_DEP_2) | instskip(NEXT) | instid1(VALU_DEP_2)
	v_cmp_eq_u32_e32 vcc_lo, 0, v1
	v_cndmask_b32_e32 v10, v2, v6, vcc_lo
; %bb.19:
	s_or_b32 exec_lo, exec_lo, s0
	v_and_b32_e32 v1, 0x7f800000, v5
	s_mov_b32 s0, exec_lo
                                        ; implicit-def: $vgpr14
	s_delay_alu instid0(VALU_DEP_1)
	v_cmpx_ne_u32_e32 0x7f800000, v1
	s_xor_b32 s0, exec_lo, s0
; %bb.20:
	v_bfe_u32 v1, v5, 16, 1
	s_delay_alu instid0(VALU_DEP_1)
	v_add3_u32 v14, v5, v1, 0x7fff
; %bb.21:
	s_and_not1_saveexec_b32 s0, s0
; %bb.22:
	v_and_b32_e32 v1, 0xffff, v5
	v_or_b32_e32 v2, 0x10000, v5
	s_delay_alu instid0(VALU_DEP_2) | instskip(NEXT) | instid1(VALU_DEP_2)
	v_cmp_eq_u32_e32 vcc_lo, 0, v1
	v_cndmask_b32_e32 v14, v2, v5, vcc_lo
; %bb.23:
	s_or_b32 exec_lo, exec_lo, s0
	v_and_b32_e32 v1, 0x7f800000, v3
	s_mov_b32 s0, exec_lo
                                        ; implicit-def: $vgpr15
	s_delay_alu instid0(VALU_DEP_1)
	v_cmpx_ne_u32_e32 0x7f800000, v1
	s_xor_b32 s0, exec_lo, s0
; %bb.24:
	v_bfe_u32 v1, v3, 16, 1
	s_delay_alu instid0(VALU_DEP_1)
	v_add3_u32 v15, v3, v1, 0x7fff
; %bb.25:
	s_and_not1_saveexec_b32 s0, s0
; %bb.26:
	v_and_b32_e32 v1, 0xffff, v3
	v_or_b32_e32 v2, 0x10000, v3
	s_delay_alu instid0(VALU_DEP_2) | instskip(NEXT) | instid1(VALU_DEP_2)
	v_cmp_eq_u32_e32 vcc_lo, 0, v1
	v_cndmask_b32_e32 v15, v2, v3, vcc_lo
; %bb.27:
	s_or_b32 exec_lo, exec_lo, s0
	v_and_b32_e32 v1, 0x7f800000, v0
	s_mov_b32 s0, exec_lo
                                        ; implicit-def: $vgpr16
	s_delay_alu instid0(VALU_DEP_1)
	v_cmpx_ne_u32_e32 0x7f800000, v1
	s_xor_b32 s0, exec_lo, s0
; %bb.28:
	v_bfe_u32 v1, v0, 16, 1
	s_delay_alu instid0(VALU_DEP_1)
	v_add3_u32 v16, v0, v1, 0x7fff
; %bb.29:
	s_and_not1_saveexec_b32 s0, s0
; %bb.30:
	v_and_b32_e32 v1, 0xffff, v0
	v_or_b32_e32 v2, 0x10000, v0
	s_delay_alu instid0(VALU_DEP_2) | instskip(NEXT) | instid1(VALU_DEP_2)
	v_cmp_eq_u32_e32 vcc_lo, 0, v1
	v_cndmask_b32_e32 v16, v2, v0, vcc_lo
; %bb.31:
	s_or_b32 exec_lo, exec_lo, s0
	v_and_b32_e32 v0, 0x7f800000, v7
	s_mov_b32 s0, exec_lo
                                        ; implicit-def: $vgpr17
	s_delay_alu instid0(VALU_DEP_1)
	v_cmpx_ne_u32_e32 0x7f800000, v0
	s_xor_b32 s0, exec_lo, s0
; %bb.32:
	v_bfe_u32 v0, v7, 16, 1
	s_delay_alu instid0(VALU_DEP_1)
	v_add3_u32 v17, v7, v0, 0x7fff
                                        ; implicit-def: $vgpr0_vgpr1_vgpr2_vgpr3_vgpr4_vgpr5_vgpr6_vgpr7
; %bb.33:
	s_and_not1_saveexec_b32 s0, s0
; %bb.34:
	v_and_b32_e32 v0, 0xffff, v7
	v_or_b32_e32 v1, 0x10000, v7
	s_delay_alu instid0(VALU_DEP_2) | instskip(NEXT) | instid1(VALU_DEP_2)
	v_cmp_eq_u32_e32 vcc_lo, 0, v0
	v_cndmask_b32_e32 v17, v1, v7, vcc_lo
; %bb.35:
	s_or_b32 exec_lo, exec_lo, s0
	s_delay_alu instid0(VALU_DEP_1)
	v_perm_b32 v3, v17, v16, 0x7060302
	v_perm_b32 v2, v15, v14, 0x7060302
	;; [unrolled: 1-line block ×4, first 2 shown]
	global_store_b128 v[8:9], v[0:3], off
.LBB101_36:
	s_nop 0
	s_sendmsg sendmsg(MSG_DEALLOC_VGPRS)
	s_endpgm
	.section	.rodata,"a",@progbits
	.p2align	6, 0x0
	.amdhsa_kernel _ZN12tensorrt_llm7kernels21fusedQKNormRopeKernelIN3c108BFloat16ENS2_4HalfELi256ELb0EEEvPviiifPKvS7_S7_PKlii
		.amdhsa_group_segment_fixed_size 0
		.amdhsa_private_segment_fixed_size 0
		.amdhsa_kernarg_size 320
		.amdhsa_user_sgpr_count 15
		.amdhsa_user_sgpr_dispatch_ptr 0
		.amdhsa_user_sgpr_queue_ptr 0
		.amdhsa_user_sgpr_kernarg_segment_ptr 1
		.amdhsa_user_sgpr_dispatch_id 0
		.amdhsa_user_sgpr_private_segment_size 0
		.amdhsa_wavefront_size32 1
		.amdhsa_uses_dynamic_stack 0
		.amdhsa_enable_private_segment 0
		.amdhsa_system_sgpr_workgroup_id_x 1
		.amdhsa_system_sgpr_workgroup_id_y 0
		.amdhsa_system_sgpr_workgroup_id_z 0
		.amdhsa_system_sgpr_workgroup_info 0
		.amdhsa_system_vgpr_workitem_id 0
		.amdhsa_next_free_vgpr 44
		.amdhsa_next_free_sgpr 16
		.amdhsa_reserve_vcc 1
		.amdhsa_float_round_mode_32 0
		.amdhsa_float_round_mode_16_64 0
		.amdhsa_float_denorm_mode_32 3
		.amdhsa_float_denorm_mode_16_64 3
		.amdhsa_dx10_clamp 1
		.amdhsa_ieee_mode 1
		.amdhsa_fp16_overflow 0
		.amdhsa_workgroup_processor_mode 1
		.amdhsa_memory_ordered 1
		.amdhsa_forward_progress 0
		.amdhsa_shared_vgpr_count 0
		.amdhsa_exception_fp_ieee_invalid_op 0
		.amdhsa_exception_fp_denorm_src 0
		.amdhsa_exception_fp_ieee_div_zero 0
		.amdhsa_exception_fp_ieee_overflow 0
		.amdhsa_exception_fp_ieee_underflow 0
		.amdhsa_exception_fp_ieee_inexact 0
		.amdhsa_exception_int_div_zero 0
	.end_amdhsa_kernel
	.section	.text._ZN12tensorrt_llm7kernels21fusedQKNormRopeKernelIN3c108BFloat16ENS2_4HalfELi256ELb0EEEvPviiifPKvS7_S7_PKlii,"axG",@progbits,_ZN12tensorrt_llm7kernels21fusedQKNormRopeKernelIN3c108BFloat16ENS2_4HalfELi256ELb0EEEvPviiifPKvS7_S7_PKlii,comdat
.Lfunc_end101:
	.size	_ZN12tensorrt_llm7kernels21fusedQKNormRopeKernelIN3c108BFloat16ENS2_4HalfELi256ELb0EEEvPviiifPKvS7_S7_PKlii, .Lfunc_end101-_ZN12tensorrt_llm7kernels21fusedQKNormRopeKernelIN3c108BFloat16ENS2_4HalfELi256ELb0EEEvPviiifPKvS7_S7_PKlii
                                        ; -- End function
	.section	.AMDGPU.csdata,"",@progbits
; Kernel info:
; codeLenInByte = 3048
; NumSgprs: 18
; NumVgprs: 44
; ScratchSize: 0
; MemoryBound: 0
; FloatMode: 240
; IeeeMode: 1
; LDSByteSize: 0 bytes/workgroup (compile time only)
; SGPRBlocks: 2
; VGPRBlocks: 5
; NumSGPRsForWavesPerEU: 18
; NumVGPRsForWavesPerEU: 44
; Occupancy: 16
; WaveLimiterHint : 1
; COMPUTE_PGM_RSRC2:SCRATCH_EN: 0
; COMPUTE_PGM_RSRC2:USER_SGPR: 15
; COMPUTE_PGM_RSRC2:TRAP_HANDLER: 0
; COMPUTE_PGM_RSRC2:TGID_X_EN: 1
; COMPUTE_PGM_RSRC2:TGID_Y_EN: 0
; COMPUTE_PGM_RSRC2:TGID_Z_EN: 0
; COMPUTE_PGM_RSRC2:TIDIG_COMP_CNT: 0
	.section	.text._ZN12tensorrt_llm7kernels32fusedQKNormRopeKernelNTokenHeadsIN3c108BFloat16ENS2_4HalfELi64ELb1ELi2EEEvPviiifPKvS7_S7_PKlii,"axG",@progbits,_ZN12tensorrt_llm7kernels32fusedQKNormRopeKernelNTokenHeadsIN3c108BFloat16ENS2_4HalfELi64ELb1ELi2EEEvPviiifPKvS7_S7_PKlii,comdat
	.protected	_ZN12tensorrt_llm7kernels32fusedQKNormRopeKernelNTokenHeadsIN3c108BFloat16ENS2_4HalfELi64ELb1ELi2EEEvPviiifPKvS7_S7_PKlii ; -- Begin function _ZN12tensorrt_llm7kernels32fusedQKNormRopeKernelNTokenHeadsIN3c108BFloat16ENS2_4HalfELi64ELb1ELi2EEEvPviiifPKvS7_S7_PKlii
	.globl	_ZN12tensorrt_llm7kernels32fusedQKNormRopeKernelNTokenHeadsIN3c108BFloat16ENS2_4HalfELi64ELb1ELi2EEEvPviiifPKvS7_S7_PKlii
	.p2align	8
	.type	_ZN12tensorrt_llm7kernels32fusedQKNormRopeKernelNTokenHeadsIN3c108BFloat16ENS2_4HalfELi64ELb1ELi2EEEvPviiifPKvS7_S7_PKlii,@function
_ZN12tensorrt_llm7kernels32fusedQKNormRopeKernelNTokenHeadsIN3c108BFloat16ENS2_4HalfELi64ELb1ELi2EEEvPviiifPKvS7_S7_PKlii: ; @_ZN12tensorrt_llm7kernels32fusedQKNormRopeKernelNTokenHeadsIN3c108BFloat16ENS2_4HalfELi64ELb1ELi2EEEvPviiifPKvS7_S7_PKlii
; %bb.0:
	s_clause 0x1
	s_load_b128 s[16:19], s[0:1], 0x8
	s_load_b64 s[2:3], s[0:1], 0x38
	v_lshrrev_b32_e32 v2, 5, v0
	s_waitcnt lgkmcnt(0)
	s_add_i32 s4, s17, s16
	s_delay_alu instid0(SALU_CYCLE_1) | instskip(NEXT) | instid1(SALU_CYCLE_1)
	s_add_i32 s5, s4, 1
	s_lshr_b32 s6, s5, 31
	s_delay_alu instid0(SALU_CYCLE_1) | instskip(NEXT) | instid1(SALU_CYCLE_1)
	s_add_i32 s5, s5, s6
	s_ashr_i32 s14, s5, 1
	s_load_b32 s5, s[0:1], 0x4c
	s_abs_i32 s6, s14
	s_delay_alu instid0(SALU_CYCLE_1) | instskip(SKIP_1) | instid1(VALU_DEP_1)
	v_cvt_f32_u32_e32 v1, s6
	s_sub_i32 s7, 0, s6
	v_rcp_iflag_f32_e32 v1, v1
	s_waitcnt_depctr 0xfff
	v_mul_f32_e32 v1, 0x4f7ffffe, v1
	s_waitcnt lgkmcnt(0)
	s_bfe_u32 s5, s5, 0xb0005
	s_delay_alu instid0(SALU_CYCLE_1) | instskip(NEXT) | instid1(VALU_DEP_2)
	v_mad_u64_u32 v[3:4], null, s15, s5, v[2:3]
	v_cvt_u32_f32_e32 v1, v1
	s_delay_alu instid0(VALU_DEP_1) | instskip(NEXT) | instid1(VALU_DEP_1)
	v_mul_lo_u32 v5, s7, v1
	v_mul_hi_u32 v4, v1, v5
	s_delay_alu instid0(VALU_DEP_4) | instskip(NEXT) | instid1(VALU_DEP_1)
	v_sub_nc_u32_e32 v5, 0, v3
	v_max_i32_e32 v5, v3, v5
	s_delay_alu instid0(VALU_DEP_3) | instskip(NEXT) | instid1(VALU_DEP_1)
	v_add_nc_u32_e32 v1, v1, v4
	v_mul_hi_u32 v1, v5, v1
	s_delay_alu instid0(VALU_DEP_1) | instskip(NEXT) | instid1(VALU_DEP_1)
	v_mul_lo_u32 v4, v1, s6
	v_sub_nc_u32_e32 v4, v5, v4
	v_add_nc_u32_e32 v5, 1, v1
	s_delay_alu instid0(VALU_DEP_2) | instskip(SKIP_1) | instid1(VALU_DEP_2)
	v_subrev_nc_u32_e32 v6, s6, v4
	v_cmp_le_u32_e32 vcc_lo, s6, v4
	v_dual_cndmask_b32 v4, v4, v6 :: v_dual_cndmask_b32 v1, v1, v5
	v_xor_b32_e32 v5, s14, v3
	s_delay_alu instid0(VALU_DEP_2) | instskip(NEXT) | instid1(VALU_DEP_3)
	v_cmp_le_u32_e32 vcc_lo, s6, v4
	v_add_nc_u32_e32 v6, 1, v1
	s_delay_alu instid0(VALU_DEP_3) | instskip(NEXT) | instid1(VALU_DEP_2)
	v_ashrrev_i32_e32 v5, 31, v5
	v_cndmask_b32_e32 v1, v1, v6, vcc_lo
	s_delay_alu instid0(VALU_DEP_1) | instskip(NEXT) | instid1(VALU_DEP_1)
	v_xor_b32_e32 v1, v1, v5
	v_sub_nc_u32_e32 v1, v1, v5
	s_delay_alu instid0(VALU_DEP_1)
	v_cmp_gt_i32_e32 vcc_lo, s2, v1
	s_and_saveexec_b32 s2, vcc_lo
	s_cbranch_execz .LBB102_20
; %bb.1:
	v_mul_lo_u32 v4, v1, s14
	s_load_b64 s[12:13], s[0:1], 0x0
	v_and_b32_e32 v7, 31, v0
	v_lshlrev_b32_e32 v8, 8, v2
	v_lshlrev_b32_e32 v0, 7, v3
	s_lshl_b32 s20, s3, 1
	s_delay_alu instid0(VALU_DEP_3) | instskip(SKIP_2) | instid1(VALU_DEP_1)
	v_lshlrev_b32_e32 v9, 2, v7
	v_sub_nc_u32_e32 v4, v3, v4
	s_mul_i32 s15, s20, s5
	v_lshlrev_b32_e32 v5, 1, v4
	s_delay_alu instid0(VALU_DEP_1) | instskip(SKIP_1) | instid1(VALU_DEP_2)
	v_add_nc_u32_e32 v4, 2, v5
	v_sub_nc_u32_e32 v6, s4, v5
	v_cmp_lt_i32_e32 vcc_lo, s4, v4
	s_delay_alu instid0(VALU_DEP_2) | instskip(NEXT) | instid1(VALU_DEP_1)
	v_cndmask_b32_e32 v6, 2, v6, vcc_lo
	v_cmp_lt_i32_e32 vcc_lo, 0, v6
	s_and_saveexec_b32 s4, vcc_lo
	s_cbranch_execz .LBB102_4
; %bb.2:
	s_add_i32 s2, s18, s17
	s_lshl_b32 s5, s14, 1
	s_add_i32 s2, s2, s16
	s_mov_b32 s6, 0
	s_sub_i32 s2, s2, s5
	s_mov_b32 s5, 0
	v_mul_lo_u32 v3, s2, v1
	s_add_i32 s2, s15, 0
	s_delay_alu instid0(SALU_CYCLE_1) | instskip(NEXT) | instid1(VALU_DEP_2)
	v_add3_u32 v10, s2, v8, v9
	v_lshl_add_u32 v3, v3, 6, v0
	s_delay_alu instid0(VALU_DEP_1)
	v_lshl_or_b32 v3, v7, 1, v3
	.p2align	6
.LBB102_3:                              ; =>This Inner Loop Header: Depth=1
	s_delay_alu instid0(VALU_DEP_1) | instskip(SKIP_1) | instid1(VALU_DEP_1)
	v_ashrrev_i32_e32 v4, 31, v3
	s_add_i32 s6, s6, 1
	v_lshlrev_b64 v[11:12], 1, v[3:4]
	v_add_nc_u32_e32 v3, 64, v3
	s_waitcnt lgkmcnt(0)
	s_delay_alu instid0(VALU_DEP_2) | instskip(NEXT) | instid1(VALU_DEP_1)
	v_add_co_u32 v11, s2, s12, v11
	v_add_co_ci_u32_e64 v12, s2, s13, v12, s2
	v_cmp_ge_i32_e64 s2, s6, v6
	global_load_b32 v4, v[11:12], off
	s_or_b32 s5, s2, s5
	s_waitcnt vmcnt(0)
	ds_store_b32 v10, v4
	v_add_nc_u32_e32 v10, 0x80, v10
	s_and_not1_b32 exec_lo, exec_lo, s5
	s_cbranch_execnz .LBB102_3
.LBB102_4:
	s_or_b32 exec_lo, exec_lo, s4
	s_load_b256 s[4:11], s[0:1], 0x18
	v_mul_lo_u32 v2, v2, s3
	s_add_i32 s0, s20, 15
	s_mov_b32 s20, exec_lo
	s_ashr_i32 s1, s0, 31
	s_delay_alu instid0(SALU_CYCLE_1) | instskip(NEXT) | instid1(SALU_CYCLE_1)
	s_lshr_b32 s1, s1, 28
	s_add_i32 s0, s0, s1
	s_delay_alu instid0(VALU_DEP_1) | instskip(SKIP_1) | instid1(SALU_CYCLE_1)
	v_lshlrev_b32_e32 v10, 1, v2
	s_ashr_i32 s2, s0, 4
	v_cmpx_gt_i32_e64 s2, v7
	s_cbranch_execz .LBB102_7
; %bb.5:
	v_ashrrev_i32_e32 v2, 31, v1
	s_delay_alu instid0(VALU_DEP_1) | instskip(SKIP_1) | instid1(VALU_DEP_1)
	v_lshlrev_b64 v[2:3], 3, v[1:2]
	s_waitcnt lgkmcnt(0)
	v_add_co_u32 v2, s0, s10, v2
	s_delay_alu instid0(VALU_DEP_1)
	v_add_co_ci_u32_e64 v3, s0, s11, v3, s0
	s_ashr_i32 s0, s3, 31
	global_load_b64 v[2:3], v[2:3], off
	s_waitcnt vmcnt(0)
	v_mul_lo_u32 v11, v3, s3
	v_mul_lo_u32 v12, v2, s0
	v_mad_u64_u32 v[3:4], null, v2, s3, 0
	s_delay_alu instid0(VALU_DEP_1) | instskip(SKIP_1) | instid1(VALU_DEP_2)
	v_add3_u32 v4, v4, v12, v11
	v_mov_b32_e32 v11, v7
	v_lshlrev_b64 v[2:3], 1, v[3:4]
	v_lshlrev_b32_e32 v4, 4, v7
	s_delay_alu instid0(VALU_DEP_1) | instskip(NEXT) | instid1(VALU_DEP_1)
	v_add_co_u32 v2, s0, v2, v4
	v_add_co_ci_u32_e64 v3, s0, 0, v3, s0
	v_add3_u32 v4, v10, v4, 0
	s_delay_alu instid0(VALU_DEP_3) | instskip(NEXT) | instid1(VALU_DEP_1)
	v_add_co_u32 v2, s0, s8, v2
	v_add_co_ci_u32_e64 v3, s0, s9, v3, s0
	s_mov_b32 s8, 0
	.p2align	6
.LBB102_6:                              ; =>This Inner Loop Header: Depth=1
	global_load_b128 v[12:15], v[2:3], off
	v_add_nc_u32_e32 v11, 32, v11
	v_add_co_u32 v2, s0, 0x200, v2
	s_delay_alu instid0(VALU_DEP_1) | instskip(NEXT) | instid1(VALU_DEP_3)
	v_add_co_ci_u32_e64 v3, s0, 0, v3, s0
	v_cmp_le_i32_e64 s1, s2, v11
	s_delay_alu instid0(VALU_DEP_1)
	s_or_b32 s8, s1, s8
	s_waitcnt vmcnt(0)
	ds_store_b128 v4, v[12:15]
	v_add_nc_u32_e32 v4, 0x200, v4
	s_and_not1_b32 exec_lo, exec_lo, s8
	s_cbranch_execnz .LBB102_6
.LBB102_7:
	s_or_b32 exec_lo, exec_lo, s20
	s_delay_alu instid0(SALU_CYCLE_1)
	s_and_b32 exec_lo, exec_lo, vcc_lo
	s_cbranch_execz .LBB102_20
; %bb.8:
	s_waitcnt lgkmcnt(0)
	s_clause 0x1
	global_load_b32 v3, v9, s[4:5]
	global_load_b32 v4, v9, s[6:7]
	v_mbcnt_lo_u32_b32 v11, -1, 0
	s_lshr_b32 s0, s3, 31
	s_add_i32 s1, s18, s17
	s_lshl_b32 s2, s14, 1
	s_add_i32 s0, s3, s0
	v_xor_b32_e32 v13, 16, v11
	s_add_i32 s1, s1, s16
	s_ashr_i32 s3, s0, 1
	s_and_b32 s4, s0, -2
	s_sub_i32 s0, s1, s2
	v_lshlrev_b32_e32 v2, 1, v7
	v_xor_b32_e32 v14, 8, v11
	v_mul_lo_u32 v1, s0, v1
	v_cmp_gt_i32_e64 s0, 32, v13
	v_add_nc_u32_e32 v12, s15, v8
	v_xor_b32_e32 v15, 4, v11
	v_add3_u32 v8, 0, v10, v2
	v_xor_b32_e32 v16, 2, v11
	v_cndmask_b32_e64 v10, v11, v13, s0
	v_cmp_gt_i32_e64 s0, 32, v14
	v_add3_u32 v9, v12, v9, 0
	v_xor_b32_e32 v17, 1, v11
	v_lshl_add_u32 v0, v1, 6, v0
	v_cmp_le_i32_e32 vcc_lo, s3, v7
	v_cndmask_b32_e64 v12, v11, v14, s0
	v_cmp_gt_i32_e64 s0, 32, v15
	v_add_nc_u32_e32 v7, s4, v8
	v_lshlrev_b32_e32 v10, 2, v10
	v_or_b32_e32 v0, v0, v2
	s_mov_b32 s2, 0
	v_cndmask_b32_e64 v13, v11, v15, s0
	v_cmp_gt_i32_e64 s0, 32, v16
	s_mov_b32 s3, 0
	s_delay_alu instid0(VALU_DEP_1) | instskip(SKIP_1) | instid1(VALU_DEP_1)
	v_cndmask_b32_e64 v14, v11, v16, s0
	v_cmp_gt_i32_e64 s0, 32, v17
	v_cndmask_b32_e64 v15, v11, v17, s0
	v_lshlrev_b32_e32 v11, 2, v12
	v_lshlrev_b32_e32 v12, 2, v13
	;; [unrolled: 1-line block ×3, first 2 shown]
	s_delay_alu instid0(VALU_DEP_4)
	v_lshlrev_b32_e32 v14, 2, v15
	s_waitcnt vmcnt(1)
	v_lshrrev_b32_e32 v15, 16, v3
	s_waitcnt vmcnt(0)
	v_lshrrev_b32_e32 v16, 16, v4
	s_branch .LBB102_10
.LBB102_9:                              ;   in Loop: Header=BB102_10 Depth=1
	s_or_b32 exec_lo, exec_lo, s1
	v_ashrrev_i32_e32 v1, 31, v0
	v_lshrrev_b32_e32 v17, 16, v17
	s_add_i32 s3, s3, 1
	v_add_nc_u32_e32 v9, 0x80, v9
	v_cmp_ge_i32_e64 s0, s3, v6
	v_lshlrev_b64 v[1:2], 1, v[0:1]
	v_and_or_b32 v17, 0xffff0000, v18, v17
	v_add_nc_u32_e32 v0, 64, v0
	s_delay_alu instid0(VALU_DEP_4) | instskip(NEXT) | instid1(VALU_DEP_3)
	s_or_b32 s2, s0, s2
	v_add_co_u32 v1, s1, s12, v1
	s_delay_alu instid0(VALU_DEP_1)
	v_add_co_ci_u32_e64 v2, s1, s13, v2, s1
	global_store_b32 v[1:2], v17, off
	s_and_not1_b32 exec_lo, exec_lo, s2
	s_cbranch_execz .LBB102_20
.LBB102_10:                             ; =>This Inner Loop Header: Depth=1
	ds_load_b32 v1, v9
	s_waitcnt lgkmcnt(0)
	v_lshlrev_b32_e32 v17, 16, v1
	v_and_b32_e32 v1, 0xffff0000, v1
	s_delay_alu instid0(VALU_DEP_2) | instskip(NEXT) | instid1(VALU_DEP_1)
	v_mul_f32_e32 v2, v17, v17
	v_fmac_f32_e32 v2, v1, v1
	ds_bpermute_b32 v18, v10, v2
	s_waitcnt lgkmcnt(0)
	v_add_f32_e32 v2, v2, v18
	ds_bpermute_b32 v18, v11, v2
	s_waitcnt lgkmcnt(0)
	v_add_f32_e32 v2, v2, v18
	;; [unrolled: 3-line block ×5, first 2 shown]
	s_delay_alu instid0(VALU_DEP_1) | instskip(NEXT) | instid1(VALU_DEP_1)
	v_fma_f32 v2, 0x3c800000, v2, s19
	v_mul_f32_e32 v18, 0x4b800000, v2
	v_cmp_gt_f32_e64 s0, 0x800000, v2
	s_delay_alu instid0(VALU_DEP_1) | instskip(NEXT) | instid1(VALU_DEP_1)
	v_cndmask_b32_e64 v2, v2, v18, s0
	v_rsq_f32_e32 v2, v2
	s_waitcnt_depctr 0xfff
	v_dual_mul_f32 v19, 0x45800000, v2 :: v_dual_add_nc_u32 v18, s3, v5
	s_delay_alu instid0(VALU_DEP_1) | instskip(NEXT) | instid1(VALU_DEP_2)
	v_cmp_gt_i32_e64 s1, s16, v18
	v_cndmask_b32_e64 v2, v2, v19, s0
	s_delay_alu instid0(VALU_DEP_2) | instskip(SKIP_1) | instid1(VALU_DEP_2)
	v_cndmask_b32_e64 v18, v16, v15, s1
	v_cndmask_b32_e64 v20, v4, v3, s1
	v_lshlrev_b32_e32 v18, 16, v18
	s_delay_alu instid0(VALU_DEP_1) | instskip(NEXT) | instid1(VALU_DEP_1)
	v_dual_mul_f32 v18, v2, v18 :: v_dual_lshlrev_b32 v19, 16, v20
	v_mul_f32_e32 v19, v2, v19
	s_delay_alu instid0(VALU_DEP_2) | instskip(NEXT) | instid1(VALU_DEP_2)
	v_mul_f32_e32 v2, v18, v1
	v_mul_f32_e32 v1, v19, v17
	s_and_saveexec_b32 s0, vcc_lo
	s_delay_alu instid0(SALU_CYCLE_1) | instskip(NEXT) | instid1(SALU_CYCLE_1)
	s_xor_b32 s0, exec_lo, s0
	s_and_not1_saveexec_b32 s0, s0
	s_cbranch_execz .LBB102_12
; %bb.11:                               ;   in Loop: Header=BB102_10 Depth=1
	ds_load_u16 v18, v7
	ds_load_u16 v17, v8
	s_waitcnt lgkmcnt(1)
	v_cvt_f32_f16_e32 v19, v18
	s_waitcnt lgkmcnt(0)
	v_cvt_f32_f16_e32 v20, v17
	s_delay_alu instid0(VALU_DEP_2) | instskip(NEXT) | instid1(VALU_DEP_2)
	v_mul_f32_e32 v19, v2, v19
	v_mul_f32_e32 v2, v2, v20
	s_delay_alu instid0(VALU_DEP_2) | instskip(NEXT) | instid1(VALU_DEP_2)
	v_fma_mix_f32 v17, v1, v17, -v19 op_sel_hi:[0,1,0]
	v_fma_mix_f32 v18, v1, v18, v2 op_sel_hi:[0,1,0]
	s_delay_alu instid0(VALU_DEP_1)
	v_dual_mov_b32 v1, v17 :: v_dual_mov_b32 v2, v18
.LBB102_12:                             ;   in Loop: Header=BB102_10 Depth=1
	s_or_b32 exec_lo, exec_lo, s0
	s_delay_alu instid0(VALU_DEP_1) | instskip(NEXT) | instid1(VALU_DEP_1)
	v_and_b32_e32 v17, 0x7f800000, v1
	v_cmp_ne_u32_e64 s0, 0x7f800000, v17
                                        ; implicit-def: $vgpr17
	s_delay_alu instid0(VALU_DEP_1) | instskip(NEXT) | instid1(SALU_CYCLE_1)
	s_and_saveexec_b32 s1, s0
	s_xor_b32 s0, exec_lo, s1
; %bb.13:                               ;   in Loop: Header=BB102_10 Depth=1
	v_bfe_u32 v17, v1, 16, 1
	s_delay_alu instid0(VALU_DEP_1)
	v_add3_u32 v17, v1, v17, 0x7fff
; %bb.14:                               ;   in Loop: Header=BB102_10 Depth=1
	s_and_not1_saveexec_b32 s1, s0
; %bb.15:                               ;   in Loop: Header=BB102_10 Depth=1
	v_and_b32_e32 v17, 0xffff, v1
	v_or_b32_e32 v18, 0x10000, v1
	s_delay_alu instid0(VALU_DEP_2) | instskip(NEXT) | instid1(VALU_DEP_1)
	v_cmp_eq_u32_e64 s0, 0, v17
	v_cndmask_b32_e64 v17, v18, v1, s0
; %bb.16:                               ;   in Loop: Header=BB102_10 Depth=1
	s_or_b32 exec_lo, exec_lo, s1
	v_and_b32_e32 v1, 0x7f800000, v2
                                        ; implicit-def: $vgpr18
	s_delay_alu instid0(VALU_DEP_1) | instskip(NEXT) | instid1(VALU_DEP_1)
	v_cmp_ne_u32_e64 s0, 0x7f800000, v1
	s_and_saveexec_b32 s1, s0
	s_delay_alu instid0(SALU_CYCLE_1)
	s_xor_b32 s0, exec_lo, s1
; %bb.17:                               ;   in Loop: Header=BB102_10 Depth=1
	v_bfe_u32 v1, v2, 16, 1
	s_delay_alu instid0(VALU_DEP_1)
	v_add3_u32 v18, v2, v1, 0x7fff
                                        ; implicit-def: $vgpr1_vgpr2
; %bb.18:                               ;   in Loop: Header=BB102_10 Depth=1
	s_and_not1_saveexec_b32 s1, s0
	s_cbranch_execz .LBB102_9
; %bb.19:                               ;   in Loop: Header=BB102_10 Depth=1
	v_and_b32_e32 v1, 0xffff, v2
	v_or_b32_e32 v18, 0x10000, v2
	s_delay_alu instid0(VALU_DEP_2) | instskip(NEXT) | instid1(VALU_DEP_1)
	v_cmp_eq_u32_e64 s0, 0, v1
	v_cndmask_b32_e64 v18, v18, v2, s0
	s_branch .LBB102_9
.LBB102_20:
	s_nop 0
	s_sendmsg sendmsg(MSG_DEALLOC_VGPRS)
	s_endpgm
	.section	.rodata,"a",@progbits
	.p2align	6, 0x0
	.amdhsa_kernel _ZN12tensorrt_llm7kernels32fusedQKNormRopeKernelNTokenHeadsIN3c108BFloat16ENS2_4HalfELi64ELb1ELi2EEEvPviiifPKvS7_S7_PKlii
		.amdhsa_group_segment_fixed_size 0
		.amdhsa_private_segment_fixed_size 0
		.amdhsa_kernarg_size 320
		.amdhsa_user_sgpr_count 15
		.amdhsa_user_sgpr_dispatch_ptr 0
		.amdhsa_user_sgpr_queue_ptr 0
		.amdhsa_user_sgpr_kernarg_segment_ptr 1
		.amdhsa_user_sgpr_dispatch_id 0
		.amdhsa_user_sgpr_private_segment_size 0
		.amdhsa_wavefront_size32 1
		.amdhsa_uses_dynamic_stack 0
		.amdhsa_enable_private_segment 0
		.amdhsa_system_sgpr_workgroup_id_x 1
		.amdhsa_system_sgpr_workgroup_id_y 0
		.amdhsa_system_sgpr_workgroup_id_z 0
		.amdhsa_system_sgpr_workgroup_info 0
		.amdhsa_system_vgpr_workitem_id 0
		.amdhsa_next_free_vgpr 21
		.amdhsa_next_free_sgpr 21
		.amdhsa_reserve_vcc 1
		.amdhsa_float_round_mode_32 0
		.amdhsa_float_round_mode_16_64 0
		.amdhsa_float_denorm_mode_32 3
		.amdhsa_float_denorm_mode_16_64 3
		.amdhsa_dx10_clamp 1
		.amdhsa_ieee_mode 1
		.amdhsa_fp16_overflow 0
		.amdhsa_workgroup_processor_mode 1
		.amdhsa_memory_ordered 1
		.amdhsa_forward_progress 0
		.amdhsa_shared_vgpr_count 0
		.amdhsa_exception_fp_ieee_invalid_op 0
		.amdhsa_exception_fp_denorm_src 0
		.amdhsa_exception_fp_ieee_div_zero 0
		.amdhsa_exception_fp_ieee_overflow 0
		.amdhsa_exception_fp_ieee_underflow 0
		.amdhsa_exception_fp_ieee_inexact 0
		.amdhsa_exception_int_div_zero 0
	.end_amdhsa_kernel
	.section	.text._ZN12tensorrt_llm7kernels32fusedQKNormRopeKernelNTokenHeadsIN3c108BFloat16ENS2_4HalfELi64ELb1ELi2EEEvPviiifPKvS7_S7_PKlii,"axG",@progbits,_ZN12tensorrt_llm7kernels32fusedQKNormRopeKernelNTokenHeadsIN3c108BFloat16ENS2_4HalfELi64ELb1ELi2EEEvPviiifPKvS7_S7_PKlii,comdat
.Lfunc_end102:
	.size	_ZN12tensorrt_llm7kernels32fusedQKNormRopeKernelNTokenHeadsIN3c108BFloat16ENS2_4HalfELi64ELb1ELi2EEEvPviiifPKvS7_S7_PKlii, .Lfunc_end102-_ZN12tensorrt_llm7kernels32fusedQKNormRopeKernelNTokenHeadsIN3c108BFloat16ENS2_4HalfELi64ELb1ELi2EEEvPviiifPKvS7_S7_PKlii
                                        ; -- End function
	.section	.AMDGPU.csdata,"",@progbits
; Kernel info:
; codeLenInByte = 1796
; NumSgprs: 23
; NumVgprs: 21
; ScratchSize: 0
; MemoryBound: 0
; FloatMode: 240
; IeeeMode: 1
; LDSByteSize: 0 bytes/workgroup (compile time only)
; SGPRBlocks: 2
; VGPRBlocks: 2
; NumSGPRsForWavesPerEU: 23
; NumVGPRsForWavesPerEU: 21
; Occupancy: 16
; WaveLimiterHint : 0
; COMPUTE_PGM_RSRC2:SCRATCH_EN: 0
; COMPUTE_PGM_RSRC2:USER_SGPR: 15
; COMPUTE_PGM_RSRC2:TRAP_HANDLER: 0
; COMPUTE_PGM_RSRC2:TGID_X_EN: 1
; COMPUTE_PGM_RSRC2:TGID_Y_EN: 0
; COMPUTE_PGM_RSRC2:TGID_Z_EN: 0
; COMPUTE_PGM_RSRC2:TIDIG_COMP_CNT: 0
	.section	.text._ZN12tensorrt_llm7kernels32fusedQKNormRopeKernelNTokenHeadsIN3c108BFloat16ENS2_4HalfELi64ELb0ELi2EEEvPviiifPKvS7_S7_PKlii,"axG",@progbits,_ZN12tensorrt_llm7kernels32fusedQKNormRopeKernelNTokenHeadsIN3c108BFloat16ENS2_4HalfELi64ELb0ELi2EEEvPviiifPKvS7_S7_PKlii,comdat
	.protected	_ZN12tensorrt_llm7kernels32fusedQKNormRopeKernelNTokenHeadsIN3c108BFloat16ENS2_4HalfELi64ELb0ELi2EEEvPviiifPKvS7_S7_PKlii ; -- Begin function _ZN12tensorrt_llm7kernels32fusedQKNormRopeKernelNTokenHeadsIN3c108BFloat16ENS2_4HalfELi64ELb0ELi2EEEvPviiifPKvS7_S7_PKlii
	.globl	_ZN12tensorrt_llm7kernels32fusedQKNormRopeKernelNTokenHeadsIN3c108BFloat16ENS2_4HalfELi64ELb0ELi2EEEvPviiifPKvS7_S7_PKlii
	.p2align	8
	.type	_ZN12tensorrt_llm7kernels32fusedQKNormRopeKernelNTokenHeadsIN3c108BFloat16ENS2_4HalfELi64ELb0ELi2EEEvPviiifPKvS7_S7_PKlii,@function
_ZN12tensorrt_llm7kernels32fusedQKNormRopeKernelNTokenHeadsIN3c108BFloat16ENS2_4HalfELi64ELb0ELi2EEEvPviiifPKvS7_S7_PKlii: ; @_ZN12tensorrt_llm7kernels32fusedQKNormRopeKernelNTokenHeadsIN3c108BFloat16ENS2_4HalfELi64ELb0ELi2EEEvPviiifPKvS7_S7_PKlii
; %bb.0:
	s_clause 0x1
	s_load_b128 s[16:19], s[0:1], 0x8
	s_load_b64 s[2:3], s[0:1], 0x38
	v_lshrrev_b32_e32 v2, 5, v0
	s_waitcnt lgkmcnt(0)
	s_add_i32 s4, s17, s16
	s_delay_alu instid0(SALU_CYCLE_1) | instskip(NEXT) | instid1(SALU_CYCLE_1)
	s_add_i32 s5, s4, 1
	s_lshr_b32 s6, s5, 31
	s_delay_alu instid0(SALU_CYCLE_1) | instskip(NEXT) | instid1(SALU_CYCLE_1)
	s_add_i32 s5, s5, s6
	s_ashr_i32 s14, s5, 1
	s_load_b32 s5, s[0:1], 0x4c
	s_abs_i32 s6, s14
	s_delay_alu instid0(SALU_CYCLE_1) | instskip(SKIP_1) | instid1(VALU_DEP_1)
	v_cvt_f32_u32_e32 v1, s6
	s_sub_i32 s7, 0, s6
	v_rcp_iflag_f32_e32 v1, v1
	s_waitcnt_depctr 0xfff
	v_mul_f32_e32 v1, 0x4f7ffffe, v1
	s_waitcnt lgkmcnt(0)
	s_bfe_u32 s5, s5, 0xb0005
	s_delay_alu instid0(SALU_CYCLE_1) | instskip(NEXT) | instid1(VALU_DEP_2)
	v_mad_u64_u32 v[3:4], null, s15, s5, v[2:3]
	v_cvt_u32_f32_e32 v1, v1
	s_delay_alu instid0(VALU_DEP_1) | instskip(NEXT) | instid1(VALU_DEP_1)
	v_mul_lo_u32 v5, s7, v1
	v_mul_hi_u32 v4, v1, v5
	s_delay_alu instid0(VALU_DEP_4) | instskip(NEXT) | instid1(VALU_DEP_1)
	v_sub_nc_u32_e32 v5, 0, v3
	v_max_i32_e32 v5, v3, v5
	s_delay_alu instid0(VALU_DEP_3) | instskip(NEXT) | instid1(VALU_DEP_1)
	v_add_nc_u32_e32 v1, v1, v4
	v_mul_hi_u32 v1, v5, v1
	s_delay_alu instid0(VALU_DEP_1) | instskip(NEXT) | instid1(VALU_DEP_1)
	v_mul_lo_u32 v4, v1, s6
	v_sub_nc_u32_e32 v4, v5, v4
	v_add_nc_u32_e32 v5, 1, v1
	s_delay_alu instid0(VALU_DEP_2) | instskip(SKIP_1) | instid1(VALU_DEP_2)
	v_subrev_nc_u32_e32 v6, s6, v4
	v_cmp_le_u32_e32 vcc_lo, s6, v4
	v_dual_cndmask_b32 v4, v4, v6 :: v_dual_cndmask_b32 v1, v1, v5
	v_xor_b32_e32 v5, s14, v3
	s_delay_alu instid0(VALU_DEP_2) | instskip(NEXT) | instid1(VALU_DEP_3)
	v_cmp_le_u32_e32 vcc_lo, s6, v4
	v_add_nc_u32_e32 v6, 1, v1
	s_delay_alu instid0(VALU_DEP_3) | instskip(NEXT) | instid1(VALU_DEP_2)
	v_ashrrev_i32_e32 v5, 31, v5
	v_cndmask_b32_e32 v1, v1, v6, vcc_lo
	s_delay_alu instid0(VALU_DEP_1) | instskip(NEXT) | instid1(VALU_DEP_1)
	v_xor_b32_e32 v1, v1, v5
	v_sub_nc_u32_e32 v1, v1, v5
	s_delay_alu instid0(VALU_DEP_1)
	v_cmp_gt_i32_e32 vcc_lo, s2, v1
	s_and_saveexec_b32 s2, vcc_lo
	s_cbranch_execz .LBB103_20
; %bb.1:
	v_mul_lo_u32 v4, v1, s14
	s_load_b64 s[12:13], s[0:1], 0x0
	v_and_b32_e32 v0, 31, v0
	v_lshlrev_b32_e32 v9, 8, v2
	v_lshlrev_b32_e32 v8, 7, v3
	s_lshl_b32 s20, s3, 1
	s_delay_alu instid0(VALU_DEP_3) | instskip(SKIP_2) | instid1(VALU_DEP_1)
	v_lshlrev_b32_e32 v7, 2, v0
	v_sub_nc_u32_e32 v4, v3, v4
	s_mul_i32 s15, s20, s5
	v_lshlrev_b32_e32 v5, 1, v4
	s_delay_alu instid0(VALU_DEP_1) | instskip(SKIP_1) | instid1(VALU_DEP_2)
	v_add_nc_u32_e32 v4, 2, v5
	v_sub_nc_u32_e32 v6, s4, v5
	v_cmp_lt_i32_e32 vcc_lo, s4, v4
	s_delay_alu instid0(VALU_DEP_2) | instskip(NEXT) | instid1(VALU_DEP_1)
	v_cndmask_b32_e32 v6, 2, v6, vcc_lo
	v_cmp_lt_i32_e32 vcc_lo, 0, v6
	s_and_saveexec_b32 s4, vcc_lo
	s_cbranch_execz .LBB103_4
; %bb.2:
	s_add_i32 s2, s18, s17
	s_lshl_b32 s5, s14, 1
	s_add_i32 s2, s2, s16
	s_mov_b32 s6, 0
	s_sub_i32 s2, s2, s5
	s_mov_b32 s5, 0
	v_mul_lo_u32 v3, s2, v1
	s_add_i32 s2, s15, 0
	s_delay_alu instid0(SALU_CYCLE_1) | instskip(NEXT) | instid1(VALU_DEP_2)
	v_add3_u32 v10, s2, v9, v7
	v_lshl_add_u32 v3, v3, 6, v8
	s_delay_alu instid0(VALU_DEP_1)
	v_lshl_or_b32 v3, v0, 1, v3
	.p2align	6
.LBB103_3:                              ; =>This Inner Loop Header: Depth=1
	s_delay_alu instid0(VALU_DEP_1) | instskip(SKIP_1) | instid1(VALU_DEP_1)
	v_ashrrev_i32_e32 v4, 31, v3
	s_add_i32 s6, s6, 1
	v_lshlrev_b64 v[11:12], 1, v[3:4]
	v_add_nc_u32_e32 v3, 64, v3
	s_waitcnt lgkmcnt(0)
	s_delay_alu instid0(VALU_DEP_2) | instskip(NEXT) | instid1(VALU_DEP_1)
	v_add_co_u32 v11, s2, s12, v11
	v_add_co_ci_u32_e64 v12, s2, s13, v12, s2
	v_cmp_ge_i32_e64 s2, s6, v6
	global_load_b32 v4, v[11:12], off
	s_or_b32 s5, s2, s5
	s_waitcnt vmcnt(0)
	ds_store_b32 v10, v4
	v_add_nc_u32_e32 v10, 0x80, v10
	s_and_not1_b32 exec_lo, exec_lo, s5
	s_cbranch_execnz .LBB103_3
.LBB103_4:
	s_or_b32 exec_lo, exec_lo, s4
	s_load_b256 s[4:11], s[0:1], 0x18
	s_add_i32 s0, s20, 15
	v_mul_lo_u32 v10, v2, s3
	s_ashr_i32 s1, s0, 31
	s_mov_b32 s20, exec_lo
	s_lshr_b32 s1, s1, 28
	s_delay_alu instid0(SALU_CYCLE_1) | instskip(NEXT) | instid1(SALU_CYCLE_1)
	s_add_i32 s0, s0, s1
	s_ashr_i32 s2, s0, 4
	s_delay_alu instid0(SALU_CYCLE_1)
	v_cmpx_gt_i32_e64 s2, v0
	s_cbranch_execz .LBB103_7
; %bb.5:
	v_ashrrev_i32_e32 v2, 31, v1
	s_delay_alu instid0(VALU_DEP_1) | instskip(SKIP_1) | instid1(VALU_DEP_1)
	v_lshlrev_b64 v[2:3], 3, v[1:2]
	s_waitcnt lgkmcnt(0)
	v_add_co_u32 v2, s0, s10, v2
	s_delay_alu instid0(VALU_DEP_1)
	v_add_co_ci_u32_e64 v3, s0, s11, v3, s0
	s_ashr_i32 s0, s3, 31
	global_load_b64 v[2:3], v[2:3], off
	s_waitcnt vmcnt(0)
	v_mul_lo_u32 v11, v3, s3
	v_mul_lo_u32 v12, v2, s0
	v_mad_u64_u32 v[3:4], null, v2, s3, 0
	s_delay_alu instid0(VALU_DEP_1) | instskip(SKIP_1) | instid1(VALU_DEP_2)
	v_add3_u32 v4, v4, v12, v11
	v_lshlrev_b32_e32 v11, 1, v10
	v_lshlrev_b64 v[2:3], 1, v[3:4]
	v_lshlrev_b32_e32 v4, 4, v0
	s_delay_alu instid0(VALU_DEP_1) | instskip(NEXT) | instid1(VALU_DEP_1)
	v_add_co_u32 v2, s0, v2, v4
	v_add_co_ci_u32_e64 v3, s0, 0, v3, s0
	v_add3_u32 v4, v11, v4, 0
	v_mov_b32_e32 v11, v0
	s_delay_alu instid0(VALU_DEP_4) | instskip(NEXT) | instid1(VALU_DEP_1)
	v_add_co_u32 v2, s0, s8, v2
	v_add_co_ci_u32_e64 v3, s0, s9, v3, s0
	s_mov_b32 s8, 0
	.p2align	6
.LBB103_6:                              ; =>This Inner Loop Header: Depth=1
	global_load_b128 v[12:15], v[2:3], off
	v_add_nc_u32_e32 v11, 32, v11
	v_add_co_u32 v2, s0, 0x200, v2
	s_delay_alu instid0(VALU_DEP_1) | instskip(NEXT) | instid1(VALU_DEP_3)
	v_add_co_ci_u32_e64 v3, s0, 0, v3, s0
	v_cmp_le_i32_e64 s1, s2, v11
	s_delay_alu instid0(VALU_DEP_1)
	s_or_b32 s8, s1, s8
	s_waitcnt vmcnt(0)
	ds_store_b128 v4, v[12:15]
	v_add_nc_u32_e32 v4, 0x200, v4
	s_and_not1_b32 exec_lo, exec_lo, s8
	s_cbranch_execnz .LBB103_6
.LBB103_7:
	s_or_b32 exec_lo, exec_lo, s20
	s_delay_alu instid0(SALU_CYCLE_1)
	s_and_b32 exec_lo, exec_lo, vcc_lo
	s_cbranch_execz .LBB103_20
; %bb.8:
	s_waitcnt lgkmcnt(0)
	s_clause 0x1
	global_load_b32 v3, v7, s[4:5]
	global_load_b32 v4, v7, s[6:7]
	s_abs_i32 s2, s3
	v_lshl_add_u32 v16, v10, 1, 0
	v_cvt_f32_u32_e32 v2, s2
	s_sub_i32 s0, 0, s2
	v_mbcnt_lo_u32_b32 v10, -1, 0
	v_or_b32_e32 v12, 2, v7
	s_add_i32 s1, s18, s17
	v_rcp_iflag_f32_e32 v2, v2
	v_add_nc_u32_e32 v20, s15, v9
	v_xor_b32_e32 v9, 16, v10
	s_lshl_b32 s4, s14, 1
	s_add_i32 s1, s1, s16
	v_xor_b32_e32 v13, 4, v10
	s_sub_i32 s1, s1, s4
	v_xor_b32_e32 v15, 2, v10
	v_mul_lo_u32 v1, s1, v1
	v_cmp_gt_i32_e64 s1, 32, v9
	v_mul_f32_e32 v2, 0x4f7ffffe, v2
	v_xor_b32_e32 v17, 1, v10
	s_mov_b32 s4, 0
	s_delay_alu instid0(VALU_DEP_3) | instskip(NEXT) | instid1(VALU_DEP_3)
	v_cndmask_b32_e64 v9, v10, v9, s1
	v_cvt_u32_f32_e32 v2, v2
	v_lshl_add_u32 v1, v1, 6, v8
	s_delay_alu instid0(VALU_DEP_3) | instskip(NEXT) | instid1(VALU_DEP_3)
	v_lshlrev_b32_e32 v8, 2, v9
	v_mul_lo_u32 v11, s0, v2
	s_lshr_b32 s0, s3, 31
	s_delay_alu instid0(SALU_CYCLE_1) | instskip(NEXT) | instid1(SALU_CYCLE_1)
	s_add_i32 s0, s3, s0
	s_ashr_i32 s3, s0, 1
	s_and_b32 s0, s0, -2
	v_cmp_gt_i32_e32 vcc_lo, s3, v0
	s_delay_alu instid0(VALU_DEP_2)
	v_mul_hi_u32 v11, v2, v11
	v_add_nc_u32_e32 v18, s0, v16
	s_lshr_b32 s0, s3, 1
	s_mov_b32 s3, 0
	v_xor_b32_e32 v19, s0, v10
	v_cmp_gt_u32_e64 s0, s0, v0
	v_lshl_or_b32 v0, v0, 1, v1
	v_add_nc_u32_e32 v2, v2, v11
	v_xor_b32_e32 v11, 8, v10
	s_delay_alu instid0(VALU_DEP_2) | instskip(SKIP_1) | instid1(VALU_DEP_3)
	v_mul_hi_u32 v14, v7, v2
	v_mul_hi_u32 v2, v12, v2
	v_cmp_gt_i32_e64 s1, 32, v11
	s_delay_alu instid0(VALU_DEP_1) | instskip(SKIP_1) | instid1(VALU_DEP_4)
	v_cndmask_b32_e64 v11, v10, v11, s1
	v_cmp_gt_i32_e64 s1, 32, v13
	v_mul_lo_u32 v2, v2, s2
	v_mul_lo_u32 v14, v14, s2
	s_delay_alu instid0(VALU_DEP_4) | instskip(NEXT) | instid1(VALU_DEP_3)
	v_lshlrev_b32_e32 v9, 2, v11
	v_sub_nc_u32_e32 v2, v12, v2
	v_cndmask_b32_e64 v12, v10, v13, s1
	v_cmp_gt_i32_e64 s1, 32, v15
	v_sub_nc_u32_e32 v14, v7, v14
	v_add3_u32 v7, v20, v7, 0
	v_subrev_nc_u32_e32 v21, s2, v2
	s_delay_alu instid0(VALU_DEP_4) | instskip(SKIP_2) | instid1(VALU_DEP_3)
	v_cndmask_b32_e64 v13, v10, v15, s1
	v_cmp_gt_i32_e64 s1, 32, v17
	v_subrev_nc_u32_e32 v15, s2, v14
	v_lshlrev_b32_e32 v11, 2, v13
	s_delay_alu instid0(VALU_DEP_3) | instskip(SKIP_1) | instid1(VALU_DEP_1)
	v_cndmask_b32_e64 v17, v10, v17, s1
	v_cmp_le_u32_e64 s1, s2, v14
	v_cndmask_b32_e64 v14, v14, v15, s1
	v_cmp_le_u32_e64 s1, s2, v2
	s_delay_alu instid0(VALU_DEP_1) | instskip(SKIP_1) | instid1(VALU_DEP_1)
	v_cndmask_b32_e64 v2, v2, v21, s1
	v_cmp_gt_i32_e64 s1, 32, v19
	v_cndmask_b32_e64 v15, v10, v19, s1
	v_subrev_nc_u32_e32 v10, s2, v14
	v_cmp_le_u32_e64 s1, s2, v14
	v_subrev_nc_u32_e32 v19, s2, v2
	s_delay_alu instid0(VALU_DEP_4) | instskip(NEXT) | instid1(VALU_DEP_3)
	v_lshlrev_b32_e32 v13, 2, v15
	v_cndmask_b32_e64 v14, v14, v10, s1
	v_cmp_le_u32_e64 s1, s2, v2
	v_lshlrev_b32_e32 v10, 2, v12
	v_lshlrev_b32_e32 v12, 2, v17
	s_delay_alu instid0(VALU_DEP_3) | instskip(SKIP_1) | instid1(VALU_DEP_2)
	v_cndmask_b32_e64 v2, v2, v19, s1
	v_and_b32_e32 v19, -2, v14
	v_and_b32_e32 v2, -2, v2
	s_delay_alu instid0(VALU_DEP_2) | instskip(SKIP_1) | instid1(VALU_DEP_3)
	v_add_nc_u32_e32 v14, v16, v19
	v_add_nc_u32_e32 v15, v18, v19
	;; [unrolled: 1-line block ×4, first 2 shown]
	s_waitcnt vmcnt(1)
	v_lshrrev_b32_e32 v18, 16, v3
	s_waitcnt vmcnt(0)
	v_lshrrev_b32_e32 v19, 16, v4
	s_branch .LBB103_10
.LBB103_9:                              ;   in Loop: Header=BB103_10 Depth=1
	s_or_b32 exec_lo, exec_lo, s2
	v_ashrrev_i32_e32 v1, 31, v0
	v_lshrrev_b32_e32 v20, 16, v20
	s_add_i32 s4, s4, 1
	v_add_nc_u32_e32 v7, 0x80, v7
	v_cmp_ge_i32_e64 s1, s4, v6
	v_lshlrev_b64 v[1:2], 1, v[0:1]
	v_and_or_b32 v20, 0xffff0000, v21, v20
	v_add_nc_u32_e32 v0, 64, v0
	s_delay_alu instid0(VALU_DEP_4) | instskip(NEXT) | instid1(VALU_DEP_3)
	s_or_b32 s3, s1, s3
	v_add_co_u32 v1, s2, s12, v1
	s_delay_alu instid0(VALU_DEP_1)
	v_add_co_ci_u32_e64 v2, s2, s13, v2, s2
	global_store_b32 v[1:2], v20, off
	s_and_not1_b32 exec_lo, exec_lo, s3
	s_cbranch_execz .LBB103_20
.LBB103_10:                             ; =>This Inner Loop Header: Depth=1
	ds_load_b32 v1, v7
	s_waitcnt lgkmcnt(0)
	v_and_b32_e32 v20, 0xffff0000, v1
	v_lshlrev_b32_e32 v2, 16, v1
	s_delay_alu instid0(VALU_DEP_1) | instskip(NEXT) | instid1(VALU_DEP_1)
	v_mul_f32_e32 v1, v2, v2
	v_fmac_f32_e32 v1, v20, v20
	ds_bpermute_b32 v21, v8, v1
	s_waitcnt lgkmcnt(0)
	v_add_f32_e32 v1, v1, v21
	ds_bpermute_b32 v21, v9, v1
	s_waitcnt lgkmcnt(0)
	v_add_f32_e32 v1, v1, v21
	;; [unrolled: 3-line block ×5, first 2 shown]
	s_delay_alu instid0(VALU_DEP_1) | instskip(NEXT) | instid1(VALU_DEP_1)
	v_fma_f32 v1, 0x3c800000, v1, s19
	v_mul_f32_e32 v21, 0x4b800000, v1
	v_cmp_gt_f32_e64 s1, 0x800000, v1
	s_delay_alu instid0(VALU_DEP_1) | instskip(SKIP_1) | instid1(VALU_DEP_2)
	v_cndmask_b32_e64 v1, v1, v21, s1
	v_add_nc_u32_e32 v21, s4, v5
	v_rsq_f32_e32 v1, v1
	s_delay_alu instid0(VALU_DEP_1) | instskip(NEXT) | instid1(VALU_DEP_1)
	v_cmp_gt_i32_e64 s2, s16, v21
	v_cndmask_b32_e64 v21, v4, v3, s2
	v_cndmask_b32_e64 v23, v19, v18, s2
	s_waitcnt_depctr 0xfff
	v_mul_f32_e32 v22, 0x45800000, v1
	v_lshlrev_b32_e32 v21, 16, v21
	s_delay_alu instid0(VALU_DEP_2) | instskip(NEXT) | instid1(VALU_DEP_1)
	v_cndmask_b32_e64 v1, v1, v22, s1
	v_dual_mul_f32 v21, v1, v21 :: v_dual_lshlrev_b32 v22, 16, v23
	s_delay_alu instid0(VALU_DEP_1) | instskip(NEXT) | instid1(VALU_DEP_1)
	v_mul_f32_e32 v22, v1, v22
	v_dual_mul_f32 v1, v21, v2 :: v_dual_mul_f32 v2, v22, v20
	s_and_saveexec_b32 s1, vcc_lo
	s_cbranch_execz .LBB103_12
; %bb.11:                               ;   in Loop: Header=BB103_10 Depth=1
	; wave barrier
	ds_bpermute_b32 v20, v13, v1
	ds_load_u16 v21, v15
	ds_bpermute_b32 v22, v13, v2
	ds_load_u16 v23, v17
	ds_load_u16 v24, v14
	;; [unrolled: 1-line block ×3, first 2 shown]
	; wave barrier
	s_waitcnt lgkmcnt(5)
	v_cndmask_b32_e64 v20, v20, -v20, s0
	s_waitcnt lgkmcnt(4)
	v_cvt_f32_f16_e32 v21, v21
	s_waitcnt lgkmcnt(3)
	v_cndmask_b32_e64 v22, v22, -v22, s0
	s_waitcnt lgkmcnt(2)
	v_cvt_f32_f16_e32 v23, v23
	s_delay_alu instid0(VALU_DEP_1) | instskip(SKIP_1) | instid1(VALU_DEP_1)
	v_dual_mul_f32 v20, v20, v21 :: v_dual_mul_f32 v21, v22, v23
	s_waitcnt lgkmcnt(1)
	v_fma_mix_f32 v1, v1, v24, v20 op_sel_hi:[0,1,0]
	s_waitcnt lgkmcnt(0)
	s_delay_alu instid0(VALU_DEP_2)
	v_fma_mix_f32 v2, v2, v25, v21 op_sel_hi:[0,1,0]
.LBB103_12:                             ;   in Loop: Header=BB103_10 Depth=1
	s_or_b32 exec_lo, exec_lo, s1
	s_delay_alu instid0(VALU_DEP_1) | instskip(NEXT) | instid1(VALU_DEP_1)
	v_and_b32_e32 v20, 0x7f800000, v1
	v_cmp_ne_u32_e64 s1, 0x7f800000, v20
                                        ; implicit-def: $vgpr20
	s_delay_alu instid0(VALU_DEP_1) | instskip(NEXT) | instid1(SALU_CYCLE_1)
	s_and_saveexec_b32 s2, s1
	s_xor_b32 s1, exec_lo, s2
; %bb.13:                               ;   in Loop: Header=BB103_10 Depth=1
	v_bfe_u32 v20, v1, 16, 1
	s_delay_alu instid0(VALU_DEP_1)
	v_add3_u32 v20, v1, v20, 0x7fff
; %bb.14:                               ;   in Loop: Header=BB103_10 Depth=1
	s_and_not1_saveexec_b32 s2, s1
; %bb.15:                               ;   in Loop: Header=BB103_10 Depth=1
	v_and_b32_e32 v20, 0xffff, v1
	v_or_b32_e32 v21, 0x10000, v1
	s_delay_alu instid0(VALU_DEP_2) | instskip(NEXT) | instid1(VALU_DEP_1)
	v_cmp_eq_u32_e64 s1, 0, v20
	v_cndmask_b32_e64 v20, v21, v1, s1
; %bb.16:                               ;   in Loop: Header=BB103_10 Depth=1
	s_or_b32 exec_lo, exec_lo, s2
	v_and_b32_e32 v1, 0x7f800000, v2
                                        ; implicit-def: $vgpr21
	s_delay_alu instid0(VALU_DEP_1) | instskip(NEXT) | instid1(VALU_DEP_1)
	v_cmp_ne_u32_e64 s1, 0x7f800000, v1
	s_and_saveexec_b32 s2, s1
	s_delay_alu instid0(SALU_CYCLE_1)
	s_xor_b32 s1, exec_lo, s2
; %bb.17:                               ;   in Loop: Header=BB103_10 Depth=1
	v_bfe_u32 v1, v2, 16, 1
	s_delay_alu instid0(VALU_DEP_1)
	v_add3_u32 v21, v2, v1, 0x7fff
                                        ; implicit-def: $vgpr1_vgpr2
; %bb.18:                               ;   in Loop: Header=BB103_10 Depth=1
	s_and_not1_saveexec_b32 s2, s1
	s_cbranch_execz .LBB103_9
; %bb.19:                               ;   in Loop: Header=BB103_10 Depth=1
	v_and_b32_e32 v1, 0xffff, v2
	v_or_b32_e32 v21, 0x10000, v2
	s_delay_alu instid0(VALU_DEP_2) | instskip(NEXT) | instid1(VALU_DEP_1)
	v_cmp_eq_u32_e64 s1, 0, v1
	v_cndmask_b32_e64 v21, v21, v2, s1
	s_branch .LBB103_9
.LBB103_20:
	s_nop 0
	s_sendmsg sendmsg(MSG_DEALLOC_VGPRS)
	s_endpgm
	.section	.rodata,"a",@progbits
	.p2align	6, 0x0
	.amdhsa_kernel _ZN12tensorrt_llm7kernels32fusedQKNormRopeKernelNTokenHeadsIN3c108BFloat16ENS2_4HalfELi64ELb0ELi2EEEvPviiifPKvS7_S7_PKlii
		.amdhsa_group_segment_fixed_size 0
		.amdhsa_private_segment_fixed_size 0
		.amdhsa_kernarg_size 320
		.amdhsa_user_sgpr_count 15
		.amdhsa_user_sgpr_dispatch_ptr 0
		.amdhsa_user_sgpr_queue_ptr 0
		.amdhsa_user_sgpr_kernarg_segment_ptr 1
		.amdhsa_user_sgpr_dispatch_id 0
		.amdhsa_user_sgpr_private_segment_size 0
		.amdhsa_wavefront_size32 1
		.amdhsa_uses_dynamic_stack 0
		.amdhsa_enable_private_segment 0
		.amdhsa_system_sgpr_workgroup_id_x 1
		.amdhsa_system_sgpr_workgroup_id_y 0
		.amdhsa_system_sgpr_workgroup_id_z 0
		.amdhsa_system_sgpr_workgroup_info 0
		.amdhsa_system_vgpr_workitem_id 0
		.amdhsa_next_free_vgpr 26
		.amdhsa_next_free_sgpr 21
		.amdhsa_reserve_vcc 1
		.amdhsa_float_round_mode_32 0
		.amdhsa_float_round_mode_16_64 0
		.amdhsa_float_denorm_mode_32 3
		.amdhsa_float_denorm_mode_16_64 3
		.amdhsa_dx10_clamp 1
		.amdhsa_ieee_mode 1
		.amdhsa_fp16_overflow 0
		.amdhsa_workgroup_processor_mode 1
		.amdhsa_memory_ordered 1
		.amdhsa_forward_progress 0
		.amdhsa_shared_vgpr_count 0
		.amdhsa_exception_fp_ieee_invalid_op 0
		.amdhsa_exception_fp_denorm_src 0
		.amdhsa_exception_fp_ieee_div_zero 0
		.amdhsa_exception_fp_ieee_overflow 0
		.amdhsa_exception_fp_ieee_underflow 0
		.amdhsa_exception_fp_ieee_inexact 0
		.amdhsa_exception_int_div_zero 0
	.end_amdhsa_kernel
	.section	.text._ZN12tensorrt_llm7kernels32fusedQKNormRopeKernelNTokenHeadsIN3c108BFloat16ENS2_4HalfELi64ELb0ELi2EEEvPviiifPKvS7_S7_PKlii,"axG",@progbits,_ZN12tensorrt_llm7kernels32fusedQKNormRopeKernelNTokenHeadsIN3c108BFloat16ENS2_4HalfELi64ELb0ELi2EEEvPviiifPKvS7_S7_PKlii,comdat
.Lfunc_end103:
	.size	_ZN12tensorrt_llm7kernels32fusedQKNormRopeKernelNTokenHeadsIN3c108BFloat16ENS2_4HalfELi64ELb0ELi2EEEvPviiifPKvS7_S7_PKlii, .Lfunc_end103-_ZN12tensorrt_llm7kernels32fusedQKNormRopeKernelNTokenHeadsIN3c108BFloat16ENS2_4HalfELi64ELb0ELi2EEEvPviiifPKvS7_S7_PKlii
                                        ; -- End function
	.section	.AMDGPU.csdata,"",@progbits
; Kernel info:
; codeLenInByte = 2108
; NumSgprs: 23
; NumVgprs: 26
; ScratchSize: 0
; MemoryBound: 0
; FloatMode: 240
; IeeeMode: 1
; LDSByteSize: 0 bytes/workgroup (compile time only)
; SGPRBlocks: 2
; VGPRBlocks: 3
; NumSGPRsForWavesPerEU: 23
; NumVGPRsForWavesPerEU: 26
; Occupancy: 16
; WaveLimiterHint : 0
; COMPUTE_PGM_RSRC2:SCRATCH_EN: 0
; COMPUTE_PGM_RSRC2:USER_SGPR: 15
; COMPUTE_PGM_RSRC2:TRAP_HANDLER: 0
; COMPUTE_PGM_RSRC2:TGID_X_EN: 1
; COMPUTE_PGM_RSRC2:TGID_Y_EN: 0
; COMPUTE_PGM_RSRC2:TGID_Z_EN: 0
; COMPUTE_PGM_RSRC2:TIDIG_COMP_CNT: 0
	.section	.text._ZN12tensorrt_llm7kernels32fusedQKNormRopeKernelNTokenHeadsIN3c108BFloat16ENS2_4HalfELi128ELb1ELi2EEEvPviiifPKvS7_S7_PKlii,"axG",@progbits,_ZN12tensorrt_llm7kernels32fusedQKNormRopeKernelNTokenHeadsIN3c108BFloat16ENS2_4HalfELi128ELb1ELi2EEEvPviiifPKvS7_S7_PKlii,comdat
	.protected	_ZN12tensorrt_llm7kernels32fusedQKNormRopeKernelNTokenHeadsIN3c108BFloat16ENS2_4HalfELi128ELb1ELi2EEEvPviiifPKvS7_S7_PKlii ; -- Begin function _ZN12tensorrt_llm7kernels32fusedQKNormRopeKernelNTokenHeadsIN3c108BFloat16ENS2_4HalfELi128ELb1ELi2EEEvPviiifPKvS7_S7_PKlii
	.globl	_ZN12tensorrt_llm7kernels32fusedQKNormRopeKernelNTokenHeadsIN3c108BFloat16ENS2_4HalfELi128ELb1ELi2EEEvPviiifPKvS7_S7_PKlii
	.p2align	8
	.type	_ZN12tensorrt_llm7kernels32fusedQKNormRopeKernelNTokenHeadsIN3c108BFloat16ENS2_4HalfELi128ELb1ELi2EEEvPviiifPKvS7_S7_PKlii,@function
_ZN12tensorrt_llm7kernels32fusedQKNormRopeKernelNTokenHeadsIN3c108BFloat16ENS2_4HalfELi128ELb1ELi2EEEvPviiifPKvS7_S7_PKlii: ; @_ZN12tensorrt_llm7kernels32fusedQKNormRopeKernelNTokenHeadsIN3c108BFloat16ENS2_4HalfELi128ELb1ELi2EEEvPviiifPKvS7_S7_PKlii
; %bb.0:
	s_clause 0x1
	s_load_b128 s[16:19], s[0:1], 0x8
	s_load_b64 s[2:3], s[0:1], 0x38
	v_lshrrev_b32_e32 v2, 5, v0
	s_waitcnt lgkmcnt(0)
	s_add_i32 s4, s17, s16
	s_delay_alu instid0(SALU_CYCLE_1) | instskip(NEXT) | instid1(SALU_CYCLE_1)
	s_add_i32 s5, s4, 1
	s_lshr_b32 s6, s5, 31
	s_delay_alu instid0(SALU_CYCLE_1) | instskip(NEXT) | instid1(SALU_CYCLE_1)
	s_add_i32 s5, s5, s6
	s_ashr_i32 s14, s5, 1
	s_load_b32 s5, s[0:1], 0x4c
	s_abs_i32 s6, s14
	s_delay_alu instid0(SALU_CYCLE_1) | instskip(SKIP_1) | instid1(VALU_DEP_1)
	v_cvt_f32_u32_e32 v1, s6
	s_sub_i32 s7, 0, s6
	v_rcp_iflag_f32_e32 v1, v1
	s_waitcnt_depctr 0xfff
	v_mul_f32_e32 v1, 0x4f7ffffe, v1
	s_waitcnt lgkmcnt(0)
	s_bfe_u32 s5, s5, 0xb0005
	s_delay_alu instid0(SALU_CYCLE_1) | instskip(NEXT) | instid1(VALU_DEP_2)
	v_mad_u64_u32 v[3:4], null, s15, s5, v[2:3]
	v_cvt_u32_f32_e32 v1, v1
	s_delay_alu instid0(VALU_DEP_1) | instskip(NEXT) | instid1(VALU_DEP_1)
	v_mul_lo_u32 v5, s7, v1
	v_mul_hi_u32 v4, v1, v5
	s_delay_alu instid0(VALU_DEP_4) | instskip(NEXT) | instid1(VALU_DEP_1)
	v_sub_nc_u32_e32 v5, 0, v3
	v_max_i32_e32 v5, v3, v5
	s_delay_alu instid0(VALU_DEP_3) | instskip(NEXT) | instid1(VALU_DEP_1)
	v_add_nc_u32_e32 v1, v1, v4
	v_mul_hi_u32 v1, v5, v1
	s_delay_alu instid0(VALU_DEP_1) | instskip(NEXT) | instid1(VALU_DEP_1)
	v_mul_lo_u32 v4, v1, s6
	v_sub_nc_u32_e32 v4, v5, v4
	v_add_nc_u32_e32 v5, 1, v1
	s_delay_alu instid0(VALU_DEP_2) | instskip(SKIP_1) | instid1(VALU_DEP_2)
	v_subrev_nc_u32_e32 v6, s6, v4
	v_cmp_le_u32_e32 vcc_lo, s6, v4
	v_dual_cndmask_b32 v4, v4, v6 :: v_dual_cndmask_b32 v1, v1, v5
	v_xor_b32_e32 v5, s14, v3
	s_delay_alu instid0(VALU_DEP_2) | instskip(NEXT) | instid1(VALU_DEP_3)
	v_cmp_le_u32_e32 vcc_lo, s6, v4
	v_add_nc_u32_e32 v6, 1, v1
	s_delay_alu instid0(VALU_DEP_3) | instskip(NEXT) | instid1(VALU_DEP_2)
	v_ashrrev_i32_e32 v5, 31, v5
	v_cndmask_b32_e32 v1, v1, v6, vcc_lo
	s_delay_alu instid0(VALU_DEP_1) | instskip(NEXT) | instid1(VALU_DEP_1)
	v_xor_b32_e32 v1, v1, v5
	v_sub_nc_u32_e32 v1, v1, v5
	s_delay_alu instid0(VALU_DEP_1)
	v_cmp_gt_i32_e32 vcc_lo, s2, v1
	s_and_saveexec_b32 s2, vcc_lo
	s_cbranch_execz .LBB104_28
; %bb.1:
	v_mul_lo_u32 v4, v1, s14
	s_load_b64 s[12:13], s[0:1], 0x0
	v_and_b32_e32 v8, 31, v0
	v_lshlrev_b32_e32 v12, 9, v2
	v_lshlrev_b32_e32 v0, 8, v3
	s_lshl_b32 s20, s3, 1
	s_delay_alu instid0(VALU_DEP_3) | instskip(SKIP_2) | instid1(VALU_DEP_1)
	v_lshlrev_b32_e32 v9, 3, v8
	v_sub_nc_u32_e32 v4, v3, v4
	s_mul_i32 s15, s20, s5
	v_lshlrev_b32_e32 v10, 1, v4
	s_delay_alu instid0(VALU_DEP_1) | instskip(SKIP_1) | instid1(VALU_DEP_2)
	v_add_nc_u32_e32 v4, 2, v10
	v_sub_nc_u32_e32 v5, s4, v10
	v_cmp_lt_i32_e32 vcc_lo, s4, v4
	s_delay_alu instid0(VALU_DEP_2) | instskip(NEXT) | instid1(VALU_DEP_1)
	v_cndmask_b32_e32 v11, 2, v5, vcc_lo
	v_cmp_lt_i32_e32 vcc_lo, 0, v11
	s_and_saveexec_b32 s4, vcc_lo
	s_cbranch_execz .LBB104_4
; %bb.2:
	s_add_i32 s2, s18, s17
	s_lshl_b32 s5, s14, 1
	s_add_i32 s2, s2, s16
	s_mov_b32 s6, 0
	s_sub_i32 s2, s2, s5
	s_mov_b32 s5, 0
	v_mul_lo_u32 v3, s2, v1
	s_add_i32 s2, s15, 0
	s_delay_alu instid0(SALU_CYCLE_1) | instskip(NEXT) | instid1(VALU_DEP_2)
	v_add3_u32 v5, s2, v12, v9
	v_lshl_add_u32 v3, v3, 7, v0
	s_delay_alu instid0(VALU_DEP_1)
	v_lshl_or_b32 v3, v8, 2, v3
	.p2align	6
.LBB104_3:                              ; =>This Inner Loop Header: Depth=1
	s_delay_alu instid0(VALU_DEP_1) | instskip(SKIP_1) | instid1(VALU_DEP_1)
	v_ashrrev_i32_e32 v4, 31, v3
	s_add_i32 s6, s6, 1
	v_lshlrev_b64 v[6:7], 1, v[3:4]
	v_add_nc_u32_e32 v3, 0x80, v3
	s_waitcnt lgkmcnt(0)
	s_delay_alu instid0(VALU_DEP_2) | instskip(NEXT) | instid1(VALU_DEP_1)
	v_add_co_u32 v6, s2, s12, v6
	v_add_co_ci_u32_e64 v7, s2, s13, v7, s2
	v_cmp_ge_i32_e64 s2, s6, v11
	global_load_b64 v[6:7], v[6:7], off
	s_or_b32 s5, s2, s5
	s_waitcnt vmcnt(0)
	ds_store_b64 v5, v[6:7]
	v_add_nc_u32_e32 v5, 0x100, v5
	s_and_not1_b32 exec_lo, exec_lo, s5
	s_cbranch_execnz .LBB104_3
.LBB104_4:
	s_or_b32 exec_lo, exec_lo, s4
	s_load_b256 s[4:11], s[0:1], 0x18
	v_mul_lo_u32 v2, v2, s3
	s_add_i32 s0, s20, 15
	s_mov_b32 s20, exec_lo
	s_ashr_i32 s1, s0, 31
	s_delay_alu instid0(SALU_CYCLE_1) | instskip(NEXT) | instid1(SALU_CYCLE_1)
	s_lshr_b32 s1, s1, 28
	s_add_i32 s0, s0, s1
	s_delay_alu instid0(VALU_DEP_1) | instskip(SKIP_1) | instid1(SALU_CYCLE_1)
	v_lshlrev_b32_e32 v13, 1, v2
	s_ashr_i32 s2, s0, 4
	v_cmpx_gt_i32_e64 s2, v8
	s_cbranch_execz .LBB104_7
; %bb.5:
	v_ashrrev_i32_e32 v2, 31, v1
	s_delay_alu instid0(VALU_DEP_1) | instskip(SKIP_1) | instid1(VALU_DEP_1)
	v_lshlrev_b64 v[2:3], 3, v[1:2]
	s_waitcnt lgkmcnt(0)
	v_add_co_u32 v2, s0, s10, v2
	s_delay_alu instid0(VALU_DEP_1)
	v_add_co_ci_u32_e64 v3, s0, s11, v3, s0
	s_ashr_i32 s0, s3, 31
	global_load_b64 v[2:3], v[2:3], off
	s_waitcnt vmcnt(0)
	v_mul_lo_u32 v5, v3, s3
	v_mul_lo_u32 v6, v2, s0
	v_mad_u64_u32 v[3:4], null, v2, s3, 0
	s_delay_alu instid0(VALU_DEP_1) | instskip(SKIP_1) | instid1(VALU_DEP_2)
	v_add3_u32 v4, v4, v6, v5
	v_mov_b32_e32 v5, v8
	v_lshlrev_b64 v[2:3], 1, v[3:4]
	v_lshlrev_b32_e32 v4, 4, v8
	s_delay_alu instid0(VALU_DEP_1) | instskip(NEXT) | instid1(VALU_DEP_1)
	v_add_co_u32 v2, s0, v2, v4
	v_add_co_ci_u32_e64 v3, s0, 0, v3, s0
	v_add3_u32 v4, v13, v4, 0
	s_delay_alu instid0(VALU_DEP_3) | instskip(NEXT) | instid1(VALU_DEP_1)
	v_add_co_u32 v2, s0, s8, v2
	v_add_co_ci_u32_e64 v3, s0, s9, v3, s0
	s_mov_b32 s8, 0
	.p2align	6
.LBB104_6:                              ; =>This Inner Loop Header: Depth=1
	global_load_b128 v[14:17], v[2:3], off
	v_add_nc_u32_e32 v5, 32, v5
	v_add_co_u32 v2, s0, 0x200, v2
	s_delay_alu instid0(VALU_DEP_1) | instskip(NEXT) | instid1(VALU_DEP_3)
	v_add_co_ci_u32_e64 v3, s0, 0, v3, s0
	v_cmp_le_i32_e64 s1, s2, v5
	s_delay_alu instid0(VALU_DEP_1)
	s_or_b32 s8, s1, s8
	s_waitcnt vmcnt(0)
	ds_store_b128 v4, v[14:17]
	v_add_nc_u32_e32 v4, 0x200, v4
	s_and_not1_b32 exec_lo, exec_lo, s8
	s_cbranch_execnz .LBB104_6
.LBB104_7:
	s_or_b32 exec_lo, exec_lo, s20
	s_delay_alu instid0(SALU_CYCLE_1)
	s_and_b32 exec_lo, exec_lo, vcc_lo
	s_cbranch_execz .LBB104_28
; %bb.8:
	s_waitcnt lgkmcnt(0)
	s_clause 0x1
	global_load_b64 v[4:5], v9, s[4:5]
	global_load_b64 v[6:7], v9, s[6:7]
	v_mbcnt_lo_u32_b32 v3, -1, 0
	s_lshr_b32 s0, s3, 31
	s_ashr_i32 s1, s3, 31
	s_add_i32 s0, s3, s0
	s_lshr_b32 s1, s1, 30
	v_xor_b32_e32 v15, 16, v3
	s_and_b32 s5, s0, -2
	s_add_i32 s0, s3, s1
	v_xor_b32_e32 v16, 8, v3
	s_ashr_i32 s0, s0, 2
	v_lshlrev_b32_e32 v2, 2, v8
	v_cmp_le_i32_e32 vcc_lo, s0, v8
	v_cmp_gt_i32_e64 s0, 32, v15
	v_add_nc_u32_e32 v14, s15, v12
	v_xor_b32_e32 v17, 4, v3
	v_xor_b32_e32 v18, 2, v3
	v_add3_u32 v12, 0, v13, v2
	v_cndmask_b32_e64 v8, v3, v15, s0
	v_cmp_gt_i32_e64 s0, 32, v16
	v_add3_u32 v13, v14, v9, 0
	s_add_i32 s2, s18, s17
	s_lshl_b32 s4, s14, 1
	s_add_i32 s2, s2, s16
	v_cndmask_b32_e64 v9, v3, v16, s0
	v_cmp_gt_i32_e64 s0, 32, v17
	s_sub_i32 s1, s2, s4
	v_xor_b32_e32 v19, 1, v3
	v_mul_lo_u32 v1, s1, v1
	v_add_nc_u32_e32 v14, s5, v12
	v_cndmask_b32_e64 v17, v3, v17, s0
	v_cmp_gt_i32_e64 s0, 32, v18
	v_lshlrev_b32_e32 v15, 2, v8
	v_lshlrev_b32_e32 v16, 2, v9
	s_mov_b32 s2, 0
	v_lshlrev_b32_e32 v17, 2, v17
	v_cndmask_b32_e64 v18, v3, v18, s0
	v_cmp_gt_i32_e64 s0, 32, v19
	v_lshl_add_u32 v0, v1, 7, v0
	s_mov_b32 s3, 0
	s_delay_alu instid0(VALU_DEP_3) | instskip(NEXT) | instid1(VALU_DEP_3)
	v_lshlrev_b32_e32 v18, 2, v18
	v_cndmask_b32_e64 v3, v3, v19, s0
	s_delay_alu instid0(VALU_DEP_3) | instskip(NEXT) | instid1(VALU_DEP_2)
	v_or_b32_e32 v8, v0, v2
	v_lshlrev_b32_e32 v19, 2, v3
	s_waitcnt vmcnt(1)
	v_lshrrev_b32_e32 v20, 16, v4
	s_waitcnt vmcnt(0)
	v_lshrrev_b32_e32 v21, 16, v6
	v_lshrrev_b32_e32 v22, 16, v5
	;; [unrolled: 1-line block ×3, first 2 shown]
	s_branch .LBB104_10
.LBB104_9:                              ;   in Loop: Header=BB104_10 Depth=1
	s_or_b32 exec_lo, exec_lo, s1
	v_ashrrev_i32_e32 v9, 31, v8
	v_lshrrev_b32_e32 v2, 16, v26
	v_and_b32_e32 v3, 0xffff0000, v27
	s_add_i32 s3, s3, 1
	v_add_nc_u32_e32 v13, 0x100, v13
	v_lshlrev_b64 v[0:1], 1, v[8:9]
	v_lshrrev_b32_e32 v9, 16, v24
	v_cmp_ge_i32_e64 s0, s3, v11
	v_or_b32_e32 v2, v3, v2
	v_add_nc_u32_e32 v8, 0x80, v8
	v_add_co_u32 v26, s1, s12, v0
	s_delay_alu instid0(VALU_DEP_1)
	v_add_co_ci_u32_e64 v27, s1, s13, v1, s1
	v_and_or_b32 v1, 0xffff0000, v25, v9
	s_or_b32 s2, s0, s2
	global_store_b64 v[26:27], v[1:2], off
	s_and_not1_b32 exec_lo, exec_lo, s2
	s_cbranch_execz .LBB104_28
.LBB104_10:                             ; =>This Inner Loop Header: Depth=1
	ds_load_b64 v[0:1], v13
	s_waitcnt lgkmcnt(0)
	v_lshlrev_b32_e32 v3, 16, v0
	v_and_b32_e32 v2, 0xffff0000, v0
	v_alignbit_b32 v0, v1, v0, 16
	v_and_b32_e32 v25, 0xffff0000, v1
	s_delay_alu instid0(VALU_DEP_2) | instskip(NEXT) | instid1(VALU_DEP_1)
	v_dual_mul_f32 v9, v2, v2 :: v_dual_and_b32 v24, 0xffff0000, v0
	v_fmac_f32_e32 v9, v3, v3
	s_delay_alu instid0(VALU_DEP_1) | instskip(NEXT) | instid1(VALU_DEP_1)
	v_fmac_f32_e32 v9, v24, v24
	v_fmac_f32_e32 v9, v25, v25
	ds_bpermute_b32 v0, v15, v9
	s_waitcnt lgkmcnt(0)
	v_add_f32_e32 v0, v9, v0
	ds_bpermute_b32 v1, v16, v0
	s_waitcnt lgkmcnt(0)
	v_add_f32_e32 v0, v0, v1
	;; [unrolled: 3-line block ×5, first 2 shown]
	s_delay_alu instid0(VALU_DEP_1) | instskip(NEXT) | instid1(VALU_DEP_1)
	v_fma_f32 v0, 0x3c000000, v0, s19
	v_mul_f32_e32 v1, 0x4b800000, v0
	v_cmp_gt_f32_e64 s0, 0x800000, v0
	s_delay_alu instid0(VALU_DEP_1) | instskip(SKIP_1) | instid1(VALU_DEP_2)
	v_cndmask_b32_e64 v0, v0, v1, s0
	v_add_nc_u32_e32 v1, s3, v10
	v_rsq_f32_e32 v0, v0
	s_delay_alu instid0(VALU_DEP_1) | instskip(NEXT) | instid1(VALU_DEP_1)
	v_cmp_gt_i32_e64 s1, s16, v1
	v_cndmask_b32_e64 v26, v21, v20, s1
	v_cndmask_b32_e64 v27, v23, v22, s1
	;; [unrolled: 1-line block ×4, first 2 shown]
	s_waitcnt_depctr 0xfff
	v_mul_f32_e32 v9, 0x45800000, v0
	s_delay_alu instid0(VALU_DEP_1) | instskip(SKIP_3) | instid1(VALU_DEP_3)
	v_cndmask_b32_e64 v0, v0, v9, s0
	v_lshlrev_b32_e32 v9, 16, v26
	v_lshlrev_b32_e32 v26, 16, v27
	;; [unrolled: 1-line block ×3, first 2 shown]
	v_mul_f32_e32 v9, v0, v9
	s_delay_alu instid0(VALU_DEP_3) | instskip(NEXT) | instid1(VALU_DEP_3)
	v_mul_f32_e32 v26, v0, v26
	v_mul_f32_e32 v27, v0, v27
	v_lshlrev_b32_e32 v1, 16, v1
	s_delay_alu instid0(VALU_DEP_1) | instskip(NEXT) | instid1(VALU_DEP_1)
	v_mul_f32_e32 v1, v0, v1
	v_mul_f32_e32 v0, v1, v3
	s_delay_alu instid0(VALU_DEP_4) | instskip(SKIP_2) | instid1(SALU_CYCLE_1)
	v_dual_mul_f32 v1, v9, v2 :: v_dual_mul_f32 v2, v27, v24
	v_mul_f32_e32 v3, v26, v25
	s_and_saveexec_b32 s0, vcc_lo
	s_xor_b32 s0, exec_lo, s0
	s_delay_alu instid0(SALU_CYCLE_1)
	s_and_not1_saveexec_b32 s0, s0
	s_cbranch_execz .LBB104_12
; %bb.11:                               ;   in Loop: Header=BB104_10 Depth=1
	ds_load_u16 v9, v14
	ds_load_u16 v27, v14 offset:2
	ds_load_u16 v26, v12 offset:2
	ds_load_u16 v25, v12
	s_waitcnt lgkmcnt(3)
	v_cvt_f32_f16_e32 v9, v9
	s_waitcnt lgkmcnt(2)
	v_cvt_f32_f16_e32 v24, v27
	;; [unrolled: 2-line block ×3, first 2 shown]
	s_delay_alu instid0(VALU_DEP_2) | instskip(NEXT) | instid1(VALU_DEP_2)
	v_dual_mul_f32 v29, v1, v9 :: v_dual_mul_f32 v30, v3, v24
	v_mul_f32_e32 v3, v3, v28
	s_waitcnt lgkmcnt(0)
	s_delay_alu instid0(VALU_DEP_2) | instskip(NEXT) | instid1(VALU_DEP_3)
	v_fma_mix_f32 v24, v0, v25, -v29 op_sel_hi:[0,1,0]
	v_fma_mix_f32 v26, v2, v26, -v30 op_sel_hi:[0,1,0]
	s_delay_alu instid0(VALU_DEP_3) | instskip(SKIP_1) | instid1(VALU_DEP_1)
	v_fma_mix_f32 v27, v2, v27, v3 op_sel_hi:[0,1,0]
	v_mul_f32_e32 v9, v0, v9
	v_fma_mix_f32 v25, v1, v25, v9 op_sel_hi:[0,1,0]
	v_mov_b32_e32 v0, v24
	s_delay_alu instid0(VALU_DEP_4) | instskip(NEXT) | instid1(VALU_DEP_3)
	v_dual_mov_b32 v2, v26 :: v_dual_mov_b32 v3, v27
	v_mov_b32_e32 v1, v25
.LBB104_12:                             ;   in Loop: Header=BB104_10 Depth=1
	s_or_b32 exec_lo, exec_lo, s0
	s_delay_alu instid0(VALU_DEP_3) | instskip(NEXT) | instid1(VALU_DEP_1)
	v_and_b32_e32 v9, 0x7f800000, v0
                                        ; implicit-def: $vgpr24
	v_cmp_ne_u32_e64 s0, 0x7f800000, v9
	s_delay_alu instid0(VALU_DEP_1) | instskip(NEXT) | instid1(SALU_CYCLE_1)
	s_and_saveexec_b32 s1, s0
	s_xor_b32 s0, exec_lo, s1
; %bb.13:                               ;   in Loop: Header=BB104_10 Depth=1
	v_bfe_u32 v9, v0, 16, 1
	s_delay_alu instid0(VALU_DEP_1)
	v_add3_u32 v24, v0, v9, 0x7fff
; %bb.14:                               ;   in Loop: Header=BB104_10 Depth=1
	s_and_not1_saveexec_b32 s1, s0
; %bb.15:                               ;   in Loop: Header=BB104_10 Depth=1
	v_and_b32_e32 v9, 0xffff, v0
	v_or_b32_e32 v24, 0x10000, v0
	s_delay_alu instid0(VALU_DEP_2) | instskip(NEXT) | instid1(VALU_DEP_1)
	v_cmp_eq_u32_e64 s0, 0, v9
	v_cndmask_b32_e64 v24, v24, v0, s0
; %bb.16:                               ;   in Loop: Header=BB104_10 Depth=1
	s_or_b32 exec_lo, exec_lo, s1
	v_and_b32_e32 v0, 0x7f800000, v1
                                        ; implicit-def: $vgpr25
	s_delay_alu instid0(VALU_DEP_1) | instskip(NEXT) | instid1(VALU_DEP_1)
	v_cmp_ne_u32_e64 s0, 0x7f800000, v0
	s_and_saveexec_b32 s1, s0
	s_delay_alu instid0(SALU_CYCLE_1)
	s_xor_b32 s0, exec_lo, s1
; %bb.17:                               ;   in Loop: Header=BB104_10 Depth=1
	v_bfe_u32 v0, v1, 16, 1
	s_delay_alu instid0(VALU_DEP_1)
	v_add3_u32 v25, v1, v0, 0x7fff
; %bb.18:                               ;   in Loop: Header=BB104_10 Depth=1
	s_and_not1_saveexec_b32 s1, s0
; %bb.19:                               ;   in Loop: Header=BB104_10 Depth=1
	v_and_b32_e32 v0, 0xffff, v1
	v_or_b32_e32 v9, 0x10000, v1
	s_delay_alu instid0(VALU_DEP_2) | instskip(NEXT) | instid1(VALU_DEP_1)
	v_cmp_eq_u32_e64 s0, 0, v0
	v_cndmask_b32_e64 v25, v9, v1, s0
; %bb.20:                               ;   in Loop: Header=BB104_10 Depth=1
	s_or_b32 exec_lo, exec_lo, s1
	v_and_b32_e32 v0, 0x7f800000, v2
                                        ; implicit-def: $vgpr26
	s_delay_alu instid0(VALU_DEP_1) | instskip(NEXT) | instid1(VALU_DEP_1)
	v_cmp_ne_u32_e64 s0, 0x7f800000, v0
	s_and_saveexec_b32 s1, s0
	s_delay_alu instid0(SALU_CYCLE_1)
	s_xor_b32 s0, exec_lo, s1
; %bb.21:                               ;   in Loop: Header=BB104_10 Depth=1
	v_bfe_u32 v0, v2, 16, 1
	s_delay_alu instid0(VALU_DEP_1)
	v_add3_u32 v26, v2, v0, 0x7fff
; %bb.22:                               ;   in Loop: Header=BB104_10 Depth=1
	s_and_not1_saveexec_b32 s1, s0
; %bb.23:                               ;   in Loop: Header=BB104_10 Depth=1
	v_and_b32_e32 v0, 0xffff, v2
	v_or_b32_e32 v1, 0x10000, v2
	s_delay_alu instid0(VALU_DEP_2) | instskip(NEXT) | instid1(VALU_DEP_1)
	v_cmp_eq_u32_e64 s0, 0, v0
	v_cndmask_b32_e64 v26, v1, v2, s0
; %bb.24:                               ;   in Loop: Header=BB104_10 Depth=1
	s_or_b32 exec_lo, exec_lo, s1
	v_and_b32_e32 v0, 0x7f800000, v3
                                        ; implicit-def: $vgpr27
	s_delay_alu instid0(VALU_DEP_1) | instskip(NEXT) | instid1(VALU_DEP_1)
	v_cmp_ne_u32_e64 s0, 0x7f800000, v0
	s_and_saveexec_b32 s1, s0
	s_delay_alu instid0(SALU_CYCLE_1)
	s_xor_b32 s0, exec_lo, s1
; %bb.25:                               ;   in Loop: Header=BB104_10 Depth=1
	v_bfe_u32 v0, v3, 16, 1
	s_delay_alu instid0(VALU_DEP_1)
	v_add3_u32 v27, v3, v0, 0x7fff
                                        ; implicit-def: $vgpr0_vgpr1_vgpr2_vgpr3
; %bb.26:                               ;   in Loop: Header=BB104_10 Depth=1
	s_and_not1_saveexec_b32 s1, s0
	s_cbranch_execz .LBB104_9
; %bb.27:                               ;   in Loop: Header=BB104_10 Depth=1
	v_and_b32_e32 v0, 0xffff, v3
	v_or_b32_e32 v1, 0x10000, v3
	s_delay_alu instid0(VALU_DEP_2) | instskip(NEXT) | instid1(VALU_DEP_1)
	v_cmp_eq_u32_e64 s0, 0, v0
	v_cndmask_b32_e64 v27, v1, v3, s0
	s_branch .LBB104_9
.LBB104_28:
	s_nop 0
	s_sendmsg sendmsg(MSG_DEALLOC_VGPRS)
	s_endpgm
	.section	.rodata,"a",@progbits
	.p2align	6, 0x0
	.amdhsa_kernel _ZN12tensorrt_llm7kernels32fusedQKNormRopeKernelNTokenHeadsIN3c108BFloat16ENS2_4HalfELi128ELb1ELi2EEEvPviiifPKvS7_S7_PKlii
		.amdhsa_group_segment_fixed_size 0
		.amdhsa_private_segment_fixed_size 0
		.amdhsa_kernarg_size 320
		.amdhsa_user_sgpr_count 15
		.amdhsa_user_sgpr_dispatch_ptr 0
		.amdhsa_user_sgpr_queue_ptr 0
		.amdhsa_user_sgpr_kernarg_segment_ptr 1
		.amdhsa_user_sgpr_dispatch_id 0
		.amdhsa_user_sgpr_private_segment_size 0
		.amdhsa_wavefront_size32 1
		.amdhsa_uses_dynamic_stack 0
		.amdhsa_enable_private_segment 0
		.amdhsa_system_sgpr_workgroup_id_x 1
		.amdhsa_system_sgpr_workgroup_id_y 0
		.amdhsa_system_sgpr_workgroup_id_z 0
		.amdhsa_system_sgpr_workgroup_info 0
		.amdhsa_system_vgpr_workitem_id 0
		.amdhsa_next_free_vgpr 31
		.amdhsa_next_free_sgpr 21
		.amdhsa_reserve_vcc 1
		.amdhsa_float_round_mode_32 0
		.amdhsa_float_round_mode_16_64 0
		.amdhsa_float_denorm_mode_32 3
		.amdhsa_float_denorm_mode_16_64 3
		.amdhsa_dx10_clamp 1
		.amdhsa_ieee_mode 1
		.amdhsa_fp16_overflow 0
		.amdhsa_workgroup_processor_mode 1
		.amdhsa_memory_ordered 1
		.amdhsa_forward_progress 0
		.amdhsa_shared_vgpr_count 0
		.amdhsa_exception_fp_ieee_invalid_op 0
		.amdhsa_exception_fp_denorm_src 0
		.amdhsa_exception_fp_ieee_div_zero 0
		.amdhsa_exception_fp_ieee_overflow 0
		.amdhsa_exception_fp_ieee_underflow 0
		.amdhsa_exception_fp_ieee_inexact 0
		.amdhsa_exception_int_div_zero 0
	.end_amdhsa_kernel
	.section	.text._ZN12tensorrt_llm7kernels32fusedQKNormRopeKernelNTokenHeadsIN3c108BFloat16ENS2_4HalfELi128ELb1ELi2EEEvPviiifPKvS7_S7_PKlii,"axG",@progbits,_ZN12tensorrt_llm7kernels32fusedQKNormRopeKernelNTokenHeadsIN3c108BFloat16ENS2_4HalfELi128ELb1ELi2EEEvPviiifPKvS7_S7_PKlii,comdat
.Lfunc_end104:
	.size	_ZN12tensorrt_llm7kernels32fusedQKNormRopeKernelNTokenHeadsIN3c108BFloat16ENS2_4HalfELi128ELb1ELi2EEEvPviiifPKvS7_S7_PKlii, .Lfunc_end104-_ZN12tensorrt_llm7kernels32fusedQKNormRopeKernelNTokenHeadsIN3c108BFloat16ENS2_4HalfELi128ELb1ELi2EEEvPviiifPKvS7_S7_PKlii
                                        ; -- End function
	.section	.AMDGPU.csdata,"",@progbits
; Kernel info:
; codeLenInByte = 2188
; NumSgprs: 23
; NumVgprs: 31
; ScratchSize: 0
; MemoryBound: 0
; FloatMode: 240
; IeeeMode: 1
; LDSByteSize: 0 bytes/workgroup (compile time only)
; SGPRBlocks: 2
; VGPRBlocks: 3
; NumSGPRsForWavesPerEU: 23
; NumVGPRsForWavesPerEU: 31
; Occupancy: 16
; WaveLimiterHint : 0
; COMPUTE_PGM_RSRC2:SCRATCH_EN: 0
; COMPUTE_PGM_RSRC2:USER_SGPR: 15
; COMPUTE_PGM_RSRC2:TRAP_HANDLER: 0
; COMPUTE_PGM_RSRC2:TGID_X_EN: 1
; COMPUTE_PGM_RSRC2:TGID_Y_EN: 0
; COMPUTE_PGM_RSRC2:TGID_Z_EN: 0
; COMPUTE_PGM_RSRC2:TIDIG_COMP_CNT: 0
	.section	.text._ZN12tensorrt_llm7kernels32fusedQKNormRopeKernelNTokenHeadsIN3c108BFloat16ENS2_4HalfELi128ELb0ELi2EEEvPviiifPKvS7_S7_PKlii,"axG",@progbits,_ZN12tensorrt_llm7kernels32fusedQKNormRopeKernelNTokenHeadsIN3c108BFloat16ENS2_4HalfELi128ELb0ELi2EEEvPviiifPKvS7_S7_PKlii,comdat
	.protected	_ZN12tensorrt_llm7kernels32fusedQKNormRopeKernelNTokenHeadsIN3c108BFloat16ENS2_4HalfELi128ELb0ELi2EEEvPviiifPKvS7_S7_PKlii ; -- Begin function _ZN12tensorrt_llm7kernels32fusedQKNormRopeKernelNTokenHeadsIN3c108BFloat16ENS2_4HalfELi128ELb0ELi2EEEvPviiifPKvS7_S7_PKlii
	.globl	_ZN12tensorrt_llm7kernels32fusedQKNormRopeKernelNTokenHeadsIN3c108BFloat16ENS2_4HalfELi128ELb0ELi2EEEvPviiifPKvS7_S7_PKlii
	.p2align	8
	.type	_ZN12tensorrt_llm7kernels32fusedQKNormRopeKernelNTokenHeadsIN3c108BFloat16ENS2_4HalfELi128ELb0ELi2EEEvPviiifPKvS7_S7_PKlii,@function
_ZN12tensorrt_llm7kernels32fusedQKNormRopeKernelNTokenHeadsIN3c108BFloat16ENS2_4HalfELi128ELb0ELi2EEEvPviiifPKvS7_S7_PKlii: ; @_ZN12tensorrt_llm7kernels32fusedQKNormRopeKernelNTokenHeadsIN3c108BFloat16ENS2_4HalfELi128ELb0ELi2EEEvPviiifPKvS7_S7_PKlii
; %bb.0:
	s_clause 0x1
	s_load_b128 s[16:19], s[0:1], 0x8
	s_load_b64 s[2:3], s[0:1], 0x38
	v_lshrrev_b32_e32 v2, 5, v0
	s_waitcnt lgkmcnt(0)
	s_add_i32 s4, s17, s16
	s_delay_alu instid0(SALU_CYCLE_1) | instskip(NEXT) | instid1(SALU_CYCLE_1)
	s_add_i32 s5, s4, 1
	s_lshr_b32 s6, s5, 31
	s_delay_alu instid0(SALU_CYCLE_1) | instskip(NEXT) | instid1(SALU_CYCLE_1)
	s_add_i32 s5, s5, s6
	s_ashr_i32 s14, s5, 1
	s_load_b32 s5, s[0:1], 0x4c
	s_abs_i32 s6, s14
	s_delay_alu instid0(SALU_CYCLE_1) | instskip(SKIP_1) | instid1(VALU_DEP_1)
	v_cvt_f32_u32_e32 v1, s6
	s_sub_i32 s7, 0, s6
	v_rcp_iflag_f32_e32 v1, v1
	s_waitcnt_depctr 0xfff
	v_mul_f32_e32 v1, 0x4f7ffffe, v1
	s_waitcnt lgkmcnt(0)
	s_bfe_u32 s5, s5, 0xb0005
	s_delay_alu instid0(SALU_CYCLE_1) | instskip(NEXT) | instid1(VALU_DEP_2)
	v_mad_u64_u32 v[3:4], null, s15, s5, v[2:3]
	v_cvt_u32_f32_e32 v1, v1
	s_delay_alu instid0(VALU_DEP_1) | instskip(NEXT) | instid1(VALU_DEP_1)
	v_mul_lo_u32 v5, s7, v1
	v_mul_hi_u32 v4, v1, v5
	s_delay_alu instid0(VALU_DEP_4) | instskip(NEXT) | instid1(VALU_DEP_1)
	v_sub_nc_u32_e32 v5, 0, v3
	v_max_i32_e32 v5, v3, v5
	s_delay_alu instid0(VALU_DEP_3) | instskip(NEXT) | instid1(VALU_DEP_1)
	v_add_nc_u32_e32 v1, v1, v4
	v_mul_hi_u32 v1, v5, v1
	s_delay_alu instid0(VALU_DEP_1) | instskip(NEXT) | instid1(VALU_DEP_1)
	v_mul_lo_u32 v4, v1, s6
	v_sub_nc_u32_e32 v4, v5, v4
	v_add_nc_u32_e32 v5, 1, v1
	s_delay_alu instid0(VALU_DEP_2) | instskip(SKIP_1) | instid1(VALU_DEP_2)
	v_subrev_nc_u32_e32 v6, s6, v4
	v_cmp_le_u32_e32 vcc_lo, s6, v4
	v_dual_cndmask_b32 v4, v4, v6 :: v_dual_cndmask_b32 v1, v1, v5
	v_xor_b32_e32 v5, s14, v3
	s_delay_alu instid0(VALU_DEP_2) | instskip(NEXT) | instid1(VALU_DEP_3)
	v_cmp_le_u32_e32 vcc_lo, s6, v4
	v_add_nc_u32_e32 v6, 1, v1
	s_delay_alu instid0(VALU_DEP_3) | instskip(NEXT) | instid1(VALU_DEP_2)
	v_ashrrev_i32_e32 v5, 31, v5
	v_cndmask_b32_e32 v1, v1, v6, vcc_lo
	s_delay_alu instid0(VALU_DEP_1) | instskip(NEXT) | instid1(VALU_DEP_1)
	v_xor_b32_e32 v1, v1, v5
	v_sub_nc_u32_e32 v1, v1, v5
	s_delay_alu instid0(VALU_DEP_1)
	v_cmp_gt_i32_e32 vcc_lo, s2, v1
	s_and_saveexec_b32 s2, vcc_lo
	s_cbranch_execz .LBB105_28
; %bb.1:
	v_mul_lo_u32 v4, v1, s14
	s_load_b64 s[12:13], s[0:1], 0x0
	v_and_b32_e32 v8, 31, v0
	v_lshlrev_b32_e32 v12, 9, v2
	v_lshlrev_b32_e32 v9, 8, v3
	s_lshl_b32 s20, s3, 1
	s_delay_alu instid0(VALU_DEP_3) | instskip(SKIP_2) | instid1(VALU_DEP_1)
	v_lshlrev_b32_e32 v0, 3, v8
	v_sub_nc_u32_e32 v4, v3, v4
	s_mul_i32 s15, s20, s5
	v_lshlrev_b32_e32 v10, 1, v4
	s_delay_alu instid0(VALU_DEP_1) | instskip(SKIP_1) | instid1(VALU_DEP_2)
	v_add_nc_u32_e32 v4, 2, v10
	v_sub_nc_u32_e32 v5, s4, v10
	v_cmp_lt_i32_e32 vcc_lo, s4, v4
	s_delay_alu instid0(VALU_DEP_2) | instskip(NEXT) | instid1(VALU_DEP_1)
	v_cndmask_b32_e32 v11, 2, v5, vcc_lo
	v_cmp_lt_i32_e32 vcc_lo, 0, v11
	s_and_saveexec_b32 s4, vcc_lo
	s_cbranch_execz .LBB105_4
; %bb.2:
	s_add_i32 s2, s18, s17
	s_lshl_b32 s5, s14, 1
	s_add_i32 s2, s2, s16
	s_mov_b32 s6, 0
	s_sub_i32 s2, s2, s5
	s_mov_b32 s5, 0
	v_mul_lo_u32 v3, s2, v1
	s_add_i32 s2, s15, 0
	s_delay_alu instid0(SALU_CYCLE_1) | instskip(NEXT) | instid1(VALU_DEP_2)
	v_add3_u32 v5, s2, v12, v0
	v_lshl_add_u32 v3, v3, 7, v9
	s_delay_alu instid0(VALU_DEP_1)
	v_lshl_or_b32 v3, v8, 2, v3
	.p2align	6
.LBB105_3:                              ; =>This Inner Loop Header: Depth=1
	s_delay_alu instid0(VALU_DEP_1) | instskip(SKIP_1) | instid1(VALU_DEP_1)
	v_ashrrev_i32_e32 v4, 31, v3
	s_add_i32 s6, s6, 1
	v_lshlrev_b64 v[6:7], 1, v[3:4]
	v_add_nc_u32_e32 v3, 0x80, v3
	s_waitcnt lgkmcnt(0)
	s_delay_alu instid0(VALU_DEP_2) | instskip(NEXT) | instid1(VALU_DEP_1)
	v_add_co_u32 v6, s2, s12, v6
	v_add_co_ci_u32_e64 v7, s2, s13, v7, s2
	v_cmp_ge_i32_e64 s2, s6, v11
	global_load_b64 v[6:7], v[6:7], off
	s_or_b32 s5, s2, s5
	s_waitcnt vmcnt(0)
	ds_store_b64 v5, v[6:7]
	v_add_nc_u32_e32 v5, 0x100, v5
	s_and_not1_b32 exec_lo, exec_lo, s5
	s_cbranch_execnz .LBB105_3
.LBB105_4:
	s_or_b32 exec_lo, exec_lo, s4
	s_load_b256 s[4:11], s[0:1], 0x18
	s_add_i32 s0, s20, 15
	v_mul_lo_u32 v13, v2, s3
	s_ashr_i32 s1, s0, 31
	s_mov_b32 s20, exec_lo
	s_lshr_b32 s1, s1, 28
	s_delay_alu instid0(SALU_CYCLE_1) | instskip(NEXT) | instid1(SALU_CYCLE_1)
	s_add_i32 s0, s0, s1
	s_ashr_i32 s2, s0, 4
	s_delay_alu instid0(SALU_CYCLE_1)
	v_cmpx_gt_i32_e64 s2, v8
	s_cbranch_execz .LBB105_7
; %bb.5:
	v_ashrrev_i32_e32 v2, 31, v1
	s_delay_alu instid0(VALU_DEP_1) | instskip(SKIP_1) | instid1(VALU_DEP_1)
	v_lshlrev_b64 v[2:3], 3, v[1:2]
	s_waitcnt lgkmcnt(0)
	v_add_co_u32 v2, s0, s10, v2
	s_delay_alu instid0(VALU_DEP_1)
	v_add_co_ci_u32_e64 v3, s0, s11, v3, s0
	s_ashr_i32 s0, s3, 31
	global_load_b64 v[2:3], v[2:3], off
	s_waitcnt vmcnt(0)
	v_mul_lo_u32 v5, v3, s3
	v_mul_lo_u32 v6, v2, s0
	v_mad_u64_u32 v[3:4], null, v2, s3, 0
	s_delay_alu instid0(VALU_DEP_1) | instskip(SKIP_1) | instid1(VALU_DEP_2)
	v_add3_u32 v4, v4, v6, v5
	v_lshlrev_b32_e32 v5, 1, v13
	v_lshlrev_b64 v[2:3], 1, v[3:4]
	v_lshlrev_b32_e32 v4, 4, v8
	s_delay_alu instid0(VALU_DEP_1) | instskip(NEXT) | instid1(VALU_DEP_1)
	v_add_co_u32 v2, s0, v2, v4
	v_add_co_ci_u32_e64 v3, s0, 0, v3, s0
	v_add3_u32 v4, v5, v4, 0
	v_mov_b32_e32 v5, v8
	s_delay_alu instid0(VALU_DEP_4) | instskip(NEXT) | instid1(VALU_DEP_1)
	v_add_co_u32 v2, s0, s8, v2
	v_add_co_ci_u32_e64 v3, s0, s9, v3, s0
	s_mov_b32 s8, 0
	.p2align	6
.LBB105_6:                              ; =>This Inner Loop Header: Depth=1
	global_load_b128 v[14:17], v[2:3], off
	v_add_nc_u32_e32 v5, 32, v5
	v_add_co_u32 v2, s0, 0x200, v2
	s_delay_alu instid0(VALU_DEP_1) | instskip(NEXT) | instid1(VALU_DEP_3)
	v_add_co_ci_u32_e64 v3, s0, 0, v3, s0
	v_cmp_le_i32_e64 s1, s2, v5
	s_delay_alu instid0(VALU_DEP_1)
	s_or_b32 s8, s1, s8
	s_waitcnt vmcnt(0)
	ds_store_b128 v4, v[14:17]
	v_add_nc_u32_e32 v4, 0x200, v4
	s_and_not1_b32 exec_lo, exec_lo, s8
	s_cbranch_execnz .LBB105_6
.LBB105_7:
	s_or_b32 exec_lo, exec_lo, s20
	s_delay_alu instid0(SALU_CYCLE_1)
	s_and_b32 exec_lo, exec_lo, vcc_lo
	s_cbranch_execz .LBB105_28
; %bb.8:
	s_waitcnt lgkmcnt(0)
	s_clause 0x1
	global_load_b64 v[4:5], v0, s[4:5]
	global_load_b64 v[6:7], v0, s[6:7]
	s_abs_i32 s2, s3
	s_lshr_b32 s0, s3, 31
	v_cvt_f32_u32_e32 v2, s2
	s_add_i32 s0, s3, s0
	v_lshl_add_u32 v3, v13, 1, 0
	s_and_b32 s0, s0, -2
	v_mbcnt_lo_u32_b32 v13, -1, 0
	v_rcp_iflag_f32_e32 v2, v2
	s_ashr_i32 s1, s3, 31
	v_add_nc_u32_e32 v30, s15, v12
	s_lshr_b32 s6, s1, 30
	s_lshr_b32 s1, s1, 29
	v_xor_b32_e32 v12, 16, v13
	s_add_i32 s6, s3, s6
	s_add_i32 s1, s3, s1
	s_sub_i32 s7, 0, s2
	s_waitcnt_depctr 0xfff
	v_dual_mul_f32 v2, 0x4f7ffffe, v2 :: v_dual_add_nc_u32 v25, s0, v3
	s_ashr_i32 s0, s6, 2
	s_ashr_i32 s1, s1, 3
	v_xor_b32_e32 v14, 8, v13
	v_cmp_gt_i32_e32 vcc_lo, s0, v8
	v_cvt_u32_f32_e32 v2, v2
	v_xor_b32_e32 v22, s1, v13
	v_cmp_gt_i32_e64 s0, s1, v8
	v_cmp_gt_i32_e64 s1, 32, v12
	v_xor_b32_e32 v19, 4, v13
	v_mul_lo_u32 v15, s7, v2
	v_xor_b32_e32 v20, 2, v13
	s_add_i32 s4, s18, s17
	v_cndmask_b32_e64 v12, v13, v12, s1
	v_cmp_gt_i32_e64 s1, 32, v14
	s_lshl_b32 s5, s14, 1
	s_add_i32 s4, s4, s16
	v_or_b32_e32 v16, 2, v0
	v_mul_hi_u32 v15, v2, v15
	v_cndmask_b32_e64 v14, v13, v14, s1
	v_cmp_gt_i32_e64 s1, 32, v19
	s_sub_i32 s3, s4, s5
	v_or_b32_e32 v17, 4, v0
	v_or_b32_e32 v18, 6, v0
	v_mul_lo_u32 v1, s3, v1
	v_xor_b32_e32 v21, 1, v13
	v_add_nc_u32_e32 v2, v2, v15
	v_cndmask_b32_e64 v15, v13, v19, s1
	v_cmp_gt_i32_e64 s1, 32, v20
	v_lshlrev_b32_e32 v12, 2, v12
	v_add3_u32 v30, v30, v0, 0
	v_mul_hi_u32 v23, v16, v2
	v_mul_hi_u32 v24, v17, v2
	v_cndmask_b32_e64 v19, v13, v20, s1
	v_mul_hi_u32 v20, v0, v2
	v_mul_hi_u32 v2, v18, v2
	v_lshl_add_u32 v1, v1, 7, v9
	v_cmp_gt_i32_e64 s1, 32, v21
	s_mov_b32 s3, 0
	s_mov_b32 s4, 0
	s_delay_alu instid0(VALU_DEP_2)
	v_lshl_or_b32 v8, v8, 2, v1
	v_mul_lo_u32 v9, v20, s2
	v_mul_lo_u32 v20, v23, s2
	;; [unrolled: 1-line block ×3, first 2 shown]
	v_cndmask_b32_e64 v21, v13, v21, s1
	v_cmp_gt_i32_e64 s1, 32, v22
	v_mul_lo_u32 v23, v24, s2
	v_sub_nc_u32_e32 v9, v0, v9
	s_delay_alu instid0(VALU_DEP_3)
	v_cndmask_b32_e64 v22, v13, v22, s1
	v_lshlrev_b32_e32 v13, 2, v14
	v_lshlrev_b32_e32 v14, 2, v15
	;; [unrolled: 1-line block ×3, first 2 shown]
	v_sub_nc_u32_e32 v19, v16, v20
	v_sub_nc_u32_e32 v2, v18, v2
	v_subrev_nc_u32_e32 v18, s2, v9
	v_cmp_le_u32_e64 s1, s2, v9
	v_sub_nc_u32_e32 v17, v17, v23
	v_subrev_nc_u32_e32 v20, s2, v19
	v_lshlrev_b32_e32 v16, 2, v21
	v_subrev_nc_u32_e32 v23, s2, v2
	v_cndmask_b32_e64 v9, v9, v18, s1
	v_cmp_le_u32_e64 s1, s2, v19
	v_subrev_nc_u32_e32 v21, s2, v17
	s_delay_alu instid0(VALU_DEP_2) | instskip(SKIP_2) | instid1(VALU_DEP_2)
	v_cndmask_b32_e64 v18, v19, v20, s1
	v_cmp_le_u32_e64 s1, s2, v17
	v_subrev_nc_u32_e32 v20, s2, v9
	v_cndmask_b32_e64 v19, v17, v21, s1
	v_cmp_le_u32_e64 s1, s2, v2
	v_subrev_nc_u32_e32 v21, s2, v18
	v_lshlrev_b32_e32 v17, 2, v22
	s_delay_alu instid0(VALU_DEP_4) | instskip(NEXT) | instid1(VALU_DEP_4)
	v_subrev_nc_u32_e32 v22, s2, v19
	v_cndmask_b32_e64 v2, v2, v23, s1
	v_cmp_le_u32_e64 s1, s2, v9
	s_delay_alu instid0(VALU_DEP_2) | instskip(NEXT) | instid1(VALU_DEP_2)
	v_subrev_nc_u32_e32 v23, s2, v2
	v_cndmask_b32_e64 v9, v9, v20, s1
	v_cmp_le_u32_e64 s1, s2, v18
	s_delay_alu instid0(VALU_DEP_2) | instskip(NEXT) | instid1(VALU_DEP_2)
	v_and_b32_e32 v9, -2, v9
	v_cndmask_b32_e64 v18, v18, v21, s1
	v_cmp_le_u32_e64 s1, s2, v19
	s_delay_alu instid0(VALU_DEP_2) | instskip(NEXT) | instid1(VALU_DEP_2)
	v_and_b32_e32 v1, -2, v18
	v_cndmask_b32_e64 v19, v19, v22, s1
	v_cmp_le_u32_e64 s1, s2, v2
	v_add_nc_u32_e32 v18, v3, v9
	s_delay_alu instid0(VALU_DEP_4) | instskip(SKIP_1) | instid1(VALU_DEP_4)
	v_add_nc_u32_e32 v20, v3, v1
	v_add_nc_u32_e32 v21, v25, v1
	v_cndmask_b32_e64 v2, v2, v23, s1
	v_and_b32_e32 v23, -2, v19
	v_add_nc_u32_e32 v19, v25, v9
	s_delay_alu instid0(VALU_DEP_3) | instskip(NEXT) | instid1(VALU_DEP_3)
	v_and_b32_e32 v2, -2, v2
	v_add_nc_u32_e32 v22, v3, v23
	v_add_nc_u32_e32 v23, v25, v23
	s_delay_alu instid0(VALU_DEP_3)
	v_add_nc_u32_e32 v24, v3, v2
	v_add_nc_u32_e32 v25, v25, v2
	s_waitcnt vmcnt(1)
	v_lshrrev_b32_e32 v26, 16, v4
	v_lshrrev_b32_e32 v27, 16, v5
	s_waitcnt vmcnt(0)
	v_lshrrev_b32_e32 v28, 16, v6
	v_lshrrev_b32_e32 v29, 16, v7
	s_branch .LBB105_10
.LBB105_9:                              ;   in Loop: Header=BB105_10 Depth=1
	s_or_b32 exec_lo, exec_lo, s2
	v_ashrrev_i32_e32 v9, 31, v8
	v_lshrrev_b32_e32 v2, 16, v33
	v_and_b32_e32 v3, 0xffff0000, v34
	s_add_i32 s4, s4, 1
	v_add_nc_u32_e32 v30, 0x100, v30
	v_lshlrev_b64 v[0:1], 1, v[8:9]
	v_lshrrev_b32_e32 v9, 16, v31
	v_cmp_ge_i32_e64 s1, s4, v11
	v_or_b32_e32 v2, v3, v2
	v_add_nc_u32_e32 v8, 0x80, v8
	v_add_co_u32 v33, s2, s12, v0
	s_delay_alu instid0(VALU_DEP_1)
	v_add_co_ci_u32_e64 v34, s2, s13, v1, s2
	v_and_or_b32 v1, 0xffff0000, v32, v9
	s_or_b32 s3, s1, s3
	global_store_b64 v[33:34], v[1:2], off
	s_and_not1_b32 exec_lo, exec_lo, s3
	s_cbranch_execz .LBB105_28
.LBB105_10:                             ; =>This Inner Loop Header: Depth=1
	ds_load_b64 v[0:1], v30
	s_waitcnt lgkmcnt(0)
	v_and_b32_e32 v3, 0xffff0000, v0
	v_lshlrev_b32_e32 v2, 16, v0
	v_alignbit_b32 v0, v1, v0, 16
	v_and_b32_e32 v31, 0xffff0000, v1
	s_delay_alu instid0(VALU_DEP_2) | instskip(NEXT) | instid1(VALU_DEP_1)
	v_dual_mul_f32 v9, v3, v3 :: v_dual_and_b32 v0, 0xffff0000, v0
	v_fmac_f32_e32 v9, v2, v2
	s_delay_alu instid0(VALU_DEP_1) | instskip(NEXT) | instid1(VALU_DEP_1)
	v_fmac_f32_e32 v9, v0, v0
	v_fmac_f32_e32 v9, v31, v31
	ds_bpermute_b32 v1, v12, v9
	s_waitcnt lgkmcnt(0)
	v_add_f32_e32 v1, v9, v1
	ds_bpermute_b32 v9, v13, v1
	s_waitcnt lgkmcnt(0)
	v_add_f32_e32 v1, v1, v9
	;; [unrolled: 3-line block ×5, first 2 shown]
	s_delay_alu instid0(VALU_DEP_1) | instskip(NEXT) | instid1(VALU_DEP_1)
	v_fma_f32 v1, 0x3c000000, v1, s19
	v_mul_f32_e32 v9, 0x4b800000, v1
	v_cmp_gt_f32_e64 s1, 0x800000, v1
	s_delay_alu instid0(VALU_DEP_1) | instskip(SKIP_1) | instid1(VALU_DEP_2)
	v_cndmask_b32_e64 v1, v1, v9, s1
	v_add_nc_u32_e32 v9, s4, v10
	v_rsq_f32_e32 v1, v1
	s_delay_alu instid0(VALU_DEP_1) | instskip(NEXT) | instid1(VALU_DEP_1)
	v_cmp_gt_i32_e64 s2, s16, v9
	v_cndmask_b32_e64 v9, v6, v4, s2
	v_cndmask_b32_e64 v33, v28, v26, s2
	;; [unrolled: 1-line block ×4, first 2 shown]
	s_waitcnt_depctr 0xfff
	v_mul_f32_e32 v32, 0x45800000, v1
	v_lshlrev_b32_e32 v9, 16, v9
	s_delay_alu instid0(VALU_DEP_2) | instskip(SKIP_2) | instid1(VALU_DEP_3)
	v_cndmask_b32_e64 v1, v1, v32, s1
	v_lshlrev_b32_e32 v32, 16, v33
	v_lshlrev_b32_e32 v33, 16, v34
	v_dual_mul_f32 v9, v1, v9 :: v_dual_lshlrev_b32 v34, 16, v35
	s_delay_alu instid0(VALU_DEP_3) | instskip(NEXT) | instid1(VALU_DEP_3)
	v_mul_f32_e32 v32, v1, v32
	v_mul_f32_e32 v33, v1, v33
	s_delay_alu instid0(VALU_DEP_3) | instskip(NEXT) | instid1(VALU_DEP_3)
	v_mul_f32_e32 v34, v1, v34
	v_dual_mul_f32 v2, v9, v2 :: v_dual_mul_f32 v1, v32, v3
	s_delay_alu instid0(VALU_DEP_2)
	v_dual_mul_f32 v0, v33, v0 :: v_dual_mul_f32 v3, v34, v31
	s_and_saveexec_b32 s1, vcc_lo
	s_cbranch_execz .LBB105_12
; %bb.11:                               ;   in Loop: Header=BB105_10 Depth=1
	; wave barrier
	ds_bpermute_b32 v9, v17, v2
	ds_load_u16 v31, v19
	ds_load_u16 v33, v21
	;; [unrolled: 1-line block ×3, first 2 shown]
	ds_bpermute_b32 v32, v17, v1
	ds_bpermute_b32 v34, v17, v0
	;; [unrolled: 1-line block ×3, first 2 shown]
	ds_load_u16 v37, v25
	ds_load_u16 v38, v18
	;; [unrolled: 1-line block ×5, first 2 shown]
	; wave barrier
	s_waitcnt lgkmcnt(11)
	v_cndmask_b32_e64 v9, v9, -v9, s0
	s_waitcnt lgkmcnt(10)
	v_cvt_f32_f16_e32 v31, v31
	s_waitcnt lgkmcnt(9)
	v_cvt_f32_f16_e32 v33, v33
	;; [unrolled: 2-line block ×3, first 2 shown]
	s_waitcnt lgkmcnt(7)
	v_cndmask_b32_e64 v32, v32, -v32, s0
	s_waitcnt lgkmcnt(6)
	v_cndmask_b32_e64 v34, v34, -v34, s0
	;; [unrolled: 2-line block ×3, first 2 shown]
	s_waitcnt lgkmcnt(4)
	v_cvt_f32_f16_e32 v37, v37
	v_mul_f32_e32 v9, v9, v31
	v_dual_mul_f32 v31, v32, v33 :: v_dual_mul_f32 v32, v34, v35
	s_delay_alu instid0(VALU_DEP_3) | instskip(SKIP_1) | instid1(VALU_DEP_3)
	v_mul_f32_e32 v33, v36, v37
	s_waitcnt lgkmcnt(3)
	v_fma_mix_f32 v2, v2, v38, v9 op_sel_hi:[0,1,0]
	s_waitcnt lgkmcnt(2)
	v_fma_mix_f32 v1, v1, v39, v31 op_sel_hi:[0,1,0]
	;; [unrolled: 2-line block ×4, first 2 shown]
.LBB105_12:                             ;   in Loop: Header=BB105_10 Depth=1
	s_or_b32 exec_lo, exec_lo, s1
	v_and_b32_e32 v9, 0x7f800000, v2
                                        ; implicit-def: $vgpr31
	s_delay_alu instid0(VALU_DEP_1) | instskip(NEXT) | instid1(VALU_DEP_1)
	v_cmp_ne_u32_e64 s1, 0x7f800000, v9
	s_and_saveexec_b32 s2, s1
	s_delay_alu instid0(SALU_CYCLE_1)
	s_xor_b32 s1, exec_lo, s2
; %bb.13:                               ;   in Loop: Header=BB105_10 Depth=1
	v_bfe_u32 v9, v2, 16, 1
	s_delay_alu instid0(VALU_DEP_1)
	v_add3_u32 v31, v2, v9, 0x7fff
; %bb.14:                               ;   in Loop: Header=BB105_10 Depth=1
	s_and_not1_saveexec_b32 s2, s1
; %bb.15:                               ;   in Loop: Header=BB105_10 Depth=1
	v_and_b32_e32 v9, 0xffff, v2
	v_or_b32_e32 v31, 0x10000, v2
	s_delay_alu instid0(VALU_DEP_2) | instskip(NEXT) | instid1(VALU_DEP_1)
	v_cmp_eq_u32_e64 s1, 0, v9
	v_cndmask_b32_e64 v31, v31, v2, s1
; %bb.16:                               ;   in Loop: Header=BB105_10 Depth=1
	s_or_b32 exec_lo, exec_lo, s2
	v_and_b32_e32 v2, 0x7f800000, v1
                                        ; implicit-def: $vgpr32
	s_delay_alu instid0(VALU_DEP_1) | instskip(NEXT) | instid1(VALU_DEP_1)
	v_cmp_ne_u32_e64 s1, 0x7f800000, v2
	s_and_saveexec_b32 s2, s1
	s_delay_alu instid0(SALU_CYCLE_1)
	s_xor_b32 s1, exec_lo, s2
; %bb.17:                               ;   in Loop: Header=BB105_10 Depth=1
	v_bfe_u32 v2, v1, 16, 1
	s_delay_alu instid0(VALU_DEP_1)
	v_add3_u32 v32, v1, v2, 0x7fff
; %bb.18:                               ;   in Loop: Header=BB105_10 Depth=1
	s_and_not1_saveexec_b32 s2, s1
; %bb.19:                               ;   in Loop: Header=BB105_10 Depth=1
	v_and_b32_e32 v2, 0xffff, v1
	v_or_b32_e32 v9, 0x10000, v1
	s_delay_alu instid0(VALU_DEP_2) | instskip(NEXT) | instid1(VALU_DEP_1)
	v_cmp_eq_u32_e64 s1, 0, v2
	v_cndmask_b32_e64 v32, v9, v1, s1
; %bb.20:                               ;   in Loop: Header=BB105_10 Depth=1
	s_or_b32 exec_lo, exec_lo, s2
	v_and_b32_e32 v1, 0x7f800000, v0
                                        ; implicit-def: $vgpr33
	s_delay_alu instid0(VALU_DEP_1) | instskip(NEXT) | instid1(VALU_DEP_1)
	v_cmp_ne_u32_e64 s1, 0x7f800000, v1
	s_and_saveexec_b32 s2, s1
	s_delay_alu instid0(SALU_CYCLE_1)
	s_xor_b32 s1, exec_lo, s2
; %bb.21:                               ;   in Loop: Header=BB105_10 Depth=1
	v_bfe_u32 v1, v0, 16, 1
	s_delay_alu instid0(VALU_DEP_1)
	v_add3_u32 v33, v0, v1, 0x7fff
; %bb.22:                               ;   in Loop: Header=BB105_10 Depth=1
	s_and_not1_saveexec_b32 s2, s1
; %bb.23:                               ;   in Loop: Header=BB105_10 Depth=1
	v_and_b32_e32 v1, 0xffff, v0
	v_or_b32_e32 v2, 0x10000, v0
	s_delay_alu instid0(VALU_DEP_2) | instskip(NEXT) | instid1(VALU_DEP_1)
	v_cmp_eq_u32_e64 s1, 0, v1
	v_cndmask_b32_e64 v33, v2, v0, s1
; %bb.24:                               ;   in Loop: Header=BB105_10 Depth=1
	s_or_b32 exec_lo, exec_lo, s2
	v_and_b32_e32 v0, 0x7f800000, v3
                                        ; implicit-def: $vgpr34
	s_delay_alu instid0(VALU_DEP_1) | instskip(NEXT) | instid1(VALU_DEP_1)
	v_cmp_ne_u32_e64 s1, 0x7f800000, v0
	s_and_saveexec_b32 s2, s1
	s_delay_alu instid0(SALU_CYCLE_1)
	s_xor_b32 s1, exec_lo, s2
; %bb.25:                               ;   in Loop: Header=BB105_10 Depth=1
	v_bfe_u32 v0, v3, 16, 1
	s_delay_alu instid0(VALU_DEP_1)
	v_add3_u32 v34, v3, v0, 0x7fff
                                        ; implicit-def: $vgpr0_vgpr1_vgpr2_vgpr3
; %bb.26:                               ;   in Loop: Header=BB105_10 Depth=1
	s_and_not1_saveexec_b32 s2, s1
	s_cbranch_execz .LBB105_9
; %bb.27:                               ;   in Loop: Header=BB105_10 Depth=1
	v_and_b32_e32 v0, 0xffff, v3
	v_or_b32_e32 v1, 0x10000, v3
	s_delay_alu instid0(VALU_DEP_2) | instskip(NEXT) | instid1(VALU_DEP_1)
	v_cmp_eq_u32_e64 s1, 0, v0
	v_cndmask_b32_e64 v34, v1, v3, s1
	s_branch .LBB105_9
.LBB105_28:
	s_nop 0
	s_sendmsg sendmsg(MSG_DEALLOC_VGPRS)
	s_endpgm
	.section	.rodata,"a",@progbits
	.p2align	6, 0x0
	.amdhsa_kernel _ZN12tensorrt_llm7kernels32fusedQKNormRopeKernelNTokenHeadsIN3c108BFloat16ENS2_4HalfELi128ELb0ELi2EEEvPviiifPKvS7_S7_PKlii
		.amdhsa_group_segment_fixed_size 0
		.amdhsa_private_segment_fixed_size 0
		.amdhsa_kernarg_size 320
		.amdhsa_user_sgpr_count 15
		.amdhsa_user_sgpr_dispatch_ptr 0
		.amdhsa_user_sgpr_queue_ptr 0
		.amdhsa_user_sgpr_kernarg_segment_ptr 1
		.amdhsa_user_sgpr_dispatch_id 0
		.amdhsa_user_sgpr_private_segment_size 0
		.amdhsa_wavefront_size32 1
		.amdhsa_uses_dynamic_stack 0
		.amdhsa_enable_private_segment 0
		.amdhsa_system_sgpr_workgroup_id_x 1
		.amdhsa_system_sgpr_workgroup_id_y 0
		.amdhsa_system_sgpr_workgroup_id_z 0
		.amdhsa_system_sgpr_workgroup_info 0
		.amdhsa_system_vgpr_workitem_id 0
		.amdhsa_next_free_vgpr 42
		.amdhsa_next_free_sgpr 21
		.amdhsa_reserve_vcc 1
		.amdhsa_float_round_mode_32 0
		.amdhsa_float_round_mode_16_64 0
		.amdhsa_float_denorm_mode_32 3
		.amdhsa_float_denorm_mode_16_64 3
		.amdhsa_dx10_clamp 1
		.amdhsa_ieee_mode 1
		.amdhsa_fp16_overflow 0
		.amdhsa_workgroup_processor_mode 1
		.amdhsa_memory_ordered 1
		.amdhsa_forward_progress 0
		.amdhsa_shared_vgpr_count 0
		.amdhsa_exception_fp_ieee_invalid_op 0
		.amdhsa_exception_fp_denorm_src 0
		.amdhsa_exception_fp_ieee_div_zero 0
		.amdhsa_exception_fp_ieee_overflow 0
		.amdhsa_exception_fp_ieee_underflow 0
		.amdhsa_exception_fp_ieee_inexact 0
		.amdhsa_exception_int_div_zero 0
	.end_amdhsa_kernel
	.section	.text._ZN12tensorrt_llm7kernels32fusedQKNormRopeKernelNTokenHeadsIN3c108BFloat16ENS2_4HalfELi128ELb0ELi2EEEvPviiifPKvS7_S7_PKlii,"axG",@progbits,_ZN12tensorrt_llm7kernels32fusedQKNormRopeKernelNTokenHeadsIN3c108BFloat16ENS2_4HalfELi128ELb0ELi2EEEvPviiifPKvS7_S7_PKlii,comdat
.Lfunc_end105:
	.size	_ZN12tensorrt_llm7kernels32fusedQKNormRopeKernelNTokenHeadsIN3c108BFloat16ENS2_4HalfELi128ELb0ELi2EEEvPviiifPKvS7_S7_PKlii, .Lfunc_end105-_ZN12tensorrt_llm7kernels32fusedQKNormRopeKernelNTokenHeadsIN3c108BFloat16ENS2_4HalfELi128ELb0ELi2EEEvPviiifPKvS7_S7_PKlii
                                        ; -- End function
	.section	.AMDGPU.csdata,"",@progbits
; Kernel info:
; codeLenInByte = 2708
; NumSgprs: 23
; NumVgprs: 42
; ScratchSize: 0
; MemoryBound: 0
; FloatMode: 240
; IeeeMode: 1
; LDSByteSize: 0 bytes/workgroup (compile time only)
; SGPRBlocks: 2
; VGPRBlocks: 5
; NumSGPRsForWavesPerEU: 23
; NumVGPRsForWavesPerEU: 42
; Occupancy: 16
; WaveLimiterHint : 0
; COMPUTE_PGM_RSRC2:SCRATCH_EN: 0
; COMPUTE_PGM_RSRC2:USER_SGPR: 15
; COMPUTE_PGM_RSRC2:TRAP_HANDLER: 0
; COMPUTE_PGM_RSRC2:TGID_X_EN: 1
; COMPUTE_PGM_RSRC2:TGID_Y_EN: 0
; COMPUTE_PGM_RSRC2:TGID_Z_EN: 0
; COMPUTE_PGM_RSRC2:TIDIG_COMP_CNT: 0
	.section	.text._ZN12tensorrt_llm7kernels32fusedQKNormRopeKernelNTokenHeadsIN3c108BFloat16ENS2_4HalfELi256ELb1ELi2EEEvPviiifPKvS7_S7_PKlii,"axG",@progbits,_ZN12tensorrt_llm7kernels32fusedQKNormRopeKernelNTokenHeadsIN3c108BFloat16ENS2_4HalfELi256ELb1ELi2EEEvPviiifPKvS7_S7_PKlii,comdat
	.protected	_ZN12tensorrt_llm7kernels32fusedQKNormRopeKernelNTokenHeadsIN3c108BFloat16ENS2_4HalfELi256ELb1ELi2EEEvPviiifPKvS7_S7_PKlii ; -- Begin function _ZN12tensorrt_llm7kernels32fusedQKNormRopeKernelNTokenHeadsIN3c108BFloat16ENS2_4HalfELi256ELb1ELi2EEEvPviiifPKvS7_S7_PKlii
	.globl	_ZN12tensorrt_llm7kernels32fusedQKNormRopeKernelNTokenHeadsIN3c108BFloat16ENS2_4HalfELi256ELb1ELi2EEEvPviiifPKvS7_S7_PKlii
	.p2align	8
	.type	_ZN12tensorrt_llm7kernels32fusedQKNormRopeKernelNTokenHeadsIN3c108BFloat16ENS2_4HalfELi256ELb1ELi2EEEvPviiifPKvS7_S7_PKlii,@function
_ZN12tensorrt_llm7kernels32fusedQKNormRopeKernelNTokenHeadsIN3c108BFloat16ENS2_4HalfELi256ELb1ELi2EEEvPviiifPKvS7_S7_PKlii: ; @_ZN12tensorrt_llm7kernels32fusedQKNormRopeKernelNTokenHeadsIN3c108BFloat16ENS2_4HalfELi256ELb1ELi2EEEvPviiifPKvS7_S7_PKlii
; %bb.0:
	s_clause 0x1
	s_load_b128 s[16:19], s[0:1], 0x8
	s_load_b64 s[2:3], s[0:1], 0x38
	v_lshrrev_b32_e32 v2, 5, v0
	s_waitcnt lgkmcnt(0)
	s_add_i32 s4, s17, s16
	s_delay_alu instid0(SALU_CYCLE_1) | instskip(NEXT) | instid1(SALU_CYCLE_1)
	s_add_i32 s5, s4, 1
	s_lshr_b32 s6, s5, 31
	s_delay_alu instid0(SALU_CYCLE_1) | instskip(NEXT) | instid1(SALU_CYCLE_1)
	s_add_i32 s5, s5, s6
	s_ashr_i32 s14, s5, 1
	s_load_b32 s5, s[0:1], 0x4c
	s_abs_i32 s6, s14
	s_delay_alu instid0(SALU_CYCLE_1) | instskip(SKIP_1) | instid1(VALU_DEP_1)
	v_cvt_f32_u32_e32 v1, s6
	s_sub_i32 s7, 0, s6
	v_rcp_iflag_f32_e32 v1, v1
	s_waitcnt_depctr 0xfff
	v_mul_f32_e32 v1, 0x4f7ffffe, v1
	s_waitcnt lgkmcnt(0)
	s_bfe_u32 s5, s5, 0xb0005
	s_delay_alu instid0(SALU_CYCLE_1) | instskip(NEXT) | instid1(VALU_DEP_2)
	v_mad_u64_u32 v[3:4], null, s15, s5, v[2:3]
	v_cvt_u32_f32_e32 v1, v1
	s_delay_alu instid0(VALU_DEP_1) | instskip(NEXT) | instid1(VALU_DEP_1)
	v_mul_lo_u32 v5, s7, v1
	v_mul_hi_u32 v4, v1, v5
	s_delay_alu instid0(VALU_DEP_4) | instskip(NEXT) | instid1(VALU_DEP_1)
	v_sub_nc_u32_e32 v5, 0, v3
	v_max_i32_e32 v5, v3, v5
	s_delay_alu instid0(VALU_DEP_3) | instskip(NEXT) | instid1(VALU_DEP_1)
	v_add_nc_u32_e32 v1, v1, v4
	v_mul_hi_u32 v1, v5, v1
	s_delay_alu instid0(VALU_DEP_1) | instskip(NEXT) | instid1(VALU_DEP_1)
	v_mul_lo_u32 v4, v1, s6
	v_sub_nc_u32_e32 v4, v5, v4
	v_add_nc_u32_e32 v5, 1, v1
	s_delay_alu instid0(VALU_DEP_2) | instskip(SKIP_1) | instid1(VALU_DEP_2)
	v_subrev_nc_u32_e32 v6, s6, v4
	v_cmp_le_u32_e32 vcc_lo, s6, v4
	v_dual_cndmask_b32 v4, v4, v6 :: v_dual_cndmask_b32 v1, v1, v5
	v_xor_b32_e32 v5, s14, v3
	s_delay_alu instid0(VALU_DEP_2) | instskip(NEXT) | instid1(VALU_DEP_3)
	v_cmp_le_u32_e32 vcc_lo, s6, v4
	v_add_nc_u32_e32 v6, 1, v1
	s_delay_alu instid0(VALU_DEP_3) | instskip(NEXT) | instid1(VALU_DEP_2)
	v_ashrrev_i32_e32 v5, 31, v5
	v_cndmask_b32_e32 v1, v1, v6, vcc_lo
	s_delay_alu instid0(VALU_DEP_1) | instskip(NEXT) | instid1(VALU_DEP_1)
	v_xor_b32_e32 v1, v1, v5
	v_sub_nc_u32_e32 v1, v1, v5
	s_delay_alu instid0(VALU_DEP_1)
	v_cmp_gt_i32_e32 vcc_lo, s2, v1
	s_and_saveexec_b32 s2, vcc_lo
	s_cbranch_execz .LBB106_44
; %bb.1:
	v_mul_lo_u32 v4, v1, s14
	s_load_b64 s[12:13], s[0:1], 0x0
	v_and_b32_e32 v6, 31, v0
	v_lshlrev_b32_e32 v12, 10, v2
	s_lshl_b32 s20, s3, 1
	s_delay_alu instid0(SALU_CYCLE_1) | instskip(NEXT) | instid1(VALU_DEP_2)
	s_mul_i32 s15, s20, s5
	v_lshlrev_b32_e32 v7, 4, v6
	s_delay_alu instid0(VALU_DEP_4) | instskip(NEXT) | instid1(VALU_DEP_1)
	v_sub_nc_u32_e32 v4, v3, v4
	v_lshlrev_b32_e32 v14, 1, v4
	s_delay_alu instid0(VALU_DEP_1) | instskip(SKIP_1) | instid1(VALU_DEP_2)
	v_add_nc_u32_e32 v4, 2, v14
	v_sub_nc_u32_e32 v5, s4, v14
	v_cmp_lt_i32_e32 vcc_lo, s4, v4
	s_delay_alu instid0(VALU_DEP_2) | instskip(SKIP_1) | instid1(VALU_DEP_2)
	v_cndmask_b32_e32 v15, 2, v5, vcc_lo
	v_lshlrev_b32_e32 v5, 9, v3
	v_cmp_lt_i32_e32 vcc_lo, 0, v15
	s_and_saveexec_b32 s4, vcc_lo
	s_cbranch_execz .LBB106_4
; %bb.2:
	s_add_i32 s2, s18, s17
	s_lshl_b32 s5, s14, 1
	s_add_i32 s2, s2, s16
	s_mov_b32 s6, 0
	s_sub_i32 s2, s2, s5
	s_mov_b32 s5, 0
	v_mul_lo_u32 v3, s2, v1
	s_add_i32 s2, s15, 0
	s_delay_alu instid0(SALU_CYCLE_1) | instskip(NEXT) | instid1(VALU_DEP_2)
	v_add3_u32 v8, s2, v12, v7
	v_lshl_add_u32 v3, v3, 8, v5
	s_delay_alu instid0(VALU_DEP_1)
	v_lshl_or_b32 v3, v6, 3, v3
	.p2align	6
.LBB106_3:                              ; =>This Inner Loop Header: Depth=1
	s_delay_alu instid0(VALU_DEP_1) | instskip(SKIP_1) | instid1(VALU_DEP_1)
	v_ashrrev_i32_e32 v4, 31, v3
	s_add_i32 s6, s6, 1
	v_lshlrev_b64 v[9:10], 1, v[3:4]
	v_add_nc_u32_e32 v3, 0x100, v3
	s_waitcnt lgkmcnt(0)
	s_delay_alu instid0(VALU_DEP_2) | instskip(NEXT) | instid1(VALU_DEP_1)
	v_add_co_u32 v9, s2, s12, v9
	v_add_co_ci_u32_e64 v10, s2, s13, v10, s2
	v_cmp_ge_i32_e64 s2, s6, v15
	global_load_b128 v[16:19], v[9:10], off
	s_or_b32 s5, s2, s5
	s_waitcnt vmcnt(0)
	ds_store_b128 v8, v[16:19]
	v_add_nc_u32_e32 v8, 0x200, v8
	s_and_not1_b32 exec_lo, exec_lo, s5
	s_cbranch_execnz .LBB106_3
.LBB106_4:
	s_or_b32 exec_lo, exec_lo, s4
	s_load_b256 s[4:11], s[0:1], 0x18
	v_mul_lo_u32 v2, v2, s3
	s_add_i32 s0, s20, 15
	s_mov_b32 s20, exec_lo
	s_ashr_i32 s1, s0, 31
	s_delay_alu instid0(SALU_CYCLE_1) | instskip(NEXT) | instid1(SALU_CYCLE_1)
	s_lshr_b32 s1, s1, 28
	s_add_i32 s0, s0, s1
	s_delay_alu instid0(VALU_DEP_1) | instskip(SKIP_1) | instid1(SALU_CYCLE_1)
	v_lshlrev_b32_e32 v4, 1, v2
	s_ashr_i32 s2, s0, 4
	v_cmpx_gt_i32_e64 s2, v6
	s_cbranch_execz .LBB106_7
; %bb.5:
	v_ashrrev_i32_e32 v2, 31, v1
	v_and_b32_e32 v0, 31, v0
	s_delay_alu instid0(VALU_DEP_2) | instskip(NEXT) | instid1(VALU_DEP_2)
	v_lshlrev_b64 v[2:3], 3, v[1:2]
	v_lshlrev_b32_e32 v0, 4, v0
	s_waitcnt lgkmcnt(0)
	s_delay_alu instid0(VALU_DEP_2) | instskip(NEXT) | instid1(VALU_DEP_1)
	v_add_co_u32 v2, s0, s10, v2
	v_add_co_ci_u32_e64 v3, s0, s11, v3, s0
	s_ashr_i32 s0, s3, 31
	global_load_b64 v[2:3], v[2:3], off
	s_waitcnt vmcnt(0)
	v_mul_lo_u32 v3, v3, s3
	v_mul_lo_u32 v10, v2, s0
	v_mad_u64_u32 v[8:9], null, v2, s3, 0
	s_delay_alu instid0(VALU_DEP_1) | instskip(NEXT) | instid1(VALU_DEP_1)
	v_add3_u32 v9, v9, v10, v3
	v_lshlrev_b64 v[2:3], 1, v[8:9]
	v_mov_b32_e32 v8, v6
	s_delay_alu instid0(VALU_DEP_2) | instskip(NEXT) | instid1(VALU_DEP_1)
	v_add_co_u32 v2, s0, v2, v0
	v_add_co_ci_u32_e64 v3, s0, 0, v3, s0
	v_add3_u32 v0, v4, v7, 0
	s_delay_alu instid0(VALU_DEP_3) | instskip(NEXT) | instid1(VALU_DEP_1)
	v_add_co_u32 v2, s0, s8, v2
	v_add_co_ci_u32_e64 v3, s0, s9, v3, s0
	s_mov_b32 s8, 0
	.p2align	6
.LBB106_6:                              ; =>This Inner Loop Header: Depth=1
	global_load_b128 v[16:19], v[2:3], off
	v_add_nc_u32_e32 v8, 32, v8
	v_add_co_u32 v2, s0, 0x200, v2
	s_delay_alu instid0(VALU_DEP_1) | instskip(NEXT) | instid1(VALU_DEP_3)
	v_add_co_ci_u32_e64 v3, s0, 0, v3, s0
	v_cmp_le_i32_e64 s1, s2, v8
	s_delay_alu instid0(VALU_DEP_1)
	s_or_b32 s8, s1, s8
	s_waitcnt vmcnt(0)
	ds_store_b128 v0, v[16:19]
	v_add_nc_u32_e32 v0, 0x200, v0
	s_and_not1_b32 exec_lo, exec_lo, s8
	s_cbranch_execnz .LBB106_6
.LBB106_7:
	s_or_b32 exec_lo, exec_lo, s20
	s_delay_alu instid0(SALU_CYCLE_1)
	s_and_b32 exec_lo, exec_lo, vcc_lo
	s_cbranch_execz .LBB106_44
; %bb.8:
	s_waitcnt lgkmcnt(0)
	s_clause 0x5
	global_load_b32 v16, v7, s[6:7] offset:2
	global_load_b64 v[8:9], v7, s[4:5] offset:8
	global_load_u16 v17, v7, s[4:5]
	global_load_u16 v18, v7, s[6:7]
	global_load_b32 v19, v7, s[4:5] offset:2
	global_load_b64 v[10:11], v7, s[6:7] offset:8
	v_mbcnt_lo_u32_b32 v2, -1, 0
	s_lshr_b32 s0, s3, 31
	s_ashr_i32 s1, s3, 31
	s_add_i32 s0, s3, s0
	s_lshr_b32 s1, s1, 29
	v_add_nc_u32_e32 v3, s15, v12
	v_xor_b32_e32 v12, 16, v2
	v_xor_b32_e32 v13, 8, v2
	v_lshlrev_b32_e32 v0, 3, v6
	v_xor_b32_e32 v22, 4, v2
	v_add3_u32 v21, v3, v7, 0
	v_xor_b32_e32 v23, 2, v2
	s_add_i32 s2, s18, s17
	v_add3_u32 v20, 0, v4, v0
	s_add_i32 s2, s2, s16
	v_xor_b32_e32 v24, 1, v2
	s_clause 0x1
	global_load_d16_hi_b16 v17, v7, s[4:5] offset:6
	global_load_d16_hi_b16 v18, v7, s[6:7] offset:6
	s_and_b32 s5, s0, -2
	s_add_i32 s0, s3, s1
	s_lshl_b32 s4, s14, 1
	s_ashr_i32 s0, s0, 3
	s_sub_i32 s1, s2, s4
	v_cmp_le_i32_e32 vcc_lo, s0, v6
	v_cmp_gt_i32_e64 s0, 32, v12
	v_mul_lo_u32 v1, s1, v1
	s_waitcnt vmcnt(3)
	v_lshrrev_b32_e32 v28, 16, v19
	v_lshrrev_b32_e32 v29, 16, v16
	;; [unrolled: 1-line block ×3, first 2 shown]
	v_cndmask_b32_e64 v3, v2, v12, s0
	v_cmp_gt_i32_e64 s0, 32, v13
	s_waitcnt vmcnt(2)
	v_lshrrev_b32_e32 v31, 16, v10
	v_lshrrev_b32_e32 v32, 16, v9
	v_lshl_add_u32 v1, v1, 8, v5
	v_lshrrev_b32_e32 v35, 16, v11
	v_cndmask_b32_e64 v4, v2, v13, s0
	v_cmp_gt_i32_e64 s0, 32, v22
	s_mov_b32 s2, 0
	v_or_b32_e32 v12, v1, v0
	s_mov_b32 s3, 0
	s_delay_alu instid0(VALU_DEP_2) | instskip(SKIP_2) | instid1(VALU_DEP_3)
	v_cndmask_b32_e64 v6, v2, v22, s0
	v_cmp_gt_i32_e64 s0, 32, v23
	v_add_nc_u32_e32 v22, s5, v20
	v_lshlrev_b32_e32 v25, 2, v6
	s_delay_alu instid0(VALU_DEP_3) | instskip(SKIP_2) | instid1(VALU_DEP_3)
	v_cndmask_b32_e64 v7, v2, v23, s0
	v_cmp_gt_i32_e64 s0, 32, v24
	v_lshlrev_b32_e32 v23, 2, v3
	v_lshlrev_b32_e32 v26, 2, v7
	s_delay_alu instid0(VALU_DEP_3) | instskip(SKIP_1) | instid1(VALU_DEP_2)
	v_cndmask_b32_e64 v2, v2, v24, s0
	v_lshlrev_b32_e32 v24, 2, v4
	v_lshlrev_b32_e32 v27, 2, v2
	s_waitcnt vmcnt(1)
	v_lshrrev_b32_e32 v33, 16, v17
	s_waitcnt vmcnt(0)
	v_lshrrev_b32_e32 v34, 16, v18
	s_branch .LBB106_10
.LBB106_9:                              ;   in Loop: Header=BB106_10 Depth=1
	s_or_b32 exec_lo, exec_lo, s1
	v_ashrrev_i32_e32 v13, 31, v12
	s_delay_alu instid0(VALU_DEP_2)
	v_perm_b32 v5, v6, v5, 0x7060302
	s_add_i32 s3, s3, 1
	v_perm_b32 v4, v4, v3, 0x7060302
	v_perm_b32 v3, v2, v1, 0x7060302
	v_lshlrev_b64 v[6:7], 1, v[12:13]
	v_perm_b32 v2, v0, v39, 0x7060302
	v_cmp_ge_i32_e64 s0, s3, v15
	v_add_nc_u32_e32 v12, 0x100, v12
	v_add_nc_u32_e32 v21, 0x200, v21
	v_add_co_u32 v0, s1, s12, v6
	s_delay_alu instid0(VALU_DEP_1)
	v_add_co_ci_u32_e64 v1, s1, s13, v7, s1
	s_or_b32 s2, s0, s2
	global_store_b128 v[0:1], v[2:5], off
	s_and_not1_b32 exec_lo, exec_lo, s2
	s_cbranch_execz .LBB106_44
.LBB106_10:                             ; =>This Inner Loop Header: Depth=1
	ds_load_b128 v[0:3], v21
	v_add_nc_u32_e32 v37, s3, v14
	s_delay_alu instid0(VALU_DEP_1) | instskip(NEXT) | instid1(VALU_DEP_1)
	v_cmp_gt_i32_e64 s1, s16, v37
	v_cndmask_b32_e64 v38, v34, v33, s1
	v_cndmask_b32_e64 v39, v18, v17, s1
	;; [unrolled: 1-line block ×6, first 2 shown]
	v_lshlrev_b32_e32 v39, 16, v39
	v_lshlrev_b32_e32 v38, 16, v38
	;; [unrolled: 1-line block ×3, first 2 shown]
	s_waitcnt lgkmcnt(0)
	v_lshlrev_b32_e32 v6, 16, v1
	v_and_b32_e32 v4, 0xffff0000, v0
	v_and_b32_e32 v1, 0xffff0000, v1
	v_lshlrev_b32_e32 v0, 16, v0
	v_lshlrev_b32_e32 v7, 16, v2
	s_delay_alu instid0(VALU_DEP_4) | instskip(SKIP_3) | instid1(VALU_DEP_4)
	v_dual_mul_f32 v5, v4, v4 :: v_dual_and_b32 v2, 0xffff0000, v2
	v_cndmask_b32_e64 v44, v11, v9, s1
	v_lshlrev_b32_e32 v37, 16, v37
	v_lshlrev_b32_e32 v40, 16, v40
	v_dual_fmac_f32 v5, v0, v0 :: v_dual_lshlrev_b32 v42, 16, v42
	s_delay_alu instid0(VALU_DEP_1) | instskip(NEXT) | instid1(VALU_DEP_1)
	v_fmac_f32_e32 v5, v6, v6
	v_fmac_f32_e32 v5, v1, v1
	s_delay_alu instid0(VALU_DEP_1) | instskip(SKIP_2) | instid1(VALU_DEP_3)
	v_fmac_f32_e32 v5, v7, v7
	v_lshlrev_b32_e32 v36, 16, v3
	v_and_b32_e32 v3, 0xffff0000, v3
	v_fmac_f32_e32 v5, v2, v2
	s_delay_alu instid0(VALU_DEP_1) | instskip(NEXT) | instid1(VALU_DEP_1)
	v_fmac_f32_e32 v5, v36, v36
	v_fmac_f32_e32 v5, v3, v3
	ds_bpermute_b32 v13, v23, v5
	s_waitcnt lgkmcnt(0)
	v_add_f32_e32 v5, v5, v13
	ds_bpermute_b32 v13, v24, v5
	s_waitcnt lgkmcnt(0)
	v_add_f32_e32 v5, v5, v13
	;; [unrolled: 3-line block ×5, first 2 shown]
	s_delay_alu instid0(VALU_DEP_1) | instskip(NEXT) | instid1(VALU_DEP_1)
	v_fma_f32 v5, 0x3b800000, v5, s19
	v_mul_f32_e32 v13, 0x4b800000, v5
	v_cmp_gt_f32_e64 s0, 0x800000, v5
	s_delay_alu instid0(VALU_DEP_1) | instskip(SKIP_1) | instid1(VALU_DEP_2)
	v_cndmask_b32_e64 v5, v5, v13, s0
	v_cndmask_b32_e64 v13, v29, v28, s1
	v_rsq_f32_e32 v5, v5
	s_delay_alu instid0(VALU_DEP_1) | instskip(SKIP_2) | instid1(VALU_DEP_1)
	v_lshlrev_b32_e32 v13, 16, v13
	s_waitcnt_depctr 0xfff
	v_mul_f32_e32 v43, 0x45800000, v5
	v_cndmask_b32_e64 v5, v5, v43, s0
	v_lshlrev_b32_e32 v43, 16, v44
	s_delay_alu instid0(VALU_DEP_2)
	v_mul_f32_e32 v39, v5, v39
	v_mul_f32_e32 v38, v5, v38
	;; [unrolled: 1-line block ×7, first 2 shown]
	v_dual_mul_f32 v5, v5, v42 :: v_dual_mul_f32 v40, v38, v1
	v_dual_mul_f32 v0, v39, v0 :: v_dual_mul_f32 v41, v13, v6
	s_delay_alu instid0(VALU_DEP_3) | instskip(SKIP_4) | instid1(SALU_CYCLE_1)
	v_mul_f32_e32 v36, v43, v36
	v_mul_f32_e32 v42, v37, v4
	v_dual_mul_f32 v37, v45, v2 :: v_dual_mul_f32 v38, v44, v7
	v_mul_f32_e32 v13, v5, v3
	s_and_saveexec_b32 s0, vcc_lo
	s_xor_b32 s0, exec_lo, s0
	s_delay_alu instid0(SALU_CYCLE_1)
	s_and_not1_saveexec_b32 s0, s0
	s_cbranch_execz .LBB106_12
; %bb.11:                               ;   in Loop: Header=BB106_10 Depth=1
	ds_load_b64 v[2:3], v20
	ds_load_b64 v[4:5], v22
	s_waitcnt lgkmcnt(1)
	v_cvt_f32_f16_e32 v6, v2
	s_waitcnt lgkmcnt(0)
	v_lshrrev_b32_e32 v7, 16, v4
	v_cvt_f32_f16_e32 v39, v4
	v_lshrrev_b32_e32 v43, 16, v5
	v_cvt_f32_f16_e32 v44, v5
	v_cvt_f32_f16_e32 v45, v3
	v_lshrrev_b32_e32 v1, 16, v3
	v_cvt_f32_f16_e32 v7, v7
	v_mul_f32_e32 v39, v42, v39
	v_mul_f32_e32 v6, v42, v6
	;; [unrolled: 1-line block ×4, first 2 shown]
	v_cvt_f32_f16_e32 v43, v43
	v_cvt_f32_f16_e32 v44, v1
	v_fma_mix_f32 v1, v0, v2, -v39 op_sel_hi:[0,1,0]
	v_mul_f32_e32 v39, v40, v7
	v_fma_mix_f32 v45, v38, v3, -v42 op_sel_hi:[0,1,0]
	v_fma_mix_f32 v37, v38, v5, v37 op_sel_hi:[0,1,0]
	v_mul_f32_e32 v38, v13, v43
	v_mul_f32_e32 v7, v41, v7
	;; [unrolled: 1-line block ×3, first 2 shown]
	v_fma_mix_f32 v41, v41, v2, -v39 op_sel:[0,1,0] op_sel_hi:[0,1,0]
	v_fma_mix_f32 v42, v0, v4, v6 op_sel_hi:[0,1,0]
	v_fma_mix_f32 v39, v36, v3, -v38 op_sel:[0,1,0] op_sel_hi:[0,1,0]
	v_mov_b32_e32 v38, v45
	v_fma_mix_f32 v13, v36, v5, v13 op_sel:[0,1,0] op_sel_hi:[0,1,0]
	s_delay_alu instid0(VALU_DEP_3)
	v_mov_b32_e32 v36, v39
	v_fma_mix_f32 v40, v40, v2, v7 op_sel:[0,1,0] op_sel_hi:[0,1,0]
	v_mov_b32_e32 v0, v1
	v_mov_b32_e32 v1, v2
	;; [unrolled: 1-line block ×8, first 2 shown]
.LBB106_12:                             ;   in Loop: Header=BB106_10 Depth=1
	s_or_b32 exec_lo, exec_lo, s0
	v_and_b32_e32 v1, 0x7f800000, v0
                                        ; implicit-def: $vgpr39
	s_delay_alu instid0(VALU_DEP_1) | instskip(NEXT) | instid1(VALU_DEP_1)
	v_cmp_ne_u32_e64 s0, 0x7f800000, v1
	s_and_saveexec_b32 s1, s0
	s_delay_alu instid0(SALU_CYCLE_1)
	s_xor_b32 s0, exec_lo, s1
; %bb.13:                               ;   in Loop: Header=BB106_10 Depth=1
	v_bfe_u32 v1, v0, 16, 1
	s_delay_alu instid0(VALU_DEP_1)
	v_add3_u32 v39, v0, v1, 0x7fff
                                        ; implicit-def: $vgpr0_vgpr1_vgpr2_vgpr3_vgpr4_vgpr5_vgpr6_vgpr7
; %bb.14:                               ;   in Loop: Header=BB106_10 Depth=1
	s_and_not1_saveexec_b32 s1, s0
; %bb.15:                               ;   in Loop: Header=BB106_10 Depth=1
	v_and_b32_e32 v1, 0xffff, v0
	v_or_b32_e32 v2, 0x10000, v0
	s_delay_alu instid0(VALU_DEP_2) | instskip(NEXT) | instid1(VALU_DEP_1)
	v_cmp_eq_u32_e64 s0, 0, v1
	v_cndmask_b32_e64 v39, v2, v0, s0
; %bb.16:                               ;   in Loop: Header=BB106_10 Depth=1
	s_or_b32 exec_lo, exec_lo, s1
	v_and_b32_e32 v0, 0x7f800000, v42
	s_delay_alu instid0(VALU_DEP_1) | instskip(NEXT) | instid1(VALU_DEP_1)
	v_cmp_ne_u32_e64 s0, 0x7f800000, v0
                                        ; implicit-def: $vgpr0
	s_and_saveexec_b32 s1, s0
	s_delay_alu instid0(SALU_CYCLE_1)
	s_xor_b32 s0, exec_lo, s1
; %bb.17:                               ;   in Loop: Header=BB106_10 Depth=1
	v_bfe_u32 v0, v42, 16, 1
	s_delay_alu instid0(VALU_DEP_1)
	v_add3_u32 v0, v42, v0, 0x7fff
                                        ; implicit-def: $vgpr42
; %bb.18:                               ;   in Loop: Header=BB106_10 Depth=1
	s_and_not1_saveexec_b32 s1, s0
; %bb.19:                               ;   in Loop: Header=BB106_10 Depth=1
	v_and_b32_e32 v0, 0xffff, v42
	v_or_b32_e32 v1, 0x10000, v42
	s_delay_alu instid0(VALU_DEP_2) | instskip(NEXT) | instid1(VALU_DEP_1)
	v_cmp_eq_u32_e64 s0, 0, v0
	v_cndmask_b32_e64 v0, v1, v42, s0
; %bb.20:                               ;   in Loop: Header=BB106_10 Depth=1
	s_or_b32 exec_lo, exec_lo, s1
	v_and_b32_e32 v1, 0x7f800000, v41
	s_delay_alu instid0(VALU_DEP_1) | instskip(NEXT) | instid1(VALU_DEP_1)
	v_cmp_ne_u32_e64 s0, 0x7f800000, v1
                                        ; implicit-def: $vgpr1
	s_and_saveexec_b32 s1, s0
	s_delay_alu instid0(SALU_CYCLE_1)
	s_xor_b32 s0, exec_lo, s1
; %bb.21:                               ;   in Loop: Header=BB106_10 Depth=1
	v_bfe_u32 v1, v41, 16, 1
	s_delay_alu instid0(VALU_DEP_1)
	v_add3_u32 v1, v41, v1, 0x7fff
                                        ; implicit-def: $vgpr41
; %bb.22:                               ;   in Loop: Header=BB106_10 Depth=1
	s_and_not1_saveexec_b32 s1, s0
; %bb.23:                               ;   in Loop: Header=BB106_10 Depth=1
	v_and_b32_e32 v1, 0xffff, v41
	v_or_b32_e32 v2, 0x10000, v41
	s_delay_alu instid0(VALU_DEP_2) | instskip(NEXT) | instid1(VALU_DEP_1)
	v_cmp_eq_u32_e64 s0, 0, v1
	v_cndmask_b32_e64 v1, v2, v41, s0
; %bb.24:                               ;   in Loop: Header=BB106_10 Depth=1
	s_or_b32 exec_lo, exec_lo, s1
	v_and_b32_e32 v2, 0x7f800000, v40
	s_delay_alu instid0(VALU_DEP_1) | instskip(NEXT) | instid1(VALU_DEP_1)
	v_cmp_ne_u32_e64 s0, 0x7f800000, v2
                                        ; implicit-def: $vgpr2
	s_and_saveexec_b32 s1, s0
	s_delay_alu instid0(SALU_CYCLE_1)
	s_xor_b32 s0, exec_lo, s1
; %bb.25:                               ;   in Loop: Header=BB106_10 Depth=1
	v_bfe_u32 v2, v40, 16, 1
	s_delay_alu instid0(VALU_DEP_1)
	v_add3_u32 v2, v40, v2, 0x7fff
                                        ; implicit-def: $vgpr40
; %bb.26:                               ;   in Loop: Header=BB106_10 Depth=1
	s_and_not1_saveexec_b32 s1, s0
; %bb.27:                               ;   in Loop: Header=BB106_10 Depth=1
	v_and_b32_e32 v2, 0xffff, v40
	v_or_b32_e32 v3, 0x10000, v40
	s_delay_alu instid0(VALU_DEP_2) | instskip(NEXT) | instid1(VALU_DEP_1)
	v_cmp_eq_u32_e64 s0, 0, v2
	v_cndmask_b32_e64 v2, v3, v40, s0
; %bb.28:                               ;   in Loop: Header=BB106_10 Depth=1
	s_or_b32 exec_lo, exec_lo, s1
	v_and_b32_e32 v3, 0x7f800000, v38
	s_delay_alu instid0(VALU_DEP_1) | instskip(NEXT) | instid1(VALU_DEP_1)
	v_cmp_ne_u32_e64 s0, 0x7f800000, v3
                                        ; implicit-def: $vgpr3
	s_and_saveexec_b32 s1, s0
	s_delay_alu instid0(SALU_CYCLE_1)
	s_xor_b32 s0, exec_lo, s1
; %bb.29:                               ;   in Loop: Header=BB106_10 Depth=1
	v_bfe_u32 v3, v38, 16, 1
	s_delay_alu instid0(VALU_DEP_1)
	v_add3_u32 v3, v38, v3, 0x7fff
                                        ; implicit-def: $vgpr38
; %bb.30:                               ;   in Loop: Header=BB106_10 Depth=1
	s_and_not1_saveexec_b32 s1, s0
; %bb.31:                               ;   in Loop: Header=BB106_10 Depth=1
	v_and_b32_e32 v3, 0xffff, v38
	v_or_b32_e32 v4, 0x10000, v38
	s_delay_alu instid0(VALU_DEP_2) | instskip(NEXT) | instid1(VALU_DEP_1)
	v_cmp_eq_u32_e64 s0, 0, v3
	v_cndmask_b32_e64 v3, v4, v38, s0
; %bb.32:                               ;   in Loop: Header=BB106_10 Depth=1
	s_or_b32 exec_lo, exec_lo, s1
	v_and_b32_e32 v4, 0x7f800000, v37
	s_delay_alu instid0(VALU_DEP_1) | instskip(NEXT) | instid1(VALU_DEP_1)
	v_cmp_ne_u32_e64 s0, 0x7f800000, v4
                                        ; implicit-def: $vgpr4
	s_and_saveexec_b32 s1, s0
	s_delay_alu instid0(SALU_CYCLE_1)
	s_xor_b32 s0, exec_lo, s1
; %bb.33:                               ;   in Loop: Header=BB106_10 Depth=1
	v_bfe_u32 v4, v37, 16, 1
	s_delay_alu instid0(VALU_DEP_1)
	v_add3_u32 v4, v37, v4, 0x7fff
                                        ; implicit-def: $vgpr37
; %bb.34:                               ;   in Loop: Header=BB106_10 Depth=1
	s_and_not1_saveexec_b32 s1, s0
; %bb.35:                               ;   in Loop: Header=BB106_10 Depth=1
	v_and_b32_e32 v4, 0xffff, v37
	v_or_b32_e32 v5, 0x10000, v37
	s_delay_alu instid0(VALU_DEP_2) | instskip(NEXT) | instid1(VALU_DEP_1)
	v_cmp_eq_u32_e64 s0, 0, v4
	v_cndmask_b32_e64 v4, v5, v37, s0
; %bb.36:                               ;   in Loop: Header=BB106_10 Depth=1
	s_or_b32 exec_lo, exec_lo, s1
	v_and_b32_e32 v5, 0x7f800000, v36
	s_delay_alu instid0(VALU_DEP_1) | instskip(NEXT) | instid1(VALU_DEP_1)
	v_cmp_ne_u32_e64 s0, 0x7f800000, v5
                                        ; implicit-def: $vgpr5
	s_and_saveexec_b32 s1, s0
	s_delay_alu instid0(SALU_CYCLE_1)
	s_xor_b32 s0, exec_lo, s1
; %bb.37:                               ;   in Loop: Header=BB106_10 Depth=1
	v_bfe_u32 v5, v36, 16, 1
	s_delay_alu instid0(VALU_DEP_1)
	v_add3_u32 v5, v36, v5, 0x7fff
                                        ; implicit-def: $vgpr36
; %bb.38:                               ;   in Loop: Header=BB106_10 Depth=1
	s_and_not1_saveexec_b32 s1, s0
; %bb.39:                               ;   in Loop: Header=BB106_10 Depth=1
	v_and_b32_e32 v5, 0xffff, v36
	v_or_b32_e32 v6, 0x10000, v36
	s_delay_alu instid0(VALU_DEP_2) | instskip(NEXT) | instid1(VALU_DEP_1)
	v_cmp_eq_u32_e64 s0, 0, v5
	v_cndmask_b32_e64 v5, v6, v36, s0
; %bb.40:                               ;   in Loop: Header=BB106_10 Depth=1
	s_or_b32 exec_lo, exec_lo, s1
	v_and_b32_e32 v6, 0x7f800000, v13
	s_delay_alu instid0(VALU_DEP_1) | instskip(NEXT) | instid1(VALU_DEP_1)
	v_cmp_ne_u32_e64 s0, 0x7f800000, v6
                                        ; implicit-def: $vgpr6
	s_and_saveexec_b32 s1, s0
	s_delay_alu instid0(SALU_CYCLE_1)
	s_xor_b32 s0, exec_lo, s1
; %bb.41:                               ;   in Loop: Header=BB106_10 Depth=1
	v_bfe_u32 v6, v13, 16, 1
	s_delay_alu instid0(VALU_DEP_1)
	v_add3_u32 v6, v13, v6, 0x7fff
                                        ; implicit-def: $vgpr13
; %bb.42:                               ;   in Loop: Header=BB106_10 Depth=1
	s_and_not1_saveexec_b32 s1, s0
	s_cbranch_execz .LBB106_9
; %bb.43:                               ;   in Loop: Header=BB106_10 Depth=1
	v_and_b32_e32 v6, 0xffff, v13
	v_or_b32_e32 v7, 0x10000, v13
	s_delay_alu instid0(VALU_DEP_2) | instskip(NEXT) | instid1(VALU_DEP_1)
	v_cmp_eq_u32_e64 s0, 0, v6
	v_cndmask_b32_e64 v6, v7, v13, s0
	s_branch .LBB106_9
.LBB106_44:
	s_nop 0
	s_sendmsg sendmsg(MSG_DEALLOC_VGPRS)
	s_endpgm
	.section	.rodata,"a",@progbits
	.p2align	6, 0x0
	.amdhsa_kernel _ZN12tensorrt_llm7kernels32fusedQKNormRopeKernelNTokenHeadsIN3c108BFloat16ENS2_4HalfELi256ELb1ELi2EEEvPviiifPKvS7_S7_PKlii
		.amdhsa_group_segment_fixed_size 0
		.amdhsa_private_segment_fixed_size 0
		.amdhsa_kernarg_size 320
		.amdhsa_user_sgpr_count 15
		.amdhsa_user_sgpr_dispatch_ptr 0
		.amdhsa_user_sgpr_queue_ptr 0
		.amdhsa_user_sgpr_kernarg_segment_ptr 1
		.amdhsa_user_sgpr_dispatch_id 0
		.amdhsa_user_sgpr_private_segment_size 0
		.amdhsa_wavefront_size32 1
		.amdhsa_uses_dynamic_stack 0
		.amdhsa_enable_private_segment 0
		.amdhsa_system_sgpr_workgroup_id_x 1
		.amdhsa_system_sgpr_workgroup_id_y 0
		.amdhsa_system_sgpr_workgroup_id_z 0
		.amdhsa_system_sgpr_workgroup_info 0
		.amdhsa_system_vgpr_workitem_id 0
		.amdhsa_next_free_vgpr 46
		.amdhsa_next_free_sgpr 21
		.amdhsa_reserve_vcc 1
		.amdhsa_float_round_mode_32 0
		.amdhsa_float_round_mode_16_64 0
		.amdhsa_float_denorm_mode_32 3
		.amdhsa_float_denorm_mode_16_64 3
		.amdhsa_dx10_clamp 1
		.amdhsa_ieee_mode 1
		.amdhsa_fp16_overflow 0
		.amdhsa_workgroup_processor_mode 1
		.amdhsa_memory_ordered 1
		.amdhsa_forward_progress 0
		.amdhsa_shared_vgpr_count 0
		.amdhsa_exception_fp_ieee_invalid_op 0
		.amdhsa_exception_fp_denorm_src 0
		.amdhsa_exception_fp_ieee_div_zero 0
		.amdhsa_exception_fp_ieee_overflow 0
		.amdhsa_exception_fp_ieee_underflow 0
		.amdhsa_exception_fp_ieee_inexact 0
		.amdhsa_exception_int_div_zero 0
	.end_amdhsa_kernel
	.section	.text._ZN12tensorrt_llm7kernels32fusedQKNormRopeKernelNTokenHeadsIN3c108BFloat16ENS2_4HalfELi256ELb1ELi2EEEvPviiifPKvS7_S7_PKlii,"axG",@progbits,_ZN12tensorrt_llm7kernels32fusedQKNormRopeKernelNTokenHeadsIN3c108BFloat16ENS2_4HalfELi256ELb1ELi2EEEvPviiifPKvS7_S7_PKlii,comdat
.Lfunc_end106:
	.size	_ZN12tensorrt_llm7kernels32fusedQKNormRopeKernelNTokenHeadsIN3c108BFloat16ENS2_4HalfELi256ELb1ELi2EEEvPviiifPKvS7_S7_PKlii, .Lfunc_end106-_ZN12tensorrt_llm7kernels32fusedQKNormRopeKernelNTokenHeadsIN3c108BFloat16ENS2_4HalfELi256ELb1ELi2EEEvPviiifPKvS7_S7_PKlii
                                        ; -- End function
	.section	.AMDGPU.csdata,"",@progbits
; Kernel info:
; codeLenInByte = 2888
; NumSgprs: 23
; NumVgprs: 46
; ScratchSize: 0
; MemoryBound: 0
; FloatMode: 240
; IeeeMode: 1
; LDSByteSize: 0 bytes/workgroup (compile time only)
; SGPRBlocks: 2
; VGPRBlocks: 5
; NumSGPRsForWavesPerEU: 23
; NumVGPRsForWavesPerEU: 46
; Occupancy: 16
; WaveLimiterHint : 0
; COMPUTE_PGM_RSRC2:SCRATCH_EN: 0
; COMPUTE_PGM_RSRC2:USER_SGPR: 15
; COMPUTE_PGM_RSRC2:TRAP_HANDLER: 0
; COMPUTE_PGM_RSRC2:TGID_X_EN: 1
; COMPUTE_PGM_RSRC2:TGID_Y_EN: 0
; COMPUTE_PGM_RSRC2:TGID_Z_EN: 0
; COMPUTE_PGM_RSRC2:TIDIG_COMP_CNT: 0
	.section	.text._ZN12tensorrt_llm7kernels32fusedQKNormRopeKernelNTokenHeadsIN3c108BFloat16ENS2_4HalfELi256ELb0ELi2EEEvPviiifPKvS7_S7_PKlii,"axG",@progbits,_ZN12tensorrt_llm7kernels32fusedQKNormRopeKernelNTokenHeadsIN3c108BFloat16ENS2_4HalfELi256ELb0ELi2EEEvPviiifPKvS7_S7_PKlii,comdat
	.protected	_ZN12tensorrt_llm7kernels32fusedQKNormRopeKernelNTokenHeadsIN3c108BFloat16ENS2_4HalfELi256ELb0ELi2EEEvPviiifPKvS7_S7_PKlii ; -- Begin function _ZN12tensorrt_llm7kernels32fusedQKNormRopeKernelNTokenHeadsIN3c108BFloat16ENS2_4HalfELi256ELb0ELi2EEEvPviiifPKvS7_S7_PKlii
	.globl	_ZN12tensorrt_llm7kernels32fusedQKNormRopeKernelNTokenHeadsIN3c108BFloat16ENS2_4HalfELi256ELb0ELi2EEEvPviiifPKvS7_S7_PKlii
	.p2align	8
	.type	_ZN12tensorrt_llm7kernels32fusedQKNormRopeKernelNTokenHeadsIN3c108BFloat16ENS2_4HalfELi256ELb0ELi2EEEvPviiifPKvS7_S7_PKlii,@function
_ZN12tensorrt_llm7kernels32fusedQKNormRopeKernelNTokenHeadsIN3c108BFloat16ENS2_4HalfELi256ELb0ELi2EEEvPviiifPKvS7_S7_PKlii: ; @_ZN12tensorrt_llm7kernels32fusedQKNormRopeKernelNTokenHeadsIN3c108BFloat16ENS2_4HalfELi256ELb0ELi2EEEvPviiifPKvS7_S7_PKlii
; %bb.0:
	s_clause 0x1
	s_load_b128 s[16:19], s[0:1], 0x8
	s_load_b64 s[2:3], s[0:1], 0x38
	v_lshrrev_b32_e32 v2, 5, v0
	s_waitcnt lgkmcnt(0)
	s_add_i32 s4, s17, s16
	s_delay_alu instid0(SALU_CYCLE_1) | instskip(NEXT) | instid1(SALU_CYCLE_1)
	s_add_i32 s5, s4, 1
	s_lshr_b32 s6, s5, 31
	s_delay_alu instid0(SALU_CYCLE_1) | instskip(NEXT) | instid1(SALU_CYCLE_1)
	s_add_i32 s5, s5, s6
	s_ashr_i32 s14, s5, 1
	s_load_b32 s5, s[0:1], 0x4c
	s_abs_i32 s6, s14
	s_delay_alu instid0(SALU_CYCLE_1) | instskip(SKIP_1) | instid1(VALU_DEP_1)
	v_cvt_f32_u32_e32 v1, s6
	s_sub_i32 s7, 0, s6
	v_rcp_iflag_f32_e32 v1, v1
	s_waitcnt_depctr 0xfff
	v_mul_f32_e32 v1, 0x4f7ffffe, v1
	s_waitcnt lgkmcnt(0)
	s_bfe_u32 s5, s5, 0xb0005
	s_delay_alu instid0(SALU_CYCLE_1) | instskip(NEXT) | instid1(VALU_DEP_2)
	v_mad_u64_u32 v[3:4], null, s15, s5, v[2:3]
	v_cvt_u32_f32_e32 v1, v1
	s_delay_alu instid0(VALU_DEP_1) | instskip(NEXT) | instid1(VALU_DEP_1)
	v_mul_lo_u32 v5, s7, v1
	v_mul_hi_u32 v4, v1, v5
	s_delay_alu instid0(VALU_DEP_4) | instskip(NEXT) | instid1(VALU_DEP_1)
	v_sub_nc_u32_e32 v5, 0, v3
	v_max_i32_e32 v5, v3, v5
	s_delay_alu instid0(VALU_DEP_3) | instskip(NEXT) | instid1(VALU_DEP_1)
	v_add_nc_u32_e32 v1, v1, v4
	v_mul_hi_u32 v1, v5, v1
	s_delay_alu instid0(VALU_DEP_1) | instskip(NEXT) | instid1(VALU_DEP_1)
	v_mul_lo_u32 v4, v1, s6
	v_sub_nc_u32_e32 v4, v5, v4
	v_add_nc_u32_e32 v5, 1, v1
	s_delay_alu instid0(VALU_DEP_2) | instskip(SKIP_1) | instid1(VALU_DEP_2)
	v_subrev_nc_u32_e32 v6, s6, v4
	v_cmp_le_u32_e32 vcc_lo, s6, v4
	v_dual_cndmask_b32 v4, v4, v6 :: v_dual_cndmask_b32 v1, v1, v5
	v_xor_b32_e32 v5, s14, v3
	s_delay_alu instid0(VALU_DEP_2) | instskip(NEXT) | instid1(VALU_DEP_3)
	v_cmp_le_u32_e32 vcc_lo, s6, v4
	v_add_nc_u32_e32 v6, 1, v1
	s_delay_alu instid0(VALU_DEP_3) | instskip(NEXT) | instid1(VALU_DEP_2)
	v_ashrrev_i32_e32 v5, 31, v5
	v_cndmask_b32_e32 v1, v1, v6, vcc_lo
	s_delay_alu instid0(VALU_DEP_1) | instskip(NEXT) | instid1(VALU_DEP_1)
	v_xor_b32_e32 v1, v1, v5
	v_sub_nc_u32_e32 v1, v1, v5
	s_delay_alu instid0(VALU_DEP_1)
	v_cmp_gt_i32_e32 vcc_lo, s2, v1
	s_and_saveexec_b32 s2, vcc_lo
	s_cbranch_execz .LBB107_44
; %bb.1:
	v_mul_lo_u32 v4, v1, s14
	s_load_b64 s[12:13], s[0:1], 0x0
	v_and_b32_e32 v6, 31, v0
	v_lshlrev_b32_e32 v16, 10, v2
	v_lshlrev_b32_e32 v7, 9, v3
	s_lshl_b32 s20, s3, 1
	s_delay_alu instid0(SALU_CYCLE_1) | instskip(NEXT) | instid1(VALU_DEP_4)
	s_mul_i32 s15, s20, s5
	v_sub_nc_u32_e32 v4, v3, v4
	s_delay_alu instid0(VALU_DEP_1) | instskip(NEXT) | instid1(VALU_DEP_1)
	v_lshlrev_b32_e32 v18, 1, v4
	v_add_nc_u32_e32 v4, 2, v18
	v_sub_nc_u32_e32 v5, s4, v18
	s_delay_alu instid0(VALU_DEP_2) | instskip(NEXT) | instid1(VALU_DEP_2)
	v_cmp_lt_i32_e32 vcc_lo, s4, v4
	v_cndmask_b32_e32 v19, 2, v5, vcc_lo
	v_lshlrev_b32_e32 v5, 4, v6
	s_delay_alu instid0(VALU_DEP_2)
	v_cmp_lt_i32_e32 vcc_lo, 0, v19
	s_and_saveexec_b32 s4, vcc_lo
	s_cbranch_execz .LBB107_4
; %bb.2:
	s_add_i32 s2, s18, s17
	s_lshl_b32 s5, s14, 1
	s_add_i32 s2, s2, s16
	s_mov_b32 s6, 0
	s_sub_i32 s2, s2, s5
	s_mov_b32 s5, 0
	v_mul_lo_u32 v3, s2, v1
	s_add_i32 s2, s15, 0
	s_delay_alu instid0(SALU_CYCLE_1) | instskip(NEXT) | instid1(VALU_DEP_2)
	v_add3_u32 v8, s2, v16, v5
	v_lshl_add_u32 v3, v3, 8, v7
	s_delay_alu instid0(VALU_DEP_1)
	v_lshl_or_b32 v3, v6, 3, v3
	.p2align	6
.LBB107_3:                              ; =>This Inner Loop Header: Depth=1
	s_delay_alu instid0(VALU_DEP_1) | instskip(SKIP_1) | instid1(VALU_DEP_1)
	v_ashrrev_i32_e32 v4, 31, v3
	s_add_i32 s6, s6, 1
	v_lshlrev_b64 v[9:10], 1, v[3:4]
	v_add_nc_u32_e32 v3, 0x100, v3
	s_waitcnt lgkmcnt(0)
	s_delay_alu instid0(VALU_DEP_2) | instskip(NEXT) | instid1(VALU_DEP_1)
	v_add_co_u32 v9, s2, s12, v9
	v_add_co_ci_u32_e64 v10, s2, s13, v10, s2
	v_cmp_ge_i32_e64 s2, s6, v19
	global_load_b128 v[9:12], v[9:10], off
	s_or_b32 s5, s2, s5
	s_waitcnt vmcnt(0)
	ds_store_b128 v8, v[9:12]
	v_add_nc_u32_e32 v8, 0x200, v8
	s_and_not1_b32 exec_lo, exec_lo, s5
	s_cbranch_execnz .LBB107_3
.LBB107_4:
	s_or_b32 exec_lo, exec_lo, s4
	s_load_b256 s[4:11], s[0:1], 0x18
	s_add_i32 s0, s20, 15
	v_mul_lo_u32 v4, v2, s3
	s_ashr_i32 s1, s0, 31
	s_mov_b32 s20, exec_lo
	s_lshr_b32 s1, s1, 28
	s_delay_alu instid0(SALU_CYCLE_1) | instskip(NEXT) | instid1(SALU_CYCLE_1)
	s_add_i32 s0, s0, s1
	s_ashr_i32 s2, s0, 4
	s_delay_alu instid0(SALU_CYCLE_1)
	v_cmpx_gt_i32_e64 s2, v6
	s_cbranch_execz .LBB107_7
; %bb.5:
	v_ashrrev_i32_e32 v2, 31, v1
	v_and_b32_e32 v0, 31, v0
	s_delay_alu instid0(VALU_DEP_2) | instskip(NEXT) | instid1(VALU_DEP_2)
	v_lshlrev_b64 v[2:3], 3, v[1:2]
	v_lshlrev_b32_e32 v0, 4, v0
	s_waitcnt lgkmcnt(0)
	s_delay_alu instid0(VALU_DEP_2) | instskip(NEXT) | instid1(VALU_DEP_1)
	v_add_co_u32 v2, s0, s10, v2
	v_add_co_ci_u32_e64 v3, s0, s11, v3, s0
	s_ashr_i32 s0, s3, 31
	global_load_b64 v[2:3], v[2:3], off
	s_waitcnt vmcnt(0)
	v_mul_lo_u32 v3, v3, s3
	v_mul_lo_u32 v10, v2, s0
	v_mad_u64_u32 v[8:9], null, v2, s3, 0
	s_delay_alu instid0(VALU_DEP_1) | instskip(NEXT) | instid1(VALU_DEP_1)
	v_add3_u32 v9, v9, v10, v3
	v_lshlrev_b64 v[2:3], 1, v[8:9]
	v_lshlrev_b32_e32 v8, 1, v4
	s_delay_alu instid0(VALU_DEP_2) | instskip(NEXT) | instid1(VALU_DEP_1)
	v_add_co_u32 v2, s0, v2, v0
	v_add_co_ci_u32_e64 v3, s0, 0, v3, s0
	s_delay_alu instid0(VALU_DEP_3) | instskip(NEXT) | instid1(VALU_DEP_3)
	v_add3_u32 v0, v8, v5, 0
	v_add_co_u32 v2, s0, s8, v2
	s_delay_alu instid0(VALU_DEP_1)
	v_add_co_ci_u32_e64 v3, s0, s9, v3, s0
	v_mov_b32_e32 v8, v6
	s_mov_b32 s8, 0
	.p2align	6
.LBB107_6:                              ; =>This Inner Loop Header: Depth=1
	global_load_b128 v[9:12], v[2:3], off
	v_add_nc_u32_e32 v8, 32, v8
	v_add_co_u32 v2, s0, 0x200, v2
	s_delay_alu instid0(VALU_DEP_1) | instskip(NEXT) | instid1(VALU_DEP_3)
	v_add_co_ci_u32_e64 v3, s0, 0, v3, s0
	v_cmp_le_i32_e64 s1, s2, v8
	s_delay_alu instid0(VALU_DEP_1)
	s_or_b32 s8, s1, s8
	s_waitcnt vmcnt(0)
	ds_store_b128 v0, v[9:12]
	v_add_nc_u32_e32 v0, 0x200, v0
	s_and_not1_b32 exec_lo, exec_lo, s8
	s_cbranch_execnz .LBB107_6
.LBB107_7:
	s_or_b32 exec_lo, exec_lo, s20
	s_delay_alu instid0(SALU_CYCLE_1)
	s_and_b32 exec_lo, exec_lo, vcc_lo
	s_cbranch_execz .LBB107_44
; %bb.8:
	s_waitcnt lgkmcnt(0)
	s_clause 0x1
	global_load_b128 v[8:11], v5, s[4:5]
	global_load_b128 v[12:15], v5, s[6:7]
	v_mbcnt_lo_u32_b32 v2, -1, 0
	s_lshr_b32 s0, s3, 31
	s_ashr_i32 s1, s3, 31
	v_lshl_add_u32 v0, v4, 1, 0
	s_abs_i32 s2, s3
	s_add_i32 s0, s3, s0
	s_lshr_b32 s6, s1, 29
	s_lshr_b32 s1, s1, 28
	v_add_nc_u32_e32 v50, s15, v16
	v_cvt_f32_u32_e32 v16, s2
	v_xor_b32_e32 v20, 16, v2
	s_and_b32 s0, s0, -2
	s_add_i32 s6, s3, s6
	s_add_i32 s1, s3, s1
	v_add_nc_u32_e32 v41, s0, v0
	s_ashr_i32 s0, s6, 3
	s_ashr_i32 s1, s1, 4
	v_rcp_iflag_f32_e32 v16, v16
	v_xor_b32_e32 v21, 8, v2
	v_cmp_gt_i32_e32 vcc_lo, s0, v6
	v_xor_b32_e32 v25, s1, v2
	v_cmp_gt_i32_e64 s0, s1, v6
	v_cmp_gt_i32_e64 s1, 32, v20
	v_xor_b32_e32 v22, 4, v2
	s_sub_i32 s7, 0, s2
	v_xor_b32_e32 v23, 2, v2
	s_add_i32 s4, s18, s17
	v_cndmask_b32_e64 v20, v2, v20, s1
	v_cmp_gt_i32_e64 s1, 32, v21
	s_lshl_b32 s5, s14, 1
	s_add_i32 s4, s4, s16
	v_xor_b32_e32 v24, 1, v2
	s_sub_i32 s3, s4, s5
	v_cndmask_b32_e64 v21, v2, v21, s1
	v_mul_f32_e32 v16, 0x4f7ffffe, v16
	v_cmp_gt_i32_e64 s1, 32, v22
	v_mul_lo_u32 v1, s3, v1
	v_or_b32_e32 v3, 2, v5
	v_lshlrev_b32_e32 v21, 2, v21
	v_cvt_u32_f32_e32 v16, v16
	v_cndmask_b32_e64 v22, v2, v22, s1
	v_cmp_gt_i32_e64 s1, 32, v23
	v_or_b32_e32 v4, 4, v5
	v_or_b32_e32 v17, 6, v5
	v_mul_lo_u32 v30, s7, v16
	v_lshl_add_u32 v1, v1, 8, v7
	v_cndmask_b32_e64 v23, v2, v23, s1
	v_cmp_gt_i32_e64 s1, 32, v24
	v_or_b32_e32 v27, 10, v5
	v_or_b32_e32 v26, 8, v5
	;; [unrolled: 1-line block ×4, first 2 shown]
	v_mul_hi_u32 v30, v16, v30
	v_cndmask_b32_e64 v24, v2, v24, s1
	v_cmp_gt_i32_e64 s1, 32, v25
	v_lshlrev_b32_e32 v20, 2, v20
	v_lshlrev_b32_e32 v22, 2, v22
	;; [unrolled: 1-line block ×4, first 2 shown]
	v_cndmask_b32_e64 v2, v2, v25, s1
	v_add_nc_u32_e32 v7, v16, v30
	v_lshl_or_b32 v16, v6, 3, v1
	v_add3_u32 v50, v50, v5, 0
	s_mov_b32 s3, 0
	v_lshlrev_b32_e32 v25, 2, v2
	v_mul_hi_u32 v1, v5, v7
	v_mul_hi_u32 v2, v3, v7
	;; [unrolled: 1-line block ×8, first 2 shown]
	v_mul_lo_u32 v1, v1, s2
	v_mul_lo_u32 v2, v2, s2
	;; [unrolled: 1-line block ×8, first 2 shown]
	v_sub_nc_u32_e32 v1, v5, v1
	v_sub_nc_u32_e32 v2, v3, v2
	v_sub_nc_u32_e32 v3, v4, v6
	v_sub_nc_u32_e32 v4, v17, v30
	v_sub_nc_u32_e32 v17, v27, v32
	v_subrev_nc_u32_e32 v27, s2, v1
	v_cmp_le_u32_e64 s1, s2, v1
	v_sub_nc_u32_e32 v6, v26, v31
	v_sub_nc_u32_e32 v26, v28, v33
	v_subrev_nc_u32_e32 v28, s2, v2
	v_sub_nc_u32_e32 v7, v29, v7
	v_cndmask_b32_e64 v1, v1, v27, s1
	v_cmp_le_u32_e64 s1, s2, v2
	v_subrev_nc_u32_e32 v29, s2, v3
	v_subrev_nc_u32_e32 v30, s2, v4
	v_subrev_nc_u32_e32 v31, s2, v6
	v_subrev_nc_u32_e32 v32, s2, v17
	v_cndmask_b32_e64 v2, v2, v28, s1
	v_cmp_le_u32_e64 s1, s2, v3
	v_subrev_nc_u32_e32 v33, s2, v26
	v_subrev_nc_u32_e32 v34, s2, v7
	;; [unrolled: 1-line block ×4, first 2 shown]
	v_cndmask_b32_e64 v3, v3, v29, s1
	v_cmp_le_u32_e64 s1, s2, v4
	s_mov_b32 s4, 0
	s_delay_alu instid0(VALU_DEP_2) | instskip(NEXT) | instid1(VALU_DEP_2)
	v_subrev_nc_u32_e32 v29, s2, v3
	v_cndmask_b32_e64 v4, v4, v30, s1
	v_cmp_le_u32_e64 s1, s2, v6
	s_delay_alu instid0(VALU_DEP_2) | instskip(NEXT) | instid1(VALU_DEP_2)
	v_subrev_nc_u32_e32 v30, s2, v4
	v_cndmask_b32_e64 v6, v6, v31, s1
	v_cmp_le_u32_e64 s1, s2, v17
	;; [unrolled: 4-line block ×6, first 2 shown]
	s_delay_alu instid0(VALU_DEP_2) | instskip(NEXT) | instid1(VALU_DEP_2)
	v_and_b32_e32 v1, -2, v1
	v_cndmask_b32_e64 v2, v2, v28, s1
	v_cmp_le_u32_e64 s1, s2, v3
	s_delay_alu instid0(VALU_DEP_3) | instskip(NEXT) | instid1(VALU_DEP_3)
	v_add_nc_u32_e32 v27, v41, v1
	v_and_b32_e32 v2, -2, v2
	s_delay_alu instid0(VALU_DEP_3) | instskip(SKIP_1) | instid1(VALU_DEP_3)
	v_cndmask_b32_e64 v3, v3, v29, s1
	v_cmp_le_u32_e64 s1, s2, v4
	v_add_nc_u32_e32 v28, v0, v2
	s_delay_alu instid0(VALU_DEP_3) | instskip(NEXT) | instid1(VALU_DEP_3)
	v_and_b32_e32 v3, -2, v3
	v_cndmask_b32_e64 v4, v4, v30, s1
	v_cmp_le_u32_e64 s1, s2, v6
	v_add_nc_u32_e32 v29, v41, v2
	s_delay_alu instid0(VALU_DEP_4) | instskip(NEXT) | instid1(VALU_DEP_4)
	v_add_nc_u32_e32 v30, v0, v3
	v_and_b32_e32 v4, -2, v4
	s_delay_alu instid0(VALU_DEP_4) | instskip(SKIP_2) | instid1(VALU_DEP_3)
	v_cndmask_b32_e64 v6, v6, v31, s1
	v_cmp_le_u32_e64 s1, s2, v17
	v_add_nc_u32_e32 v31, v41, v3
	v_and_b32_e32 v6, -2, v6
	s_delay_alu instid0(VALU_DEP_3) | instskip(SKIP_2) | instid1(VALU_DEP_4)
	v_cndmask_b32_e64 v17, v17, v32, s1
	v_cmp_le_u32_e64 s1, s2, v26
	v_add_nc_u32_e32 v32, v0, v4
	v_add_nc_u32_e32 v35, v41, v6
	s_delay_alu instid0(VALU_DEP_4) | instskip(NEXT) | instid1(VALU_DEP_4)
	v_and_b32_e32 v17, -2, v17
	v_cndmask_b32_e64 v26, v26, v33, s1
	v_cmp_le_u32_e64 s1, s2, v7
	v_add_nc_u32_e32 v33, v41, v4
	s_delay_alu instid0(VALU_DEP_4) | instskip(NEXT) | instid1(VALU_DEP_4)
	v_add_nc_u32_e32 v36, v0, v17
	v_and_b32_e32 v39, -2, v26
	s_delay_alu instid0(VALU_DEP_4)
	v_cndmask_b32_e64 v7, v7, v34, s1
	v_add_nc_u32_e32 v26, v0, v1
	v_add_nc_u32_e32 v34, v0, v6
	;; [unrolled: 1-line block ×4, first 2 shown]
	v_and_b32_e32 v7, -2, v7
	v_add_nc_u32_e32 v39, v41, v39
	s_delay_alu instid0(VALU_DEP_2)
	v_add_nc_u32_e32 v40, v0, v7
	v_add_nc_u32_e32 v41, v41, v7
	s_waitcnt vmcnt(1)
	v_lshrrev_b32_e32 v42, 16, v8
	v_lshrrev_b32_e32 v43, 16, v9
	;; [unrolled: 1-line block ×4, first 2 shown]
	s_waitcnt vmcnt(0)
	v_lshrrev_b32_e32 v46, 16, v12
	v_lshrrev_b32_e32 v47, 16, v13
	;; [unrolled: 1-line block ×4, first 2 shown]
	s_branch .LBB107_10
.LBB107_9:                              ;   in Loop: Header=BB107_10 Depth=1
	s_or_b32 exec_lo, exec_lo, s2
	v_ashrrev_i32_e32 v17, 31, v16
	s_add_i32 s4, s4, 1
	v_perm_b32 v3, v58, v57, 0x7060302
	v_cmp_ge_i32_e64 s1, s4, v19
	v_perm_b32 v2, v56, v55, 0x7060302
	v_lshlrev_b64 v[4:5], 1, v[16:17]
	v_perm_b32 v1, v54, v53, 0x7060302
	v_perm_b32 v0, v52, v51, 0x7060302
	v_add_nc_u32_e32 v16, 0x100, v16
	v_add_nc_u32_e32 v50, 0x200, v50
	s_or_b32 s3, s1, s3
	v_add_co_u32 v4, s2, s12, v4
	s_delay_alu instid0(VALU_DEP_1)
	v_add_co_ci_u32_e64 v5, s2, s13, v5, s2
	global_store_b128 v[4:5], v[0:3], off
	s_and_not1_b32 exec_lo, exec_lo, s3
	s_cbranch_execz .LBB107_44
.LBB107_10:                             ; =>This Inner Loop Header: Depth=1
	ds_load_b128 v[0:3], v50
	s_waitcnt lgkmcnt(0)
	v_lshlrev_b32_e32 v7, 16, v1
	v_and_b32_e32 v4, 0xffff0000, v0
	v_and_b32_e32 v1, 0xffff0000, v1
	v_lshlrev_b32_e32 v0, 16, v0
	v_lshlrev_b32_e32 v17, 16, v2
	s_delay_alu instid0(VALU_DEP_4) | instskip(SKIP_2) | instid1(VALU_DEP_3)
	v_dual_mul_f32 v5, v4, v4 :: v_dual_lshlrev_b32 v52, 16, v3
	v_and_b32_e32 v51, 0xffff0000, v2
	v_and_b32_e32 v53, 0xffff0000, v3
	v_fmac_f32_e32 v5, v0, v0
	s_delay_alu instid0(VALU_DEP_1) | instskip(NEXT) | instid1(VALU_DEP_1)
	v_fmac_f32_e32 v5, v7, v7
	v_fmac_f32_e32 v5, v1, v1
	s_delay_alu instid0(VALU_DEP_1) | instskip(NEXT) | instid1(VALU_DEP_1)
	v_fmac_f32_e32 v5, v17, v17
	;; [unrolled: 3-line block ×3, first 2 shown]
	v_fmac_f32_e32 v5, v53, v53
	ds_bpermute_b32 v2, v20, v5
	s_waitcnt lgkmcnt(0)
	v_add_f32_e32 v2, v5, v2
	v_add_nc_u32_e32 v5, s4, v18
	ds_bpermute_b32 v3, v21, v2
	v_cmp_gt_i32_e64 s2, s16, v5
	s_delay_alu instid0(VALU_DEP_1)
	v_cndmask_b32_e64 v59, v49, v45, s2
	v_cndmask_b32_e64 v5, v46, v42, s2
	;; [unrolled: 1-line block ×7, first 2 shown]
	v_lshlrev_b32_e32 v6, 16, v6
	s_delay_alu instid0(VALU_DEP_4) | instskip(NEXT) | instid1(VALU_DEP_3)
	v_lshlrev_b32_e32 v54, 16, v54
	v_lshlrev_b32_e32 v56, 16, v56
	s_waitcnt lgkmcnt(0)
	v_add_f32_e32 v2, v2, v3
	ds_bpermute_b32 v3, v22, v2
	s_waitcnt lgkmcnt(0)
	v_add_f32_e32 v2, v2, v3
	ds_bpermute_b32 v3, v23, v2
	;; [unrolled: 3-line block ×3, first 2 shown]
	s_waitcnt lgkmcnt(0)
	v_add_f32_e32 v2, v2, v3
	s_delay_alu instid0(VALU_DEP_1) | instskip(NEXT) | instid1(VALU_DEP_1)
	v_fma_f32 v2, 0x3b800000, v2, s19
	v_mul_f32_e32 v3, 0x4b800000, v2
	v_cmp_gt_f32_e64 s1, 0x800000, v2
	s_delay_alu instid0(VALU_DEP_1) | instskip(SKIP_1) | instid1(VALU_DEP_2)
	v_cndmask_b32_e64 v2, v2, v3, s1
	v_cndmask_b32_e64 v3, v12, v8, s2
	v_rsq_f32_e32 v2, v2
	s_waitcnt_depctr 0xfff
	v_mul_f32_e32 v58, 0x45800000, v2
	s_delay_alu instid0(VALU_DEP_1) | instskip(SKIP_2) | instid1(VALU_DEP_3)
	v_cndmask_b32_e64 v2, v2, v58, s1
	v_lshlrev_b32_e32 v58, 16, v59
	v_lshlrev_b32_e32 v3, 16, v3
	v_mul_f32_e32 v59, v2, v6
	s_delay_alu instid0(VALU_DEP_3) | instskip(NEXT) | instid1(VALU_DEP_3)
	v_mul_f32_e32 v58, v2, v58
	v_mul_f32_e32 v3, v2, v3
	v_lshlrev_b32_e32 v5, 16, v5
	v_dual_mul_f32 v54, v2, v54 :: v_dual_lshlrev_b32 v57, 16, v57
	v_mul_f32_e32 v56, v2, v56
	s_delay_alu instid0(VALU_DEP_3) | instskip(NEXT) | instid1(VALU_DEP_3)
	v_dual_mul_f32 v6, v3, v0 :: v_dual_mul_f32 v5, v2, v5
	v_mul_f32_e32 v3, v54, v1
	s_delay_alu instid0(VALU_DEP_3) | instskip(NEXT) | instid1(VALU_DEP_3)
	v_mul_f32_e32 v1, v56, v51
	v_dual_mul_f32 v5, v5, v4 :: v_dual_mul_f32 v4, v59, v7
	v_mul_f32_e32 v57, v2, v57
	v_lshlrev_b32_e32 v55, 16, v55
	s_delay_alu instid0(VALU_DEP_2) | instskip(NEXT) | instid1(VALU_DEP_2)
	v_dual_mul_f32 v7, v58, v53 :: v_dual_mul_f32 v0, v57, v52
	v_mul_f32_e32 v55, v2, v55
	s_delay_alu instid0(VALU_DEP_1)
	v_mul_f32_e32 v2, v55, v17
	s_and_saveexec_b32 s1, vcc_lo
	s_cbranch_execz .LBB107_12
; %bb.11:                               ;   in Loop: Header=BB107_10 Depth=1
	; wave barrier
	ds_bpermute_b32 v17, v25, v6
	ds_load_u16 v51, v27
	ds_load_u16 v53, v29
	ds_bpermute_b32 v52, v25, v5
	ds_bpermute_b32 v54, v25, v4
	ds_load_u16 v55, v31
	ds_load_u16 v56, v26
	;; [unrolled: 1-line block ×4, first 2 shown]
	ds_bpermute_b32 v59, v25, v3
	ds_load_u16 v60, v32
	ds_load_u16 v61, v33
	ds_bpermute_b32 v62, v25, v2
	ds_load_u16 v63, v35
	ds_load_u16 v65, v37
	;; [unrolled: 1-line block ×3, first 2 shown]
	ds_bpermute_b32 v64, v25, v1
	ds_bpermute_b32 v66, v25, v0
	;; [unrolled: 1-line block ×3, first 2 shown]
	ds_load_u16 v69, v41
	ds_load_u16 v70, v34
	;; [unrolled: 1-line block ×3, first 2 shown]
	s_waitcnt lgkmcnt(21)
	v_cndmask_b32_e64 v17, v17, -v17, s0
	s_waitcnt lgkmcnt(20)
	v_cvt_f32_f16_e32 v51, v51
	s_waitcnt lgkmcnt(19)
	v_cvt_f32_f16_e32 v53, v53
	s_waitcnt lgkmcnt(18)
	v_cndmask_b32_e64 v52, v52, -v52, s0
	s_waitcnt lgkmcnt(17)
	v_cndmask_b32_e64 v54, v54, -v54, s0
	s_waitcnt lgkmcnt(16)
	v_cvt_f32_f16_e32 v55, v55
	v_mul_f32_e32 v17, v17, v51
	s_delay_alu instid0(VALU_DEP_2)
	v_dual_mul_f32 v51, v52, v53 :: v_dual_mul_f32 v52, v54, v55
	ds_load_u16 v53, v38
	ds_load_u16 v54, v40
	s_waitcnt lgkmcnt(17)
	v_fma_mix_f32 v6, v6, v56, v17 op_sel_hi:[0,1,0]
	s_waitcnt lgkmcnt(16)
	v_fma_mix_f32 v5, v5, v57, v51 op_sel_hi:[0,1,0]
	s_waitcnt lgkmcnt(14)
	v_cndmask_b32_e64 v17, v59, -v59, s0
	v_fma_mix_f32 v4, v4, v58, v52 op_sel_hi:[0,1,0]
	s_waitcnt lgkmcnt(12)
	v_cvt_f32_f16_e32 v51, v61
	s_waitcnt lgkmcnt(11)
	v_cndmask_b32_e64 v52, v62, -v62, s0
	s_waitcnt lgkmcnt(10)
	v_cvt_f32_f16_e32 v55, v63
	s_waitcnt lgkmcnt(7)
	v_cndmask_b32_e64 v56, v64, -v64, s0
	v_cvt_f32_f16_e32 v57, v65
	s_waitcnt lgkmcnt(6)
	v_cndmask_b32_e64 v58, v66, -v66, s0
	;; [unrolled: 3-line block ×3, first 2 shown]
	s_waitcnt lgkmcnt(4)
	v_cvt_f32_f16_e32 v62, v69
	v_mul_f32_e32 v17, v17, v51
	v_mul_f32_e32 v51, v52, v55
	v_dual_mul_f32 v52, v56, v57 :: v_dual_mul_f32 v55, v58, v59
	s_delay_alu instid0(VALU_DEP_4) | instskip(NEXT) | instid1(VALU_DEP_4)
	v_mul_f32_e32 v56, v61, v62
	v_fma_mix_f32 v3, v3, v60, v17 op_sel_hi:[0,1,0]
	s_waitcnt lgkmcnt(3)
	v_fma_mix_f32 v2, v2, v70, v51 op_sel_hi:[0,1,0]
	s_waitcnt lgkmcnt(2)
	;; [unrolled: 2-line block ×4, first 2 shown]
	v_fma_mix_f32 v7, v7, v54, v56 op_sel_hi:[0,1,0]
	; wave barrier
.LBB107_12:                             ;   in Loop: Header=BB107_10 Depth=1
	s_or_b32 exec_lo, exec_lo, s1
	v_and_b32_e32 v17, 0x7f800000, v6
                                        ; implicit-def: $vgpr51
	s_delay_alu instid0(VALU_DEP_1) | instskip(NEXT) | instid1(VALU_DEP_1)
	v_cmp_ne_u32_e64 s1, 0x7f800000, v17
	s_and_saveexec_b32 s2, s1
	s_delay_alu instid0(SALU_CYCLE_1)
	s_xor_b32 s1, exec_lo, s2
; %bb.13:                               ;   in Loop: Header=BB107_10 Depth=1
	v_bfe_u32 v17, v6, 16, 1
	s_delay_alu instid0(VALU_DEP_1)
	v_add3_u32 v51, v6, v17, 0x7fff
; %bb.14:                               ;   in Loop: Header=BB107_10 Depth=1
	s_and_not1_saveexec_b32 s2, s1
; %bb.15:                               ;   in Loop: Header=BB107_10 Depth=1
	v_and_b32_e32 v17, 0xffff, v6
	v_or_b32_e32 v51, 0x10000, v6
	s_delay_alu instid0(VALU_DEP_2) | instskip(NEXT) | instid1(VALU_DEP_1)
	v_cmp_eq_u32_e64 s1, 0, v17
	v_cndmask_b32_e64 v51, v51, v6, s1
; %bb.16:                               ;   in Loop: Header=BB107_10 Depth=1
	s_or_b32 exec_lo, exec_lo, s2
	v_and_b32_e32 v6, 0x7f800000, v5
                                        ; implicit-def: $vgpr52
	s_delay_alu instid0(VALU_DEP_1) | instskip(NEXT) | instid1(VALU_DEP_1)
	v_cmp_ne_u32_e64 s1, 0x7f800000, v6
	s_and_saveexec_b32 s2, s1
	s_delay_alu instid0(SALU_CYCLE_1)
	s_xor_b32 s1, exec_lo, s2
; %bb.17:                               ;   in Loop: Header=BB107_10 Depth=1
	v_bfe_u32 v6, v5, 16, 1
	s_delay_alu instid0(VALU_DEP_1)
	v_add3_u32 v52, v5, v6, 0x7fff
; %bb.18:                               ;   in Loop: Header=BB107_10 Depth=1
	s_and_not1_saveexec_b32 s2, s1
; %bb.19:                               ;   in Loop: Header=BB107_10 Depth=1
	v_and_b32_e32 v6, 0xffff, v5
	v_or_b32_e32 v17, 0x10000, v5
	s_delay_alu instid0(VALU_DEP_2) | instskip(NEXT) | instid1(VALU_DEP_1)
	v_cmp_eq_u32_e64 s1, 0, v6
	v_cndmask_b32_e64 v52, v17, v5, s1
; %bb.20:                               ;   in Loop: Header=BB107_10 Depth=1
	s_or_b32 exec_lo, exec_lo, s2
	v_and_b32_e32 v5, 0x7f800000, v4
                                        ; implicit-def: $vgpr53
	s_delay_alu instid0(VALU_DEP_1) | instskip(NEXT) | instid1(VALU_DEP_1)
	v_cmp_ne_u32_e64 s1, 0x7f800000, v5
	s_and_saveexec_b32 s2, s1
	s_delay_alu instid0(SALU_CYCLE_1)
	s_xor_b32 s1, exec_lo, s2
; %bb.21:                               ;   in Loop: Header=BB107_10 Depth=1
	v_bfe_u32 v5, v4, 16, 1
	s_delay_alu instid0(VALU_DEP_1)
	v_add3_u32 v53, v4, v5, 0x7fff
; %bb.22:                               ;   in Loop: Header=BB107_10 Depth=1
	s_and_not1_saveexec_b32 s2, s1
; %bb.23:                               ;   in Loop: Header=BB107_10 Depth=1
	v_and_b32_e32 v5, 0xffff, v4
	v_or_b32_e32 v6, 0x10000, v4
	s_delay_alu instid0(VALU_DEP_2) | instskip(NEXT) | instid1(VALU_DEP_1)
	v_cmp_eq_u32_e64 s1, 0, v5
	v_cndmask_b32_e64 v53, v6, v4, s1
; %bb.24:                               ;   in Loop: Header=BB107_10 Depth=1
	s_or_b32 exec_lo, exec_lo, s2
	v_and_b32_e32 v4, 0x7f800000, v3
                                        ; implicit-def: $vgpr54
	s_delay_alu instid0(VALU_DEP_1) | instskip(NEXT) | instid1(VALU_DEP_1)
	v_cmp_ne_u32_e64 s1, 0x7f800000, v4
	s_and_saveexec_b32 s2, s1
	s_delay_alu instid0(SALU_CYCLE_1)
	s_xor_b32 s1, exec_lo, s2
; %bb.25:                               ;   in Loop: Header=BB107_10 Depth=1
	v_bfe_u32 v4, v3, 16, 1
	s_delay_alu instid0(VALU_DEP_1)
	v_add3_u32 v54, v3, v4, 0x7fff
; %bb.26:                               ;   in Loop: Header=BB107_10 Depth=1
	s_and_not1_saveexec_b32 s2, s1
; %bb.27:                               ;   in Loop: Header=BB107_10 Depth=1
	v_and_b32_e32 v4, 0xffff, v3
	v_or_b32_e32 v5, 0x10000, v3
	s_delay_alu instid0(VALU_DEP_2) | instskip(NEXT) | instid1(VALU_DEP_1)
	v_cmp_eq_u32_e64 s1, 0, v4
	v_cndmask_b32_e64 v54, v5, v3, s1
; %bb.28:                               ;   in Loop: Header=BB107_10 Depth=1
	s_or_b32 exec_lo, exec_lo, s2
	v_and_b32_e32 v3, 0x7f800000, v2
                                        ; implicit-def: $vgpr55
	s_delay_alu instid0(VALU_DEP_1) | instskip(NEXT) | instid1(VALU_DEP_1)
	v_cmp_ne_u32_e64 s1, 0x7f800000, v3
	s_and_saveexec_b32 s2, s1
	s_delay_alu instid0(SALU_CYCLE_1)
	s_xor_b32 s1, exec_lo, s2
; %bb.29:                               ;   in Loop: Header=BB107_10 Depth=1
	v_bfe_u32 v3, v2, 16, 1
	s_delay_alu instid0(VALU_DEP_1)
	v_add3_u32 v55, v2, v3, 0x7fff
; %bb.30:                               ;   in Loop: Header=BB107_10 Depth=1
	s_and_not1_saveexec_b32 s2, s1
; %bb.31:                               ;   in Loop: Header=BB107_10 Depth=1
	v_and_b32_e32 v3, 0xffff, v2
	v_or_b32_e32 v4, 0x10000, v2
	s_delay_alu instid0(VALU_DEP_2) | instskip(NEXT) | instid1(VALU_DEP_1)
	v_cmp_eq_u32_e64 s1, 0, v3
	v_cndmask_b32_e64 v55, v4, v2, s1
; %bb.32:                               ;   in Loop: Header=BB107_10 Depth=1
	s_or_b32 exec_lo, exec_lo, s2
	v_and_b32_e32 v2, 0x7f800000, v1
                                        ; implicit-def: $vgpr56
	s_delay_alu instid0(VALU_DEP_1) | instskip(NEXT) | instid1(VALU_DEP_1)
	v_cmp_ne_u32_e64 s1, 0x7f800000, v2
	s_and_saveexec_b32 s2, s1
	s_delay_alu instid0(SALU_CYCLE_1)
	s_xor_b32 s1, exec_lo, s2
; %bb.33:                               ;   in Loop: Header=BB107_10 Depth=1
	v_bfe_u32 v2, v1, 16, 1
	s_delay_alu instid0(VALU_DEP_1)
	v_add3_u32 v56, v1, v2, 0x7fff
; %bb.34:                               ;   in Loop: Header=BB107_10 Depth=1
	s_and_not1_saveexec_b32 s2, s1
; %bb.35:                               ;   in Loop: Header=BB107_10 Depth=1
	v_and_b32_e32 v2, 0xffff, v1
	v_or_b32_e32 v3, 0x10000, v1
	s_delay_alu instid0(VALU_DEP_2) | instskip(NEXT) | instid1(VALU_DEP_1)
	v_cmp_eq_u32_e64 s1, 0, v2
	v_cndmask_b32_e64 v56, v3, v1, s1
; %bb.36:                               ;   in Loop: Header=BB107_10 Depth=1
	s_or_b32 exec_lo, exec_lo, s2
	v_and_b32_e32 v1, 0x7f800000, v0
                                        ; implicit-def: $vgpr57
	s_delay_alu instid0(VALU_DEP_1) | instskip(NEXT) | instid1(VALU_DEP_1)
	v_cmp_ne_u32_e64 s1, 0x7f800000, v1
	s_and_saveexec_b32 s2, s1
	s_delay_alu instid0(SALU_CYCLE_1)
	s_xor_b32 s1, exec_lo, s2
; %bb.37:                               ;   in Loop: Header=BB107_10 Depth=1
	v_bfe_u32 v1, v0, 16, 1
	s_delay_alu instid0(VALU_DEP_1)
	v_add3_u32 v57, v0, v1, 0x7fff
; %bb.38:                               ;   in Loop: Header=BB107_10 Depth=1
	s_and_not1_saveexec_b32 s2, s1
; %bb.39:                               ;   in Loop: Header=BB107_10 Depth=1
	v_and_b32_e32 v1, 0xffff, v0
	v_or_b32_e32 v2, 0x10000, v0
	s_delay_alu instid0(VALU_DEP_2) | instskip(NEXT) | instid1(VALU_DEP_1)
	v_cmp_eq_u32_e64 s1, 0, v1
	v_cndmask_b32_e64 v57, v2, v0, s1
; %bb.40:                               ;   in Loop: Header=BB107_10 Depth=1
	s_or_b32 exec_lo, exec_lo, s2
	v_and_b32_e32 v0, 0x7f800000, v7
                                        ; implicit-def: $vgpr58
	s_delay_alu instid0(VALU_DEP_1) | instskip(NEXT) | instid1(VALU_DEP_1)
	v_cmp_ne_u32_e64 s1, 0x7f800000, v0
	s_and_saveexec_b32 s2, s1
	s_delay_alu instid0(SALU_CYCLE_1)
	s_xor_b32 s1, exec_lo, s2
; %bb.41:                               ;   in Loop: Header=BB107_10 Depth=1
	v_bfe_u32 v0, v7, 16, 1
	s_delay_alu instid0(VALU_DEP_1)
	v_add3_u32 v58, v7, v0, 0x7fff
                                        ; implicit-def: $vgpr0_vgpr1_vgpr2_vgpr3_vgpr4_vgpr5_vgpr6_vgpr7
; %bb.42:                               ;   in Loop: Header=BB107_10 Depth=1
	s_and_not1_saveexec_b32 s2, s1
	s_cbranch_execz .LBB107_9
; %bb.43:                               ;   in Loop: Header=BB107_10 Depth=1
	v_and_b32_e32 v0, 0xffff, v7
	v_or_b32_e32 v1, 0x10000, v7
	s_delay_alu instid0(VALU_DEP_2) | instskip(NEXT) | instid1(VALU_DEP_1)
	v_cmp_eq_u32_e64 s1, 0, v0
	v_cndmask_b32_e64 v58, v1, v7, s1
	s_branch .LBB107_9
.LBB107_44:
	s_nop 0
	s_sendmsg sendmsg(MSG_DEALLOC_VGPRS)
	s_endpgm
	.section	.rodata,"a",@progbits
	.p2align	6, 0x0
	.amdhsa_kernel _ZN12tensorrt_llm7kernels32fusedQKNormRopeKernelNTokenHeadsIN3c108BFloat16ENS2_4HalfELi256ELb0ELi2EEEvPviiifPKvS7_S7_PKlii
		.amdhsa_group_segment_fixed_size 0
		.amdhsa_private_segment_fixed_size 0
		.amdhsa_kernarg_size 320
		.amdhsa_user_sgpr_count 15
		.amdhsa_user_sgpr_dispatch_ptr 0
		.amdhsa_user_sgpr_queue_ptr 0
		.amdhsa_user_sgpr_kernarg_segment_ptr 1
		.amdhsa_user_sgpr_dispatch_id 0
		.amdhsa_user_sgpr_private_segment_size 0
		.amdhsa_wavefront_size32 1
		.amdhsa_uses_dynamic_stack 0
		.amdhsa_enable_private_segment 0
		.amdhsa_system_sgpr_workgroup_id_x 1
		.amdhsa_system_sgpr_workgroup_id_y 0
		.amdhsa_system_sgpr_workgroup_id_z 0
		.amdhsa_system_sgpr_workgroup_info 0
		.amdhsa_system_vgpr_workitem_id 0
		.amdhsa_next_free_vgpr 72
		.amdhsa_next_free_sgpr 21
		.amdhsa_reserve_vcc 1
		.amdhsa_float_round_mode_32 0
		.amdhsa_float_round_mode_16_64 0
		.amdhsa_float_denorm_mode_32 3
		.amdhsa_float_denorm_mode_16_64 3
		.amdhsa_dx10_clamp 1
		.amdhsa_ieee_mode 1
		.amdhsa_fp16_overflow 0
		.amdhsa_workgroup_processor_mode 1
		.amdhsa_memory_ordered 1
		.amdhsa_forward_progress 0
		.amdhsa_shared_vgpr_count 0
		.amdhsa_exception_fp_ieee_invalid_op 0
		.amdhsa_exception_fp_denorm_src 0
		.amdhsa_exception_fp_ieee_div_zero 0
		.amdhsa_exception_fp_ieee_overflow 0
		.amdhsa_exception_fp_ieee_underflow 0
		.amdhsa_exception_fp_ieee_inexact 0
		.amdhsa_exception_int_div_zero 0
	.end_amdhsa_kernel
	.section	.text._ZN12tensorrt_llm7kernels32fusedQKNormRopeKernelNTokenHeadsIN3c108BFloat16ENS2_4HalfELi256ELb0ELi2EEEvPviiifPKvS7_S7_PKlii,"axG",@progbits,_ZN12tensorrt_llm7kernels32fusedQKNormRopeKernelNTokenHeadsIN3c108BFloat16ENS2_4HalfELi256ELb0ELi2EEEvPviiifPKvS7_S7_PKlii,comdat
.Lfunc_end107:
	.size	_ZN12tensorrt_llm7kernels32fusedQKNormRopeKernelNTokenHeadsIN3c108BFloat16ENS2_4HalfELi256ELb0ELi2EEEvPviiifPKvS7_S7_PKlii, .Lfunc_end107-_ZN12tensorrt_llm7kernels32fusedQKNormRopeKernelNTokenHeadsIN3c108BFloat16ENS2_4HalfELi256ELb0ELi2EEEvPviiifPKvS7_S7_PKlii
                                        ; -- End function
	.section	.AMDGPU.csdata,"",@progbits
; Kernel info:
; codeLenInByte = 3852
; NumSgprs: 23
; NumVgprs: 72
; ScratchSize: 0
; MemoryBound: 0
; FloatMode: 240
; IeeeMode: 1
; LDSByteSize: 0 bytes/workgroup (compile time only)
; SGPRBlocks: 2
; VGPRBlocks: 8
; NumSGPRsForWavesPerEU: 23
; NumVGPRsForWavesPerEU: 72
; Occupancy: 16
; WaveLimiterHint : 0
; COMPUTE_PGM_RSRC2:SCRATCH_EN: 0
; COMPUTE_PGM_RSRC2:USER_SGPR: 15
; COMPUTE_PGM_RSRC2:TRAP_HANDLER: 0
; COMPUTE_PGM_RSRC2:TGID_X_EN: 1
; COMPUTE_PGM_RSRC2:TGID_Y_EN: 0
; COMPUTE_PGM_RSRC2:TGID_Z_EN: 0
; COMPUTE_PGM_RSRC2:TIDIG_COMP_CNT: 0
	.section	.text._ZN12tensorrt_llm7kernels32fusedQKNormRopeKernelNTokenHeadsIN3c108BFloat16ENS2_4HalfELi64ELb1ELi4EEEvPviiifPKvS7_S7_PKlii,"axG",@progbits,_ZN12tensorrt_llm7kernels32fusedQKNormRopeKernelNTokenHeadsIN3c108BFloat16ENS2_4HalfELi64ELb1ELi4EEEvPviiifPKvS7_S7_PKlii,comdat
	.protected	_ZN12tensorrt_llm7kernels32fusedQKNormRopeKernelNTokenHeadsIN3c108BFloat16ENS2_4HalfELi64ELb1ELi4EEEvPviiifPKvS7_S7_PKlii ; -- Begin function _ZN12tensorrt_llm7kernels32fusedQKNormRopeKernelNTokenHeadsIN3c108BFloat16ENS2_4HalfELi64ELb1ELi4EEEvPviiifPKvS7_S7_PKlii
	.globl	_ZN12tensorrt_llm7kernels32fusedQKNormRopeKernelNTokenHeadsIN3c108BFloat16ENS2_4HalfELi64ELb1ELi4EEEvPviiifPKvS7_S7_PKlii
	.p2align	8
	.type	_ZN12tensorrt_llm7kernels32fusedQKNormRopeKernelNTokenHeadsIN3c108BFloat16ENS2_4HalfELi64ELb1ELi4EEEvPviiifPKvS7_S7_PKlii,@function
_ZN12tensorrt_llm7kernels32fusedQKNormRopeKernelNTokenHeadsIN3c108BFloat16ENS2_4HalfELi64ELb1ELi4EEEvPviiifPKvS7_S7_PKlii: ; @_ZN12tensorrt_llm7kernels32fusedQKNormRopeKernelNTokenHeadsIN3c108BFloat16ENS2_4HalfELi64ELb1ELi4EEEvPviiifPKvS7_S7_PKlii
; %bb.0:
	s_clause 0x1
	s_load_b128 s[16:19], s[0:1], 0x8
	s_load_b64 s[2:3], s[0:1], 0x38
	v_lshrrev_b32_e32 v2, 5, v0
	s_waitcnt lgkmcnt(0)
	s_add_i32 s4, s17, s16
	s_delay_alu instid0(SALU_CYCLE_1) | instskip(NEXT) | instid1(SALU_CYCLE_1)
	s_add_i32 s5, s4, 3
	s_ashr_i32 s6, s5, 31
	s_delay_alu instid0(SALU_CYCLE_1) | instskip(NEXT) | instid1(SALU_CYCLE_1)
	s_lshr_b32 s6, s6, 30
	s_add_i32 s5, s5, s6
	s_delay_alu instid0(SALU_CYCLE_1) | instskip(SKIP_2) | instid1(SALU_CYCLE_1)
	s_ashr_i32 s14, s5, 2
	s_load_b32 s5, s[0:1], 0x4c
	s_abs_i32 s6, s14
	v_cvt_f32_u32_e32 v1, s6
	s_sub_i32 s7, 0, s6
	s_delay_alu instid0(VALU_DEP_1) | instskip(SKIP_4) | instid1(SALU_CYCLE_1)
	v_rcp_iflag_f32_e32 v1, v1
	s_waitcnt_depctr 0xfff
	v_mul_f32_e32 v1, 0x4f7ffffe, v1
	s_waitcnt lgkmcnt(0)
	s_bfe_u32 s5, s5, 0xb0005
	v_mad_u64_u32 v[3:4], null, s15, s5, v[2:3]
	s_delay_alu instid0(VALU_DEP_2) | instskip(NEXT) | instid1(VALU_DEP_1)
	v_cvt_u32_f32_e32 v1, v1
	v_mul_lo_u32 v5, s7, v1
	s_delay_alu instid0(VALU_DEP_1) | instskip(NEXT) | instid1(VALU_DEP_4)
	v_mul_hi_u32 v4, v1, v5
	v_sub_nc_u32_e32 v5, 0, v3
	s_delay_alu instid0(VALU_DEP_1) | instskip(NEXT) | instid1(VALU_DEP_3)
	v_max_i32_e32 v5, v3, v5
	v_add_nc_u32_e32 v1, v1, v4
	s_delay_alu instid0(VALU_DEP_1) | instskip(NEXT) | instid1(VALU_DEP_1)
	v_mul_hi_u32 v1, v5, v1
	v_mul_lo_u32 v4, v1, s6
	s_delay_alu instid0(VALU_DEP_1) | instskip(SKIP_1) | instid1(VALU_DEP_2)
	v_sub_nc_u32_e32 v4, v5, v4
	v_add_nc_u32_e32 v5, 1, v1
	v_subrev_nc_u32_e32 v6, s6, v4
	v_cmp_le_u32_e32 vcc_lo, s6, v4
	s_delay_alu instid0(VALU_DEP_2) | instskip(SKIP_1) | instid1(VALU_DEP_2)
	v_dual_cndmask_b32 v4, v4, v6 :: v_dual_cndmask_b32 v1, v1, v5
	v_xor_b32_e32 v5, s14, v3
	v_cmp_le_u32_e32 vcc_lo, s6, v4
	s_delay_alu instid0(VALU_DEP_3) | instskip(NEXT) | instid1(VALU_DEP_3)
	v_add_nc_u32_e32 v6, 1, v1
	v_ashrrev_i32_e32 v5, 31, v5
	s_delay_alu instid0(VALU_DEP_2) | instskip(NEXT) | instid1(VALU_DEP_1)
	v_cndmask_b32_e32 v1, v1, v6, vcc_lo
	v_xor_b32_e32 v1, v1, v5
	s_delay_alu instid0(VALU_DEP_1) | instskip(NEXT) | instid1(VALU_DEP_1)
	v_sub_nc_u32_e32 v1, v1, v5
	v_cmp_gt_i32_e32 vcc_lo, s2, v1
	s_and_saveexec_b32 s2, vcc_lo
	s_cbranch_execz .LBB108_20
; %bb.1:
	v_mul_lo_u32 v4, v1, s14
	s_load_b64 s[12:13], s[0:1], 0x0
	v_and_b32_e32 v7, 31, v0
	v_lshlrev_b32_e32 v8, 9, v2
	v_lshlrev_b32_e32 v0, 8, v3
	s_lshl_b32 s20, s3, 1
	s_delay_alu instid0(VALU_DEP_3) | instskip(SKIP_2) | instid1(VALU_DEP_1)
	v_lshlrev_b32_e32 v9, 2, v7
	v_sub_nc_u32_e32 v4, v3, v4
	s_mul_i32 s15, s20, s5
	v_lshlrev_b32_e32 v5, 2, v4
	s_delay_alu instid0(VALU_DEP_1) | instskip(SKIP_1) | instid1(VALU_DEP_2)
	v_add_nc_u32_e32 v4, 4, v5
	v_sub_nc_u32_e32 v6, s4, v5
	v_cmp_lt_i32_e32 vcc_lo, s4, v4
	s_delay_alu instid0(VALU_DEP_2) | instskip(NEXT) | instid1(VALU_DEP_1)
	v_cndmask_b32_e32 v6, 4, v6, vcc_lo
	v_cmp_lt_i32_e32 vcc_lo, 0, v6
	s_and_saveexec_b32 s4, vcc_lo
	s_cbranch_execz .LBB108_4
; %bb.2:
	s_add_i32 s2, s18, s17
	s_lshl_b32 s5, s14, 2
	s_add_i32 s2, s2, s16
	s_mov_b32 s6, 0
	s_sub_i32 s2, s2, s5
	s_mov_b32 s5, 0
	v_mul_lo_u32 v3, s2, v1
	s_add_i32 s2, s15, 0
	s_delay_alu instid0(SALU_CYCLE_1) | instskip(NEXT) | instid1(VALU_DEP_2)
	v_add3_u32 v10, s2, v8, v9
	v_lshl_add_u32 v3, v3, 6, v0
	s_delay_alu instid0(VALU_DEP_1)
	v_lshl_or_b32 v3, v7, 1, v3
	.p2align	6
.LBB108_3:                              ; =>This Inner Loop Header: Depth=1
	s_delay_alu instid0(VALU_DEP_1) | instskip(SKIP_1) | instid1(VALU_DEP_1)
	v_ashrrev_i32_e32 v4, 31, v3
	s_add_i32 s6, s6, 1
	v_lshlrev_b64 v[11:12], 1, v[3:4]
	v_add_nc_u32_e32 v3, 64, v3
	s_waitcnt lgkmcnt(0)
	s_delay_alu instid0(VALU_DEP_2) | instskip(NEXT) | instid1(VALU_DEP_1)
	v_add_co_u32 v11, s2, s12, v11
	v_add_co_ci_u32_e64 v12, s2, s13, v12, s2
	v_cmp_ge_i32_e64 s2, s6, v6
	global_load_b32 v4, v[11:12], off
	s_or_b32 s5, s2, s5
	s_waitcnt vmcnt(0)
	ds_store_b32 v10, v4
	v_add_nc_u32_e32 v10, 0x80, v10
	s_and_not1_b32 exec_lo, exec_lo, s5
	s_cbranch_execnz .LBB108_3
.LBB108_4:
	s_or_b32 exec_lo, exec_lo, s4
	s_load_b256 s[4:11], s[0:1], 0x18
	v_mul_lo_u32 v2, v2, s3
	s_add_i32 s0, s20, 15
	s_mov_b32 s20, exec_lo
	s_ashr_i32 s1, s0, 31
	s_delay_alu instid0(SALU_CYCLE_1) | instskip(NEXT) | instid1(SALU_CYCLE_1)
	s_lshr_b32 s1, s1, 28
	s_add_i32 s0, s0, s1
	s_delay_alu instid0(VALU_DEP_1) | instskip(SKIP_1) | instid1(SALU_CYCLE_1)
	v_lshlrev_b32_e32 v10, 1, v2
	s_ashr_i32 s2, s0, 4
	v_cmpx_gt_i32_e64 s2, v7
	s_cbranch_execz .LBB108_7
; %bb.5:
	v_ashrrev_i32_e32 v2, 31, v1
	s_delay_alu instid0(VALU_DEP_1) | instskip(SKIP_1) | instid1(VALU_DEP_1)
	v_lshlrev_b64 v[2:3], 3, v[1:2]
	s_waitcnt lgkmcnt(0)
	v_add_co_u32 v2, s0, s10, v2
	s_delay_alu instid0(VALU_DEP_1)
	v_add_co_ci_u32_e64 v3, s0, s11, v3, s0
	s_ashr_i32 s0, s3, 31
	global_load_b64 v[2:3], v[2:3], off
	s_waitcnt vmcnt(0)
	v_mul_lo_u32 v11, v3, s3
	v_mul_lo_u32 v12, v2, s0
	v_mad_u64_u32 v[3:4], null, v2, s3, 0
	s_delay_alu instid0(VALU_DEP_1) | instskip(SKIP_1) | instid1(VALU_DEP_2)
	v_add3_u32 v4, v4, v12, v11
	v_mov_b32_e32 v11, v7
	v_lshlrev_b64 v[2:3], 1, v[3:4]
	v_lshlrev_b32_e32 v4, 4, v7
	s_delay_alu instid0(VALU_DEP_1) | instskip(NEXT) | instid1(VALU_DEP_1)
	v_add_co_u32 v2, s0, v2, v4
	v_add_co_ci_u32_e64 v3, s0, 0, v3, s0
	v_add3_u32 v4, v10, v4, 0
	s_delay_alu instid0(VALU_DEP_3) | instskip(NEXT) | instid1(VALU_DEP_1)
	v_add_co_u32 v2, s0, s8, v2
	v_add_co_ci_u32_e64 v3, s0, s9, v3, s0
	s_mov_b32 s8, 0
	.p2align	6
.LBB108_6:                              ; =>This Inner Loop Header: Depth=1
	global_load_b128 v[12:15], v[2:3], off
	v_add_nc_u32_e32 v11, 32, v11
	v_add_co_u32 v2, s0, 0x200, v2
	s_delay_alu instid0(VALU_DEP_1) | instskip(NEXT) | instid1(VALU_DEP_3)
	v_add_co_ci_u32_e64 v3, s0, 0, v3, s0
	v_cmp_le_i32_e64 s1, s2, v11
	s_delay_alu instid0(VALU_DEP_1)
	s_or_b32 s8, s1, s8
	s_waitcnt vmcnt(0)
	ds_store_b128 v4, v[12:15]
	v_add_nc_u32_e32 v4, 0x200, v4
	s_and_not1_b32 exec_lo, exec_lo, s8
	s_cbranch_execnz .LBB108_6
.LBB108_7:
	s_or_b32 exec_lo, exec_lo, s20
	s_delay_alu instid0(SALU_CYCLE_1)
	s_and_b32 exec_lo, exec_lo, vcc_lo
	s_cbranch_execz .LBB108_20
; %bb.8:
	s_waitcnt lgkmcnt(0)
	s_clause 0x1
	global_load_b32 v3, v9, s[4:5]
	global_load_b32 v4, v9, s[6:7]
	v_mbcnt_lo_u32_b32 v11, -1, 0
	s_lshr_b32 s0, s3, 31
	s_add_i32 s1, s18, s17
	s_lshl_b32 s2, s14, 2
	s_add_i32 s0, s3, s0
	v_xor_b32_e32 v13, 16, v11
	s_add_i32 s1, s1, s16
	s_ashr_i32 s3, s0, 1
	s_and_b32 s4, s0, -2
	s_sub_i32 s0, s1, s2
	v_lshlrev_b32_e32 v2, 1, v7
	v_xor_b32_e32 v14, 8, v11
	v_mul_lo_u32 v1, s0, v1
	v_cmp_gt_i32_e64 s0, 32, v13
	v_add_nc_u32_e32 v12, s15, v8
	v_xor_b32_e32 v15, 4, v11
	v_add3_u32 v8, 0, v10, v2
	v_xor_b32_e32 v16, 2, v11
	v_cndmask_b32_e64 v10, v11, v13, s0
	v_cmp_gt_i32_e64 s0, 32, v14
	v_add3_u32 v9, v12, v9, 0
	v_xor_b32_e32 v17, 1, v11
	v_lshl_add_u32 v0, v1, 6, v0
	v_cmp_le_i32_e32 vcc_lo, s3, v7
	v_cndmask_b32_e64 v12, v11, v14, s0
	v_cmp_gt_i32_e64 s0, 32, v15
	v_add_nc_u32_e32 v7, s4, v8
	v_lshlrev_b32_e32 v10, 2, v10
	v_or_b32_e32 v0, v0, v2
	s_mov_b32 s2, 0
	v_cndmask_b32_e64 v13, v11, v15, s0
	v_cmp_gt_i32_e64 s0, 32, v16
	s_mov_b32 s3, 0
	s_delay_alu instid0(VALU_DEP_1) | instskip(SKIP_1) | instid1(VALU_DEP_1)
	v_cndmask_b32_e64 v14, v11, v16, s0
	v_cmp_gt_i32_e64 s0, 32, v17
	v_cndmask_b32_e64 v15, v11, v17, s0
	v_lshlrev_b32_e32 v11, 2, v12
	v_lshlrev_b32_e32 v12, 2, v13
	;; [unrolled: 1-line block ×3, first 2 shown]
	s_delay_alu instid0(VALU_DEP_4)
	v_lshlrev_b32_e32 v14, 2, v15
	s_waitcnt vmcnt(1)
	v_lshrrev_b32_e32 v15, 16, v3
	s_waitcnt vmcnt(0)
	v_lshrrev_b32_e32 v16, 16, v4
	s_branch .LBB108_10
.LBB108_9:                              ;   in Loop: Header=BB108_10 Depth=1
	s_or_b32 exec_lo, exec_lo, s1
	v_ashrrev_i32_e32 v1, 31, v0
	v_lshrrev_b32_e32 v17, 16, v17
	s_add_i32 s3, s3, 1
	v_add_nc_u32_e32 v9, 0x80, v9
	v_cmp_ge_i32_e64 s0, s3, v6
	v_lshlrev_b64 v[1:2], 1, v[0:1]
	v_and_or_b32 v17, 0xffff0000, v18, v17
	v_add_nc_u32_e32 v0, 64, v0
	s_delay_alu instid0(VALU_DEP_4) | instskip(NEXT) | instid1(VALU_DEP_3)
	s_or_b32 s2, s0, s2
	v_add_co_u32 v1, s1, s12, v1
	s_delay_alu instid0(VALU_DEP_1)
	v_add_co_ci_u32_e64 v2, s1, s13, v2, s1
	global_store_b32 v[1:2], v17, off
	s_and_not1_b32 exec_lo, exec_lo, s2
	s_cbranch_execz .LBB108_20
.LBB108_10:                             ; =>This Inner Loop Header: Depth=1
	ds_load_b32 v1, v9
	s_waitcnt lgkmcnt(0)
	v_lshlrev_b32_e32 v17, 16, v1
	v_and_b32_e32 v1, 0xffff0000, v1
	s_delay_alu instid0(VALU_DEP_2) | instskip(NEXT) | instid1(VALU_DEP_1)
	v_mul_f32_e32 v2, v17, v17
	v_fmac_f32_e32 v2, v1, v1
	ds_bpermute_b32 v18, v10, v2
	s_waitcnt lgkmcnt(0)
	v_add_f32_e32 v2, v2, v18
	ds_bpermute_b32 v18, v11, v2
	s_waitcnt lgkmcnt(0)
	v_add_f32_e32 v2, v2, v18
	;; [unrolled: 3-line block ×5, first 2 shown]
	s_delay_alu instid0(VALU_DEP_1) | instskip(NEXT) | instid1(VALU_DEP_1)
	v_fma_f32 v2, 0x3c800000, v2, s19
	v_mul_f32_e32 v18, 0x4b800000, v2
	v_cmp_gt_f32_e64 s0, 0x800000, v2
	s_delay_alu instid0(VALU_DEP_1) | instskip(NEXT) | instid1(VALU_DEP_1)
	v_cndmask_b32_e64 v2, v2, v18, s0
	v_rsq_f32_e32 v2, v2
	s_waitcnt_depctr 0xfff
	v_dual_mul_f32 v19, 0x45800000, v2 :: v_dual_add_nc_u32 v18, s3, v5
	s_delay_alu instid0(VALU_DEP_1) | instskip(NEXT) | instid1(VALU_DEP_2)
	v_cmp_gt_i32_e64 s1, s16, v18
	v_cndmask_b32_e64 v2, v2, v19, s0
	s_delay_alu instid0(VALU_DEP_2) | instskip(SKIP_1) | instid1(VALU_DEP_2)
	v_cndmask_b32_e64 v18, v16, v15, s1
	v_cndmask_b32_e64 v20, v4, v3, s1
	v_lshlrev_b32_e32 v18, 16, v18
	s_delay_alu instid0(VALU_DEP_1) | instskip(NEXT) | instid1(VALU_DEP_1)
	v_dual_mul_f32 v18, v2, v18 :: v_dual_lshlrev_b32 v19, 16, v20
	v_mul_f32_e32 v19, v2, v19
	s_delay_alu instid0(VALU_DEP_2) | instskip(NEXT) | instid1(VALU_DEP_2)
	v_mul_f32_e32 v2, v18, v1
	v_mul_f32_e32 v1, v19, v17
	s_and_saveexec_b32 s0, vcc_lo
	s_delay_alu instid0(SALU_CYCLE_1) | instskip(NEXT) | instid1(SALU_CYCLE_1)
	s_xor_b32 s0, exec_lo, s0
	s_and_not1_saveexec_b32 s0, s0
	s_cbranch_execz .LBB108_12
; %bb.11:                               ;   in Loop: Header=BB108_10 Depth=1
	ds_load_u16 v18, v7
	ds_load_u16 v17, v8
	s_waitcnt lgkmcnt(1)
	v_cvt_f32_f16_e32 v19, v18
	s_waitcnt lgkmcnt(0)
	v_cvt_f32_f16_e32 v20, v17
	s_delay_alu instid0(VALU_DEP_2) | instskip(NEXT) | instid1(VALU_DEP_2)
	v_mul_f32_e32 v19, v2, v19
	v_mul_f32_e32 v2, v2, v20
	s_delay_alu instid0(VALU_DEP_2) | instskip(NEXT) | instid1(VALU_DEP_2)
	v_fma_mix_f32 v17, v1, v17, -v19 op_sel_hi:[0,1,0]
	v_fma_mix_f32 v18, v1, v18, v2 op_sel_hi:[0,1,0]
	s_delay_alu instid0(VALU_DEP_1)
	v_dual_mov_b32 v1, v17 :: v_dual_mov_b32 v2, v18
.LBB108_12:                             ;   in Loop: Header=BB108_10 Depth=1
	s_or_b32 exec_lo, exec_lo, s0
	s_delay_alu instid0(VALU_DEP_1) | instskip(NEXT) | instid1(VALU_DEP_1)
	v_and_b32_e32 v17, 0x7f800000, v1
	v_cmp_ne_u32_e64 s0, 0x7f800000, v17
                                        ; implicit-def: $vgpr17
	s_delay_alu instid0(VALU_DEP_1) | instskip(NEXT) | instid1(SALU_CYCLE_1)
	s_and_saveexec_b32 s1, s0
	s_xor_b32 s0, exec_lo, s1
; %bb.13:                               ;   in Loop: Header=BB108_10 Depth=1
	v_bfe_u32 v17, v1, 16, 1
	s_delay_alu instid0(VALU_DEP_1)
	v_add3_u32 v17, v1, v17, 0x7fff
; %bb.14:                               ;   in Loop: Header=BB108_10 Depth=1
	s_and_not1_saveexec_b32 s1, s0
; %bb.15:                               ;   in Loop: Header=BB108_10 Depth=1
	v_and_b32_e32 v17, 0xffff, v1
	v_or_b32_e32 v18, 0x10000, v1
	s_delay_alu instid0(VALU_DEP_2) | instskip(NEXT) | instid1(VALU_DEP_1)
	v_cmp_eq_u32_e64 s0, 0, v17
	v_cndmask_b32_e64 v17, v18, v1, s0
; %bb.16:                               ;   in Loop: Header=BB108_10 Depth=1
	s_or_b32 exec_lo, exec_lo, s1
	v_and_b32_e32 v1, 0x7f800000, v2
                                        ; implicit-def: $vgpr18
	s_delay_alu instid0(VALU_DEP_1) | instskip(NEXT) | instid1(VALU_DEP_1)
	v_cmp_ne_u32_e64 s0, 0x7f800000, v1
	s_and_saveexec_b32 s1, s0
	s_delay_alu instid0(SALU_CYCLE_1)
	s_xor_b32 s0, exec_lo, s1
; %bb.17:                               ;   in Loop: Header=BB108_10 Depth=1
	v_bfe_u32 v1, v2, 16, 1
	s_delay_alu instid0(VALU_DEP_1)
	v_add3_u32 v18, v2, v1, 0x7fff
                                        ; implicit-def: $vgpr1_vgpr2
; %bb.18:                               ;   in Loop: Header=BB108_10 Depth=1
	s_and_not1_saveexec_b32 s1, s0
	s_cbranch_execz .LBB108_9
; %bb.19:                               ;   in Loop: Header=BB108_10 Depth=1
	v_and_b32_e32 v1, 0xffff, v2
	v_or_b32_e32 v18, 0x10000, v2
	s_delay_alu instid0(VALU_DEP_2) | instskip(NEXT) | instid1(VALU_DEP_1)
	v_cmp_eq_u32_e64 s0, 0, v1
	v_cndmask_b32_e64 v18, v18, v2, s0
	s_branch .LBB108_9
.LBB108_20:
	s_nop 0
	s_sendmsg sendmsg(MSG_DEALLOC_VGPRS)
	s_endpgm
	.section	.rodata,"a",@progbits
	.p2align	6, 0x0
	.amdhsa_kernel _ZN12tensorrt_llm7kernels32fusedQKNormRopeKernelNTokenHeadsIN3c108BFloat16ENS2_4HalfELi64ELb1ELi4EEEvPviiifPKvS7_S7_PKlii
		.amdhsa_group_segment_fixed_size 0
		.amdhsa_private_segment_fixed_size 0
		.amdhsa_kernarg_size 320
		.amdhsa_user_sgpr_count 15
		.amdhsa_user_sgpr_dispatch_ptr 0
		.amdhsa_user_sgpr_queue_ptr 0
		.amdhsa_user_sgpr_kernarg_segment_ptr 1
		.amdhsa_user_sgpr_dispatch_id 0
		.amdhsa_user_sgpr_private_segment_size 0
		.amdhsa_wavefront_size32 1
		.amdhsa_uses_dynamic_stack 0
		.amdhsa_enable_private_segment 0
		.amdhsa_system_sgpr_workgroup_id_x 1
		.amdhsa_system_sgpr_workgroup_id_y 0
		.amdhsa_system_sgpr_workgroup_id_z 0
		.amdhsa_system_sgpr_workgroup_info 0
		.amdhsa_system_vgpr_workitem_id 0
		.amdhsa_next_free_vgpr 21
		.amdhsa_next_free_sgpr 21
		.amdhsa_reserve_vcc 1
		.amdhsa_float_round_mode_32 0
		.amdhsa_float_round_mode_16_64 0
		.amdhsa_float_denorm_mode_32 3
		.amdhsa_float_denorm_mode_16_64 3
		.amdhsa_dx10_clamp 1
		.amdhsa_ieee_mode 1
		.amdhsa_fp16_overflow 0
		.amdhsa_workgroup_processor_mode 1
		.amdhsa_memory_ordered 1
		.amdhsa_forward_progress 0
		.amdhsa_shared_vgpr_count 0
		.amdhsa_exception_fp_ieee_invalid_op 0
		.amdhsa_exception_fp_denorm_src 0
		.amdhsa_exception_fp_ieee_div_zero 0
		.amdhsa_exception_fp_ieee_overflow 0
		.amdhsa_exception_fp_ieee_underflow 0
		.amdhsa_exception_fp_ieee_inexact 0
		.amdhsa_exception_int_div_zero 0
	.end_amdhsa_kernel
	.section	.text._ZN12tensorrt_llm7kernels32fusedQKNormRopeKernelNTokenHeadsIN3c108BFloat16ENS2_4HalfELi64ELb1ELi4EEEvPviiifPKvS7_S7_PKlii,"axG",@progbits,_ZN12tensorrt_llm7kernels32fusedQKNormRopeKernelNTokenHeadsIN3c108BFloat16ENS2_4HalfELi64ELb1ELi4EEEvPviiifPKvS7_S7_PKlii,comdat
.Lfunc_end108:
	.size	_ZN12tensorrt_llm7kernels32fusedQKNormRopeKernelNTokenHeadsIN3c108BFloat16ENS2_4HalfELi64ELb1ELi4EEEvPviiifPKvS7_S7_PKlii, .Lfunc_end108-_ZN12tensorrt_llm7kernels32fusedQKNormRopeKernelNTokenHeadsIN3c108BFloat16ENS2_4HalfELi64ELb1ELi4EEEvPviiifPKvS7_S7_PKlii
                                        ; -- End function
	.section	.AMDGPU.csdata,"",@progbits
; Kernel info:
; codeLenInByte = 1800
; NumSgprs: 23
; NumVgprs: 21
; ScratchSize: 0
; MemoryBound: 0
; FloatMode: 240
; IeeeMode: 1
; LDSByteSize: 0 bytes/workgroup (compile time only)
; SGPRBlocks: 2
; VGPRBlocks: 2
; NumSGPRsForWavesPerEU: 23
; NumVGPRsForWavesPerEU: 21
; Occupancy: 16
; WaveLimiterHint : 0
; COMPUTE_PGM_RSRC2:SCRATCH_EN: 0
; COMPUTE_PGM_RSRC2:USER_SGPR: 15
; COMPUTE_PGM_RSRC2:TRAP_HANDLER: 0
; COMPUTE_PGM_RSRC2:TGID_X_EN: 1
; COMPUTE_PGM_RSRC2:TGID_Y_EN: 0
; COMPUTE_PGM_RSRC2:TGID_Z_EN: 0
; COMPUTE_PGM_RSRC2:TIDIG_COMP_CNT: 0
	.section	.text._ZN12tensorrt_llm7kernels32fusedQKNormRopeKernelNTokenHeadsIN3c108BFloat16ENS2_4HalfELi64ELb0ELi4EEEvPviiifPKvS7_S7_PKlii,"axG",@progbits,_ZN12tensorrt_llm7kernels32fusedQKNormRopeKernelNTokenHeadsIN3c108BFloat16ENS2_4HalfELi64ELb0ELi4EEEvPviiifPKvS7_S7_PKlii,comdat
	.protected	_ZN12tensorrt_llm7kernels32fusedQKNormRopeKernelNTokenHeadsIN3c108BFloat16ENS2_4HalfELi64ELb0ELi4EEEvPviiifPKvS7_S7_PKlii ; -- Begin function _ZN12tensorrt_llm7kernels32fusedQKNormRopeKernelNTokenHeadsIN3c108BFloat16ENS2_4HalfELi64ELb0ELi4EEEvPviiifPKvS7_S7_PKlii
	.globl	_ZN12tensorrt_llm7kernels32fusedQKNormRopeKernelNTokenHeadsIN3c108BFloat16ENS2_4HalfELi64ELb0ELi4EEEvPviiifPKvS7_S7_PKlii
	.p2align	8
	.type	_ZN12tensorrt_llm7kernels32fusedQKNormRopeKernelNTokenHeadsIN3c108BFloat16ENS2_4HalfELi64ELb0ELi4EEEvPviiifPKvS7_S7_PKlii,@function
_ZN12tensorrt_llm7kernels32fusedQKNormRopeKernelNTokenHeadsIN3c108BFloat16ENS2_4HalfELi64ELb0ELi4EEEvPviiifPKvS7_S7_PKlii: ; @_ZN12tensorrt_llm7kernels32fusedQKNormRopeKernelNTokenHeadsIN3c108BFloat16ENS2_4HalfELi64ELb0ELi4EEEvPviiifPKvS7_S7_PKlii
; %bb.0:
	s_clause 0x1
	s_load_b128 s[16:19], s[0:1], 0x8
	s_load_b64 s[2:3], s[0:1], 0x38
	v_lshrrev_b32_e32 v2, 5, v0
	s_waitcnt lgkmcnt(0)
	s_add_i32 s4, s17, s16
	s_delay_alu instid0(SALU_CYCLE_1) | instskip(NEXT) | instid1(SALU_CYCLE_1)
	s_add_i32 s5, s4, 3
	s_ashr_i32 s6, s5, 31
	s_delay_alu instid0(SALU_CYCLE_1) | instskip(NEXT) | instid1(SALU_CYCLE_1)
	s_lshr_b32 s6, s6, 30
	s_add_i32 s5, s5, s6
	s_delay_alu instid0(SALU_CYCLE_1) | instskip(SKIP_2) | instid1(SALU_CYCLE_1)
	s_ashr_i32 s14, s5, 2
	s_load_b32 s5, s[0:1], 0x4c
	s_abs_i32 s6, s14
	v_cvt_f32_u32_e32 v1, s6
	s_sub_i32 s7, 0, s6
	s_delay_alu instid0(VALU_DEP_1) | instskip(SKIP_4) | instid1(SALU_CYCLE_1)
	v_rcp_iflag_f32_e32 v1, v1
	s_waitcnt_depctr 0xfff
	v_mul_f32_e32 v1, 0x4f7ffffe, v1
	s_waitcnt lgkmcnt(0)
	s_bfe_u32 s5, s5, 0xb0005
	v_mad_u64_u32 v[3:4], null, s15, s5, v[2:3]
	s_delay_alu instid0(VALU_DEP_2) | instskip(NEXT) | instid1(VALU_DEP_1)
	v_cvt_u32_f32_e32 v1, v1
	v_mul_lo_u32 v5, s7, v1
	s_delay_alu instid0(VALU_DEP_1) | instskip(NEXT) | instid1(VALU_DEP_4)
	v_mul_hi_u32 v4, v1, v5
	v_sub_nc_u32_e32 v5, 0, v3
	s_delay_alu instid0(VALU_DEP_1) | instskip(NEXT) | instid1(VALU_DEP_3)
	v_max_i32_e32 v5, v3, v5
	v_add_nc_u32_e32 v1, v1, v4
	s_delay_alu instid0(VALU_DEP_1) | instskip(NEXT) | instid1(VALU_DEP_1)
	v_mul_hi_u32 v1, v5, v1
	v_mul_lo_u32 v4, v1, s6
	s_delay_alu instid0(VALU_DEP_1) | instskip(SKIP_1) | instid1(VALU_DEP_2)
	v_sub_nc_u32_e32 v4, v5, v4
	v_add_nc_u32_e32 v5, 1, v1
	v_subrev_nc_u32_e32 v6, s6, v4
	v_cmp_le_u32_e32 vcc_lo, s6, v4
	s_delay_alu instid0(VALU_DEP_2) | instskip(SKIP_1) | instid1(VALU_DEP_2)
	v_dual_cndmask_b32 v4, v4, v6 :: v_dual_cndmask_b32 v1, v1, v5
	v_xor_b32_e32 v5, s14, v3
	v_cmp_le_u32_e32 vcc_lo, s6, v4
	s_delay_alu instid0(VALU_DEP_3) | instskip(NEXT) | instid1(VALU_DEP_3)
	v_add_nc_u32_e32 v6, 1, v1
	v_ashrrev_i32_e32 v5, 31, v5
	s_delay_alu instid0(VALU_DEP_2) | instskip(NEXT) | instid1(VALU_DEP_1)
	v_cndmask_b32_e32 v1, v1, v6, vcc_lo
	v_xor_b32_e32 v1, v1, v5
	s_delay_alu instid0(VALU_DEP_1) | instskip(NEXT) | instid1(VALU_DEP_1)
	v_sub_nc_u32_e32 v1, v1, v5
	v_cmp_gt_i32_e32 vcc_lo, s2, v1
	s_and_saveexec_b32 s2, vcc_lo
	s_cbranch_execz .LBB109_20
; %bb.1:
	v_mul_lo_u32 v4, v1, s14
	s_load_b64 s[12:13], s[0:1], 0x0
	v_and_b32_e32 v0, 31, v0
	v_lshlrev_b32_e32 v9, 9, v2
	v_lshlrev_b32_e32 v8, 8, v3
	s_lshl_b32 s20, s3, 1
	s_delay_alu instid0(VALU_DEP_3) | instskip(SKIP_2) | instid1(VALU_DEP_1)
	v_lshlrev_b32_e32 v7, 2, v0
	v_sub_nc_u32_e32 v4, v3, v4
	s_mul_i32 s15, s20, s5
	v_lshlrev_b32_e32 v5, 2, v4
	s_delay_alu instid0(VALU_DEP_1) | instskip(SKIP_1) | instid1(VALU_DEP_2)
	v_add_nc_u32_e32 v4, 4, v5
	v_sub_nc_u32_e32 v6, s4, v5
	v_cmp_lt_i32_e32 vcc_lo, s4, v4
	s_delay_alu instid0(VALU_DEP_2) | instskip(NEXT) | instid1(VALU_DEP_1)
	v_cndmask_b32_e32 v6, 4, v6, vcc_lo
	v_cmp_lt_i32_e32 vcc_lo, 0, v6
	s_and_saveexec_b32 s4, vcc_lo
	s_cbranch_execz .LBB109_4
; %bb.2:
	s_add_i32 s2, s18, s17
	s_lshl_b32 s5, s14, 2
	s_add_i32 s2, s2, s16
	s_mov_b32 s6, 0
	s_sub_i32 s2, s2, s5
	s_mov_b32 s5, 0
	v_mul_lo_u32 v3, s2, v1
	s_add_i32 s2, s15, 0
	s_delay_alu instid0(SALU_CYCLE_1) | instskip(NEXT) | instid1(VALU_DEP_2)
	v_add3_u32 v10, s2, v9, v7
	v_lshl_add_u32 v3, v3, 6, v8
	s_delay_alu instid0(VALU_DEP_1)
	v_lshl_or_b32 v3, v0, 1, v3
	.p2align	6
.LBB109_3:                              ; =>This Inner Loop Header: Depth=1
	s_delay_alu instid0(VALU_DEP_1) | instskip(SKIP_1) | instid1(VALU_DEP_1)
	v_ashrrev_i32_e32 v4, 31, v3
	s_add_i32 s6, s6, 1
	v_lshlrev_b64 v[11:12], 1, v[3:4]
	v_add_nc_u32_e32 v3, 64, v3
	s_waitcnt lgkmcnt(0)
	s_delay_alu instid0(VALU_DEP_2) | instskip(NEXT) | instid1(VALU_DEP_1)
	v_add_co_u32 v11, s2, s12, v11
	v_add_co_ci_u32_e64 v12, s2, s13, v12, s2
	v_cmp_ge_i32_e64 s2, s6, v6
	global_load_b32 v4, v[11:12], off
	s_or_b32 s5, s2, s5
	s_waitcnt vmcnt(0)
	ds_store_b32 v10, v4
	v_add_nc_u32_e32 v10, 0x80, v10
	s_and_not1_b32 exec_lo, exec_lo, s5
	s_cbranch_execnz .LBB109_3
.LBB109_4:
	s_or_b32 exec_lo, exec_lo, s4
	s_load_b256 s[4:11], s[0:1], 0x18
	s_add_i32 s0, s20, 15
	v_mul_lo_u32 v10, v2, s3
	s_ashr_i32 s1, s0, 31
	s_mov_b32 s20, exec_lo
	s_lshr_b32 s1, s1, 28
	s_delay_alu instid0(SALU_CYCLE_1) | instskip(NEXT) | instid1(SALU_CYCLE_1)
	s_add_i32 s0, s0, s1
	s_ashr_i32 s2, s0, 4
	s_delay_alu instid0(SALU_CYCLE_1)
	v_cmpx_gt_i32_e64 s2, v0
	s_cbranch_execz .LBB109_7
; %bb.5:
	v_ashrrev_i32_e32 v2, 31, v1
	s_delay_alu instid0(VALU_DEP_1) | instskip(SKIP_1) | instid1(VALU_DEP_1)
	v_lshlrev_b64 v[2:3], 3, v[1:2]
	s_waitcnt lgkmcnt(0)
	v_add_co_u32 v2, s0, s10, v2
	s_delay_alu instid0(VALU_DEP_1)
	v_add_co_ci_u32_e64 v3, s0, s11, v3, s0
	s_ashr_i32 s0, s3, 31
	global_load_b64 v[2:3], v[2:3], off
	s_waitcnt vmcnt(0)
	v_mul_lo_u32 v11, v3, s3
	v_mul_lo_u32 v12, v2, s0
	v_mad_u64_u32 v[3:4], null, v2, s3, 0
	s_delay_alu instid0(VALU_DEP_1) | instskip(SKIP_1) | instid1(VALU_DEP_2)
	v_add3_u32 v4, v4, v12, v11
	v_lshlrev_b32_e32 v11, 1, v10
	v_lshlrev_b64 v[2:3], 1, v[3:4]
	v_lshlrev_b32_e32 v4, 4, v0
	s_delay_alu instid0(VALU_DEP_1) | instskip(NEXT) | instid1(VALU_DEP_1)
	v_add_co_u32 v2, s0, v2, v4
	v_add_co_ci_u32_e64 v3, s0, 0, v3, s0
	v_add3_u32 v4, v11, v4, 0
	v_mov_b32_e32 v11, v0
	s_delay_alu instid0(VALU_DEP_4) | instskip(NEXT) | instid1(VALU_DEP_1)
	v_add_co_u32 v2, s0, s8, v2
	v_add_co_ci_u32_e64 v3, s0, s9, v3, s0
	s_mov_b32 s8, 0
	.p2align	6
.LBB109_6:                              ; =>This Inner Loop Header: Depth=1
	global_load_b128 v[12:15], v[2:3], off
	v_add_nc_u32_e32 v11, 32, v11
	v_add_co_u32 v2, s0, 0x200, v2
	s_delay_alu instid0(VALU_DEP_1) | instskip(NEXT) | instid1(VALU_DEP_3)
	v_add_co_ci_u32_e64 v3, s0, 0, v3, s0
	v_cmp_le_i32_e64 s1, s2, v11
	s_delay_alu instid0(VALU_DEP_1)
	s_or_b32 s8, s1, s8
	s_waitcnt vmcnt(0)
	ds_store_b128 v4, v[12:15]
	v_add_nc_u32_e32 v4, 0x200, v4
	s_and_not1_b32 exec_lo, exec_lo, s8
	s_cbranch_execnz .LBB109_6
.LBB109_7:
	s_or_b32 exec_lo, exec_lo, s20
	s_delay_alu instid0(SALU_CYCLE_1)
	s_and_b32 exec_lo, exec_lo, vcc_lo
	s_cbranch_execz .LBB109_20
; %bb.8:
	s_waitcnt lgkmcnt(0)
	s_clause 0x1
	global_load_b32 v3, v7, s[4:5]
	global_load_b32 v4, v7, s[6:7]
	s_abs_i32 s2, s3
	v_lshl_add_u32 v16, v10, 1, 0
	v_cvt_f32_u32_e32 v2, s2
	s_sub_i32 s0, 0, s2
	v_mbcnt_lo_u32_b32 v10, -1, 0
	v_or_b32_e32 v12, 2, v7
	s_add_i32 s1, s18, s17
	v_rcp_iflag_f32_e32 v2, v2
	v_add_nc_u32_e32 v20, s15, v9
	v_xor_b32_e32 v9, 16, v10
	s_lshl_b32 s4, s14, 2
	s_add_i32 s1, s1, s16
	v_xor_b32_e32 v13, 4, v10
	s_sub_i32 s1, s1, s4
	v_xor_b32_e32 v15, 2, v10
	v_mul_lo_u32 v1, s1, v1
	v_cmp_gt_i32_e64 s1, 32, v9
	v_mul_f32_e32 v2, 0x4f7ffffe, v2
	v_xor_b32_e32 v17, 1, v10
	s_mov_b32 s4, 0
	s_delay_alu instid0(VALU_DEP_3) | instskip(NEXT) | instid1(VALU_DEP_3)
	v_cndmask_b32_e64 v9, v10, v9, s1
	v_cvt_u32_f32_e32 v2, v2
	v_lshl_add_u32 v1, v1, 6, v8
	s_delay_alu instid0(VALU_DEP_3) | instskip(NEXT) | instid1(VALU_DEP_3)
	v_lshlrev_b32_e32 v8, 2, v9
	v_mul_lo_u32 v11, s0, v2
	s_lshr_b32 s0, s3, 31
	s_delay_alu instid0(SALU_CYCLE_1) | instskip(NEXT) | instid1(SALU_CYCLE_1)
	s_add_i32 s0, s3, s0
	s_ashr_i32 s3, s0, 1
	s_and_b32 s0, s0, -2
	v_cmp_gt_i32_e32 vcc_lo, s3, v0
	s_delay_alu instid0(VALU_DEP_2)
	v_mul_hi_u32 v11, v2, v11
	v_add_nc_u32_e32 v18, s0, v16
	s_lshr_b32 s0, s3, 1
	s_mov_b32 s3, 0
	v_xor_b32_e32 v19, s0, v10
	v_cmp_gt_u32_e64 s0, s0, v0
	v_lshl_or_b32 v0, v0, 1, v1
	v_add_nc_u32_e32 v2, v2, v11
	v_xor_b32_e32 v11, 8, v10
	s_delay_alu instid0(VALU_DEP_2) | instskip(SKIP_1) | instid1(VALU_DEP_3)
	v_mul_hi_u32 v14, v7, v2
	v_mul_hi_u32 v2, v12, v2
	v_cmp_gt_i32_e64 s1, 32, v11
	s_delay_alu instid0(VALU_DEP_1) | instskip(SKIP_1) | instid1(VALU_DEP_4)
	v_cndmask_b32_e64 v11, v10, v11, s1
	v_cmp_gt_i32_e64 s1, 32, v13
	v_mul_lo_u32 v2, v2, s2
	v_mul_lo_u32 v14, v14, s2
	s_delay_alu instid0(VALU_DEP_4) | instskip(NEXT) | instid1(VALU_DEP_3)
	v_lshlrev_b32_e32 v9, 2, v11
	v_sub_nc_u32_e32 v2, v12, v2
	v_cndmask_b32_e64 v12, v10, v13, s1
	v_cmp_gt_i32_e64 s1, 32, v15
	v_sub_nc_u32_e32 v14, v7, v14
	v_add3_u32 v7, v20, v7, 0
	v_subrev_nc_u32_e32 v21, s2, v2
	s_delay_alu instid0(VALU_DEP_4) | instskip(SKIP_2) | instid1(VALU_DEP_3)
	v_cndmask_b32_e64 v13, v10, v15, s1
	v_cmp_gt_i32_e64 s1, 32, v17
	v_subrev_nc_u32_e32 v15, s2, v14
	v_lshlrev_b32_e32 v11, 2, v13
	s_delay_alu instid0(VALU_DEP_3) | instskip(SKIP_1) | instid1(VALU_DEP_1)
	v_cndmask_b32_e64 v17, v10, v17, s1
	v_cmp_le_u32_e64 s1, s2, v14
	v_cndmask_b32_e64 v14, v14, v15, s1
	v_cmp_le_u32_e64 s1, s2, v2
	s_delay_alu instid0(VALU_DEP_1) | instskip(SKIP_1) | instid1(VALU_DEP_1)
	v_cndmask_b32_e64 v2, v2, v21, s1
	v_cmp_gt_i32_e64 s1, 32, v19
	v_cndmask_b32_e64 v15, v10, v19, s1
	v_subrev_nc_u32_e32 v10, s2, v14
	v_cmp_le_u32_e64 s1, s2, v14
	v_subrev_nc_u32_e32 v19, s2, v2
	s_delay_alu instid0(VALU_DEP_4) | instskip(NEXT) | instid1(VALU_DEP_3)
	v_lshlrev_b32_e32 v13, 2, v15
	v_cndmask_b32_e64 v14, v14, v10, s1
	v_cmp_le_u32_e64 s1, s2, v2
	v_lshlrev_b32_e32 v10, 2, v12
	v_lshlrev_b32_e32 v12, 2, v17
	s_delay_alu instid0(VALU_DEP_3) | instskip(SKIP_1) | instid1(VALU_DEP_2)
	v_cndmask_b32_e64 v2, v2, v19, s1
	v_and_b32_e32 v19, -2, v14
	v_and_b32_e32 v2, -2, v2
	s_delay_alu instid0(VALU_DEP_2) | instskip(SKIP_1) | instid1(VALU_DEP_3)
	v_add_nc_u32_e32 v14, v16, v19
	v_add_nc_u32_e32 v15, v18, v19
	;; [unrolled: 1-line block ×4, first 2 shown]
	s_waitcnt vmcnt(1)
	v_lshrrev_b32_e32 v18, 16, v3
	s_waitcnt vmcnt(0)
	v_lshrrev_b32_e32 v19, 16, v4
	s_branch .LBB109_10
.LBB109_9:                              ;   in Loop: Header=BB109_10 Depth=1
	s_or_b32 exec_lo, exec_lo, s2
	v_ashrrev_i32_e32 v1, 31, v0
	v_lshrrev_b32_e32 v20, 16, v20
	s_add_i32 s4, s4, 1
	v_add_nc_u32_e32 v7, 0x80, v7
	v_cmp_ge_i32_e64 s1, s4, v6
	v_lshlrev_b64 v[1:2], 1, v[0:1]
	v_and_or_b32 v20, 0xffff0000, v21, v20
	v_add_nc_u32_e32 v0, 64, v0
	s_delay_alu instid0(VALU_DEP_4) | instskip(NEXT) | instid1(VALU_DEP_3)
	s_or_b32 s3, s1, s3
	v_add_co_u32 v1, s2, s12, v1
	s_delay_alu instid0(VALU_DEP_1)
	v_add_co_ci_u32_e64 v2, s2, s13, v2, s2
	global_store_b32 v[1:2], v20, off
	s_and_not1_b32 exec_lo, exec_lo, s3
	s_cbranch_execz .LBB109_20
.LBB109_10:                             ; =>This Inner Loop Header: Depth=1
	ds_load_b32 v1, v7
	s_waitcnt lgkmcnt(0)
	v_and_b32_e32 v20, 0xffff0000, v1
	v_lshlrev_b32_e32 v2, 16, v1
	s_delay_alu instid0(VALU_DEP_1) | instskip(NEXT) | instid1(VALU_DEP_1)
	v_mul_f32_e32 v1, v2, v2
	v_fmac_f32_e32 v1, v20, v20
	ds_bpermute_b32 v21, v8, v1
	s_waitcnt lgkmcnt(0)
	v_add_f32_e32 v1, v1, v21
	ds_bpermute_b32 v21, v9, v1
	s_waitcnt lgkmcnt(0)
	v_add_f32_e32 v1, v1, v21
	;; [unrolled: 3-line block ×5, first 2 shown]
	s_delay_alu instid0(VALU_DEP_1) | instskip(NEXT) | instid1(VALU_DEP_1)
	v_fma_f32 v1, 0x3c800000, v1, s19
	v_mul_f32_e32 v21, 0x4b800000, v1
	v_cmp_gt_f32_e64 s1, 0x800000, v1
	s_delay_alu instid0(VALU_DEP_1) | instskip(SKIP_1) | instid1(VALU_DEP_2)
	v_cndmask_b32_e64 v1, v1, v21, s1
	v_add_nc_u32_e32 v21, s4, v5
	v_rsq_f32_e32 v1, v1
	s_delay_alu instid0(VALU_DEP_1) | instskip(NEXT) | instid1(VALU_DEP_1)
	v_cmp_gt_i32_e64 s2, s16, v21
	v_cndmask_b32_e64 v21, v4, v3, s2
	v_cndmask_b32_e64 v23, v19, v18, s2
	s_waitcnt_depctr 0xfff
	v_mul_f32_e32 v22, 0x45800000, v1
	v_lshlrev_b32_e32 v21, 16, v21
	s_delay_alu instid0(VALU_DEP_2) | instskip(NEXT) | instid1(VALU_DEP_1)
	v_cndmask_b32_e64 v1, v1, v22, s1
	v_dual_mul_f32 v21, v1, v21 :: v_dual_lshlrev_b32 v22, 16, v23
	s_delay_alu instid0(VALU_DEP_1) | instskip(NEXT) | instid1(VALU_DEP_1)
	v_mul_f32_e32 v22, v1, v22
	v_dual_mul_f32 v1, v21, v2 :: v_dual_mul_f32 v2, v22, v20
	s_and_saveexec_b32 s1, vcc_lo
	s_cbranch_execz .LBB109_12
; %bb.11:                               ;   in Loop: Header=BB109_10 Depth=1
	; wave barrier
	ds_bpermute_b32 v20, v13, v1
	ds_load_u16 v21, v15
	ds_bpermute_b32 v22, v13, v2
	ds_load_u16 v23, v17
	ds_load_u16 v24, v14
	;; [unrolled: 1-line block ×3, first 2 shown]
	; wave barrier
	s_waitcnt lgkmcnt(5)
	v_cndmask_b32_e64 v20, v20, -v20, s0
	s_waitcnt lgkmcnt(4)
	v_cvt_f32_f16_e32 v21, v21
	s_waitcnt lgkmcnt(3)
	v_cndmask_b32_e64 v22, v22, -v22, s0
	s_waitcnt lgkmcnt(2)
	v_cvt_f32_f16_e32 v23, v23
	s_delay_alu instid0(VALU_DEP_1) | instskip(SKIP_1) | instid1(VALU_DEP_1)
	v_dual_mul_f32 v20, v20, v21 :: v_dual_mul_f32 v21, v22, v23
	s_waitcnt lgkmcnt(1)
	v_fma_mix_f32 v1, v1, v24, v20 op_sel_hi:[0,1,0]
	s_waitcnt lgkmcnt(0)
	s_delay_alu instid0(VALU_DEP_2)
	v_fma_mix_f32 v2, v2, v25, v21 op_sel_hi:[0,1,0]
.LBB109_12:                             ;   in Loop: Header=BB109_10 Depth=1
	s_or_b32 exec_lo, exec_lo, s1
	s_delay_alu instid0(VALU_DEP_1) | instskip(NEXT) | instid1(VALU_DEP_1)
	v_and_b32_e32 v20, 0x7f800000, v1
	v_cmp_ne_u32_e64 s1, 0x7f800000, v20
                                        ; implicit-def: $vgpr20
	s_delay_alu instid0(VALU_DEP_1) | instskip(NEXT) | instid1(SALU_CYCLE_1)
	s_and_saveexec_b32 s2, s1
	s_xor_b32 s1, exec_lo, s2
; %bb.13:                               ;   in Loop: Header=BB109_10 Depth=1
	v_bfe_u32 v20, v1, 16, 1
	s_delay_alu instid0(VALU_DEP_1)
	v_add3_u32 v20, v1, v20, 0x7fff
; %bb.14:                               ;   in Loop: Header=BB109_10 Depth=1
	s_and_not1_saveexec_b32 s2, s1
; %bb.15:                               ;   in Loop: Header=BB109_10 Depth=1
	v_and_b32_e32 v20, 0xffff, v1
	v_or_b32_e32 v21, 0x10000, v1
	s_delay_alu instid0(VALU_DEP_2) | instskip(NEXT) | instid1(VALU_DEP_1)
	v_cmp_eq_u32_e64 s1, 0, v20
	v_cndmask_b32_e64 v20, v21, v1, s1
; %bb.16:                               ;   in Loop: Header=BB109_10 Depth=1
	s_or_b32 exec_lo, exec_lo, s2
	v_and_b32_e32 v1, 0x7f800000, v2
                                        ; implicit-def: $vgpr21
	s_delay_alu instid0(VALU_DEP_1) | instskip(NEXT) | instid1(VALU_DEP_1)
	v_cmp_ne_u32_e64 s1, 0x7f800000, v1
	s_and_saveexec_b32 s2, s1
	s_delay_alu instid0(SALU_CYCLE_1)
	s_xor_b32 s1, exec_lo, s2
; %bb.17:                               ;   in Loop: Header=BB109_10 Depth=1
	v_bfe_u32 v1, v2, 16, 1
	s_delay_alu instid0(VALU_DEP_1)
	v_add3_u32 v21, v2, v1, 0x7fff
                                        ; implicit-def: $vgpr1_vgpr2
; %bb.18:                               ;   in Loop: Header=BB109_10 Depth=1
	s_and_not1_saveexec_b32 s2, s1
	s_cbranch_execz .LBB109_9
; %bb.19:                               ;   in Loop: Header=BB109_10 Depth=1
	v_and_b32_e32 v1, 0xffff, v2
	v_or_b32_e32 v21, 0x10000, v2
	s_delay_alu instid0(VALU_DEP_2) | instskip(NEXT) | instid1(VALU_DEP_1)
	v_cmp_eq_u32_e64 s1, 0, v1
	v_cndmask_b32_e64 v21, v21, v2, s1
	s_branch .LBB109_9
.LBB109_20:
	s_nop 0
	s_sendmsg sendmsg(MSG_DEALLOC_VGPRS)
	s_endpgm
	.section	.rodata,"a",@progbits
	.p2align	6, 0x0
	.amdhsa_kernel _ZN12tensorrt_llm7kernels32fusedQKNormRopeKernelNTokenHeadsIN3c108BFloat16ENS2_4HalfELi64ELb0ELi4EEEvPviiifPKvS7_S7_PKlii
		.amdhsa_group_segment_fixed_size 0
		.amdhsa_private_segment_fixed_size 0
		.amdhsa_kernarg_size 320
		.amdhsa_user_sgpr_count 15
		.amdhsa_user_sgpr_dispatch_ptr 0
		.amdhsa_user_sgpr_queue_ptr 0
		.amdhsa_user_sgpr_kernarg_segment_ptr 1
		.amdhsa_user_sgpr_dispatch_id 0
		.amdhsa_user_sgpr_private_segment_size 0
		.amdhsa_wavefront_size32 1
		.amdhsa_uses_dynamic_stack 0
		.amdhsa_enable_private_segment 0
		.amdhsa_system_sgpr_workgroup_id_x 1
		.amdhsa_system_sgpr_workgroup_id_y 0
		.amdhsa_system_sgpr_workgroup_id_z 0
		.amdhsa_system_sgpr_workgroup_info 0
		.amdhsa_system_vgpr_workitem_id 0
		.amdhsa_next_free_vgpr 26
		.amdhsa_next_free_sgpr 21
		.amdhsa_reserve_vcc 1
		.amdhsa_float_round_mode_32 0
		.amdhsa_float_round_mode_16_64 0
		.amdhsa_float_denorm_mode_32 3
		.amdhsa_float_denorm_mode_16_64 3
		.amdhsa_dx10_clamp 1
		.amdhsa_ieee_mode 1
		.amdhsa_fp16_overflow 0
		.amdhsa_workgroup_processor_mode 1
		.amdhsa_memory_ordered 1
		.amdhsa_forward_progress 0
		.amdhsa_shared_vgpr_count 0
		.amdhsa_exception_fp_ieee_invalid_op 0
		.amdhsa_exception_fp_denorm_src 0
		.amdhsa_exception_fp_ieee_div_zero 0
		.amdhsa_exception_fp_ieee_overflow 0
		.amdhsa_exception_fp_ieee_underflow 0
		.amdhsa_exception_fp_ieee_inexact 0
		.amdhsa_exception_int_div_zero 0
	.end_amdhsa_kernel
	.section	.text._ZN12tensorrt_llm7kernels32fusedQKNormRopeKernelNTokenHeadsIN3c108BFloat16ENS2_4HalfELi64ELb0ELi4EEEvPviiifPKvS7_S7_PKlii,"axG",@progbits,_ZN12tensorrt_llm7kernels32fusedQKNormRopeKernelNTokenHeadsIN3c108BFloat16ENS2_4HalfELi64ELb0ELi4EEEvPviiifPKvS7_S7_PKlii,comdat
.Lfunc_end109:
	.size	_ZN12tensorrt_llm7kernels32fusedQKNormRopeKernelNTokenHeadsIN3c108BFloat16ENS2_4HalfELi64ELb0ELi4EEEvPviiifPKvS7_S7_PKlii, .Lfunc_end109-_ZN12tensorrt_llm7kernels32fusedQKNormRopeKernelNTokenHeadsIN3c108BFloat16ENS2_4HalfELi64ELb0ELi4EEEvPviiifPKvS7_S7_PKlii
                                        ; -- End function
	.section	.AMDGPU.csdata,"",@progbits
; Kernel info:
; codeLenInByte = 2112
; NumSgprs: 23
; NumVgprs: 26
; ScratchSize: 0
; MemoryBound: 0
; FloatMode: 240
; IeeeMode: 1
; LDSByteSize: 0 bytes/workgroup (compile time only)
; SGPRBlocks: 2
; VGPRBlocks: 3
; NumSGPRsForWavesPerEU: 23
; NumVGPRsForWavesPerEU: 26
; Occupancy: 16
; WaveLimiterHint : 0
; COMPUTE_PGM_RSRC2:SCRATCH_EN: 0
; COMPUTE_PGM_RSRC2:USER_SGPR: 15
; COMPUTE_PGM_RSRC2:TRAP_HANDLER: 0
; COMPUTE_PGM_RSRC2:TGID_X_EN: 1
; COMPUTE_PGM_RSRC2:TGID_Y_EN: 0
; COMPUTE_PGM_RSRC2:TGID_Z_EN: 0
; COMPUTE_PGM_RSRC2:TIDIG_COMP_CNT: 0
	.section	.text._ZN12tensorrt_llm7kernels32fusedQKNormRopeKernelNTokenHeadsIN3c108BFloat16ENS2_4HalfELi128ELb1ELi4EEEvPviiifPKvS7_S7_PKlii,"axG",@progbits,_ZN12tensorrt_llm7kernels32fusedQKNormRopeKernelNTokenHeadsIN3c108BFloat16ENS2_4HalfELi128ELb1ELi4EEEvPviiifPKvS7_S7_PKlii,comdat
	.protected	_ZN12tensorrt_llm7kernels32fusedQKNormRopeKernelNTokenHeadsIN3c108BFloat16ENS2_4HalfELi128ELb1ELi4EEEvPviiifPKvS7_S7_PKlii ; -- Begin function _ZN12tensorrt_llm7kernels32fusedQKNormRopeKernelNTokenHeadsIN3c108BFloat16ENS2_4HalfELi128ELb1ELi4EEEvPviiifPKvS7_S7_PKlii
	.globl	_ZN12tensorrt_llm7kernels32fusedQKNormRopeKernelNTokenHeadsIN3c108BFloat16ENS2_4HalfELi128ELb1ELi4EEEvPviiifPKvS7_S7_PKlii
	.p2align	8
	.type	_ZN12tensorrt_llm7kernels32fusedQKNormRopeKernelNTokenHeadsIN3c108BFloat16ENS2_4HalfELi128ELb1ELi4EEEvPviiifPKvS7_S7_PKlii,@function
_ZN12tensorrt_llm7kernels32fusedQKNormRopeKernelNTokenHeadsIN3c108BFloat16ENS2_4HalfELi128ELb1ELi4EEEvPviiifPKvS7_S7_PKlii: ; @_ZN12tensorrt_llm7kernels32fusedQKNormRopeKernelNTokenHeadsIN3c108BFloat16ENS2_4HalfELi128ELb1ELi4EEEvPviiifPKvS7_S7_PKlii
; %bb.0:
	s_clause 0x1
	s_load_b128 s[16:19], s[0:1], 0x8
	s_load_b64 s[2:3], s[0:1], 0x38
	v_lshrrev_b32_e32 v2, 5, v0
	s_waitcnt lgkmcnt(0)
	s_add_i32 s4, s17, s16
	s_delay_alu instid0(SALU_CYCLE_1) | instskip(NEXT) | instid1(SALU_CYCLE_1)
	s_add_i32 s5, s4, 3
	s_ashr_i32 s6, s5, 31
	s_delay_alu instid0(SALU_CYCLE_1) | instskip(NEXT) | instid1(SALU_CYCLE_1)
	s_lshr_b32 s6, s6, 30
	s_add_i32 s5, s5, s6
	s_delay_alu instid0(SALU_CYCLE_1) | instskip(SKIP_2) | instid1(SALU_CYCLE_1)
	s_ashr_i32 s14, s5, 2
	s_load_b32 s5, s[0:1], 0x4c
	s_abs_i32 s6, s14
	v_cvt_f32_u32_e32 v1, s6
	s_sub_i32 s7, 0, s6
	s_delay_alu instid0(VALU_DEP_1) | instskip(SKIP_4) | instid1(SALU_CYCLE_1)
	v_rcp_iflag_f32_e32 v1, v1
	s_waitcnt_depctr 0xfff
	v_mul_f32_e32 v1, 0x4f7ffffe, v1
	s_waitcnt lgkmcnt(0)
	s_bfe_u32 s5, s5, 0xb0005
	v_mad_u64_u32 v[3:4], null, s15, s5, v[2:3]
	s_delay_alu instid0(VALU_DEP_2) | instskip(NEXT) | instid1(VALU_DEP_1)
	v_cvt_u32_f32_e32 v1, v1
	v_mul_lo_u32 v5, s7, v1
	s_delay_alu instid0(VALU_DEP_1) | instskip(NEXT) | instid1(VALU_DEP_4)
	v_mul_hi_u32 v4, v1, v5
	v_sub_nc_u32_e32 v5, 0, v3
	s_delay_alu instid0(VALU_DEP_1) | instskip(NEXT) | instid1(VALU_DEP_3)
	v_max_i32_e32 v5, v3, v5
	v_add_nc_u32_e32 v1, v1, v4
	s_delay_alu instid0(VALU_DEP_1) | instskip(NEXT) | instid1(VALU_DEP_1)
	v_mul_hi_u32 v1, v5, v1
	v_mul_lo_u32 v4, v1, s6
	s_delay_alu instid0(VALU_DEP_1) | instskip(SKIP_1) | instid1(VALU_DEP_2)
	v_sub_nc_u32_e32 v4, v5, v4
	v_add_nc_u32_e32 v5, 1, v1
	v_subrev_nc_u32_e32 v6, s6, v4
	v_cmp_le_u32_e32 vcc_lo, s6, v4
	s_delay_alu instid0(VALU_DEP_2) | instskip(SKIP_1) | instid1(VALU_DEP_2)
	v_dual_cndmask_b32 v4, v4, v6 :: v_dual_cndmask_b32 v1, v1, v5
	v_xor_b32_e32 v5, s14, v3
	v_cmp_le_u32_e32 vcc_lo, s6, v4
	s_delay_alu instid0(VALU_DEP_3) | instskip(NEXT) | instid1(VALU_DEP_3)
	v_add_nc_u32_e32 v6, 1, v1
	v_ashrrev_i32_e32 v5, 31, v5
	s_delay_alu instid0(VALU_DEP_2) | instskip(NEXT) | instid1(VALU_DEP_1)
	v_cndmask_b32_e32 v1, v1, v6, vcc_lo
	v_xor_b32_e32 v1, v1, v5
	s_delay_alu instid0(VALU_DEP_1) | instskip(NEXT) | instid1(VALU_DEP_1)
	v_sub_nc_u32_e32 v1, v1, v5
	v_cmp_gt_i32_e32 vcc_lo, s2, v1
	s_and_saveexec_b32 s2, vcc_lo
	s_cbranch_execz .LBB110_28
; %bb.1:
	v_mul_lo_u32 v4, v1, s14
	s_load_b64 s[12:13], s[0:1], 0x0
	v_and_b32_e32 v8, 31, v0
	v_lshlrev_b32_e32 v12, 10, v2
	v_lshlrev_b32_e32 v0, 9, v3
	s_lshl_b32 s20, s3, 1
	s_delay_alu instid0(VALU_DEP_3) | instskip(SKIP_2) | instid1(VALU_DEP_1)
	v_lshlrev_b32_e32 v9, 3, v8
	v_sub_nc_u32_e32 v4, v3, v4
	s_mul_i32 s15, s20, s5
	v_lshlrev_b32_e32 v10, 2, v4
	s_delay_alu instid0(VALU_DEP_1) | instskip(SKIP_1) | instid1(VALU_DEP_2)
	v_add_nc_u32_e32 v4, 4, v10
	v_sub_nc_u32_e32 v5, s4, v10
	v_cmp_lt_i32_e32 vcc_lo, s4, v4
	s_delay_alu instid0(VALU_DEP_2) | instskip(NEXT) | instid1(VALU_DEP_1)
	v_cndmask_b32_e32 v11, 4, v5, vcc_lo
	v_cmp_lt_i32_e32 vcc_lo, 0, v11
	s_and_saveexec_b32 s4, vcc_lo
	s_cbranch_execz .LBB110_4
; %bb.2:
	s_add_i32 s2, s18, s17
	s_lshl_b32 s5, s14, 2
	s_add_i32 s2, s2, s16
	s_mov_b32 s6, 0
	s_sub_i32 s2, s2, s5
	s_mov_b32 s5, 0
	v_mul_lo_u32 v3, s2, v1
	s_add_i32 s2, s15, 0
	s_delay_alu instid0(SALU_CYCLE_1) | instskip(NEXT) | instid1(VALU_DEP_2)
	v_add3_u32 v5, s2, v12, v9
	v_lshl_add_u32 v3, v3, 7, v0
	s_delay_alu instid0(VALU_DEP_1)
	v_lshl_or_b32 v3, v8, 2, v3
	.p2align	6
.LBB110_3:                              ; =>This Inner Loop Header: Depth=1
	s_delay_alu instid0(VALU_DEP_1) | instskip(SKIP_1) | instid1(VALU_DEP_1)
	v_ashrrev_i32_e32 v4, 31, v3
	s_add_i32 s6, s6, 1
	v_lshlrev_b64 v[6:7], 1, v[3:4]
	v_add_nc_u32_e32 v3, 0x80, v3
	s_waitcnt lgkmcnt(0)
	s_delay_alu instid0(VALU_DEP_2) | instskip(NEXT) | instid1(VALU_DEP_1)
	v_add_co_u32 v6, s2, s12, v6
	v_add_co_ci_u32_e64 v7, s2, s13, v7, s2
	v_cmp_ge_i32_e64 s2, s6, v11
	global_load_b64 v[6:7], v[6:7], off
	s_or_b32 s5, s2, s5
	s_waitcnt vmcnt(0)
	ds_store_b64 v5, v[6:7]
	v_add_nc_u32_e32 v5, 0x100, v5
	s_and_not1_b32 exec_lo, exec_lo, s5
	s_cbranch_execnz .LBB110_3
.LBB110_4:
	s_or_b32 exec_lo, exec_lo, s4
	s_load_b256 s[4:11], s[0:1], 0x18
	v_mul_lo_u32 v2, v2, s3
	s_add_i32 s0, s20, 15
	s_mov_b32 s20, exec_lo
	s_ashr_i32 s1, s0, 31
	s_delay_alu instid0(SALU_CYCLE_1) | instskip(NEXT) | instid1(SALU_CYCLE_1)
	s_lshr_b32 s1, s1, 28
	s_add_i32 s0, s0, s1
	s_delay_alu instid0(VALU_DEP_1) | instskip(SKIP_1) | instid1(SALU_CYCLE_1)
	v_lshlrev_b32_e32 v13, 1, v2
	s_ashr_i32 s2, s0, 4
	v_cmpx_gt_i32_e64 s2, v8
	s_cbranch_execz .LBB110_7
; %bb.5:
	v_ashrrev_i32_e32 v2, 31, v1
	s_delay_alu instid0(VALU_DEP_1) | instskip(SKIP_1) | instid1(VALU_DEP_1)
	v_lshlrev_b64 v[2:3], 3, v[1:2]
	s_waitcnt lgkmcnt(0)
	v_add_co_u32 v2, s0, s10, v2
	s_delay_alu instid0(VALU_DEP_1)
	v_add_co_ci_u32_e64 v3, s0, s11, v3, s0
	s_ashr_i32 s0, s3, 31
	global_load_b64 v[2:3], v[2:3], off
	s_waitcnt vmcnt(0)
	v_mul_lo_u32 v5, v3, s3
	v_mul_lo_u32 v6, v2, s0
	v_mad_u64_u32 v[3:4], null, v2, s3, 0
	s_delay_alu instid0(VALU_DEP_1) | instskip(SKIP_1) | instid1(VALU_DEP_2)
	v_add3_u32 v4, v4, v6, v5
	v_mov_b32_e32 v5, v8
	v_lshlrev_b64 v[2:3], 1, v[3:4]
	v_lshlrev_b32_e32 v4, 4, v8
	s_delay_alu instid0(VALU_DEP_1) | instskip(NEXT) | instid1(VALU_DEP_1)
	v_add_co_u32 v2, s0, v2, v4
	v_add_co_ci_u32_e64 v3, s0, 0, v3, s0
	v_add3_u32 v4, v13, v4, 0
	s_delay_alu instid0(VALU_DEP_3) | instskip(NEXT) | instid1(VALU_DEP_1)
	v_add_co_u32 v2, s0, s8, v2
	v_add_co_ci_u32_e64 v3, s0, s9, v3, s0
	s_mov_b32 s8, 0
	.p2align	6
.LBB110_6:                              ; =>This Inner Loop Header: Depth=1
	global_load_b128 v[14:17], v[2:3], off
	v_add_nc_u32_e32 v5, 32, v5
	v_add_co_u32 v2, s0, 0x200, v2
	s_delay_alu instid0(VALU_DEP_1) | instskip(NEXT) | instid1(VALU_DEP_3)
	v_add_co_ci_u32_e64 v3, s0, 0, v3, s0
	v_cmp_le_i32_e64 s1, s2, v5
	s_delay_alu instid0(VALU_DEP_1)
	s_or_b32 s8, s1, s8
	s_waitcnt vmcnt(0)
	ds_store_b128 v4, v[14:17]
	v_add_nc_u32_e32 v4, 0x200, v4
	s_and_not1_b32 exec_lo, exec_lo, s8
	s_cbranch_execnz .LBB110_6
.LBB110_7:
	s_or_b32 exec_lo, exec_lo, s20
	s_delay_alu instid0(SALU_CYCLE_1)
	s_and_b32 exec_lo, exec_lo, vcc_lo
	s_cbranch_execz .LBB110_28
; %bb.8:
	s_waitcnt lgkmcnt(0)
	s_clause 0x1
	global_load_b64 v[4:5], v9, s[4:5]
	global_load_b64 v[6:7], v9, s[6:7]
	v_mbcnt_lo_u32_b32 v3, -1, 0
	s_lshr_b32 s0, s3, 31
	s_ashr_i32 s1, s3, 31
	s_add_i32 s0, s3, s0
	s_lshr_b32 s1, s1, 30
	v_xor_b32_e32 v15, 16, v3
	s_and_b32 s5, s0, -2
	s_add_i32 s0, s3, s1
	v_xor_b32_e32 v16, 8, v3
	s_ashr_i32 s0, s0, 2
	v_lshlrev_b32_e32 v2, 2, v8
	v_cmp_le_i32_e32 vcc_lo, s0, v8
	v_cmp_gt_i32_e64 s0, 32, v15
	v_add_nc_u32_e32 v14, s15, v12
	v_xor_b32_e32 v17, 4, v3
	v_xor_b32_e32 v18, 2, v3
	v_add3_u32 v12, 0, v13, v2
	v_cndmask_b32_e64 v8, v3, v15, s0
	v_cmp_gt_i32_e64 s0, 32, v16
	v_add3_u32 v13, v14, v9, 0
	s_add_i32 s2, s18, s17
	s_lshl_b32 s4, s14, 2
	s_add_i32 s2, s2, s16
	v_cndmask_b32_e64 v9, v3, v16, s0
	v_cmp_gt_i32_e64 s0, 32, v17
	s_sub_i32 s1, s2, s4
	v_xor_b32_e32 v19, 1, v3
	v_mul_lo_u32 v1, s1, v1
	v_add_nc_u32_e32 v14, s5, v12
	v_cndmask_b32_e64 v17, v3, v17, s0
	v_cmp_gt_i32_e64 s0, 32, v18
	v_lshlrev_b32_e32 v15, 2, v8
	v_lshlrev_b32_e32 v16, 2, v9
	s_mov_b32 s2, 0
	v_lshlrev_b32_e32 v17, 2, v17
	v_cndmask_b32_e64 v18, v3, v18, s0
	v_cmp_gt_i32_e64 s0, 32, v19
	v_lshl_add_u32 v0, v1, 7, v0
	s_mov_b32 s3, 0
	s_delay_alu instid0(VALU_DEP_3) | instskip(NEXT) | instid1(VALU_DEP_3)
	v_lshlrev_b32_e32 v18, 2, v18
	v_cndmask_b32_e64 v3, v3, v19, s0
	s_delay_alu instid0(VALU_DEP_3) | instskip(NEXT) | instid1(VALU_DEP_2)
	v_or_b32_e32 v8, v0, v2
	v_lshlrev_b32_e32 v19, 2, v3
	s_waitcnt vmcnt(1)
	v_lshrrev_b32_e32 v20, 16, v4
	s_waitcnt vmcnt(0)
	v_lshrrev_b32_e32 v21, 16, v6
	v_lshrrev_b32_e32 v22, 16, v5
	;; [unrolled: 1-line block ×3, first 2 shown]
	s_branch .LBB110_10
.LBB110_9:                              ;   in Loop: Header=BB110_10 Depth=1
	s_or_b32 exec_lo, exec_lo, s1
	v_ashrrev_i32_e32 v9, 31, v8
	v_lshrrev_b32_e32 v2, 16, v26
	v_and_b32_e32 v3, 0xffff0000, v27
	s_add_i32 s3, s3, 1
	v_add_nc_u32_e32 v13, 0x100, v13
	v_lshlrev_b64 v[0:1], 1, v[8:9]
	v_lshrrev_b32_e32 v9, 16, v24
	v_cmp_ge_i32_e64 s0, s3, v11
	v_or_b32_e32 v2, v3, v2
	v_add_nc_u32_e32 v8, 0x80, v8
	v_add_co_u32 v26, s1, s12, v0
	s_delay_alu instid0(VALU_DEP_1)
	v_add_co_ci_u32_e64 v27, s1, s13, v1, s1
	v_and_or_b32 v1, 0xffff0000, v25, v9
	s_or_b32 s2, s0, s2
	global_store_b64 v[26:27], v[1:2], off
	s_and_not1_b32 exec_lo, exec_lo, s2
	s_cbranch_execz .LBB110_28
.LBB110_10:                             ; =>This Inner Loop Header: Depth=1
	ds_load_b64 v[0:1], v13
	s_waitcnt lgkmcnt(0)
	v_lshlrev_b32_e32 v3, 16, v0
	v_and_b32_e32 v2, 0xffff0000, v0
	v_alignbit_b32 v0, v1, v0, 16
	v_and_b32_e32 v25, 0xffff0000, v1
	s_delay_alu instid0(VALU_DEP_2) | instskip(NEXT) | instid1(VALU_DEP_1)
	v_dual_mul_f32 v9, v2, v2 :: v_dual_and_b32 v24, 0xffff0000, v0
	v_fmac_f32_e32 v9, v3, v3
	s_delay_alu instid0(VALU_DEP_1) | instskip(NEXT) | instid1(VALU_DEP_1)
	v_fmac_f32_e32 v9, v24, v24
	v_fmac_f32_e32 v9, v25, v25
	ds_bpermute_b32 v0, v15, v9
	s_waitcnt lgkmcnt(0)
	v_add_f32_e32 v0, v9, v0
	ds_bpermute_b32 v1, v16, v0
	s_waitcnt lgkmcnt(0)
	v_add_f32_e32 v0, v0, v1
	;; [unrolled: 3-line block ×5, first 2 shown]
	s_delay_alu instid0(VALU_DEP_1) | instskip(NEXT) | instid1(VALU_DEP_1)
	v_fma_f32 v0, 0x3c000000, v0, s19
	v_mul_f32_e32 v1, 0x4b800000, v0
	v_cmp_gt_f32_e64 s0, 0x800000, v0
	s_delay_alu instid0(VALU_DEP_1) | instskip(SKIP_1) | instid1(VALU_DEP_2)
	v_cndmask_b32_e64 v0, v0, v1, s0
	v_add_nc_u32_e32 v1, s3, v10
	v_rsq_f32_e32 v0, v0
	s_delay_alu instid0(VALU_DEP_1) | instskip(NEXT) | instid1(VALU_DEP_1)
	v_cmp_gt_i32_e64 s1, s16, v1
	v_cndmask_b32_e64 v26, v21, v20, s1
	v_cndmask_b32_e64 v27, v23, v22, s1
	;; [unrolled: 1-line block ×4, first 2 shown]
	s_waitcnt_depctr 0xfff
	v_mul_f32_e32 v9, 0x45800000, v0
	s_delay_alu instid0(VALU_DEP_1) | instskip(SKIP_3) | instid1(VALU_DEP_3)
	v_cndmask_b32_e64 v0, v0, v9, s0
	v_lshlrev_b32_e32 v9, 16, v26
	v_lshlrev_b32_e32 v26, 16, v27
	;; [unrolled: 1-line block ×3, first 2 shown]
	v_mul_f32_e32 v9, v0, v9
	s_delay_alu instid0(VALU_DEP_3) | instskip(NEXT) | instid1(VALU_DEP_3)
	v_mul_f32_e32 v26, v0, v26
	v_mul_f32_e32 v27, v0, v27
	v_lshlrev_b32_e32 v1, 16, v1
	s_delay_alu instid0(VALU_DEP_1) | instskip(NEXT) | instid1(VALU_DEP_1)
	v_mul_f32_e32 v1, v0, v1
	v_mul_f32_e32 v0, v1, v3
	s_delay_alu instid0(VALU_DEP_4) | instskip(SKIP_2) | instid1(SALU_CYCLE_1)
	v_dual_mul_f32 v1, v9, v2 :: v_dual_mul_f32 v2, v27, v24
	v_mul_f32_e32 v3, v26, v25
	s_and_saveexec_b32 s0, vcc_lo
	s_xor_b32 s0, exec_lo, s0
	s_delay_alu instid0(SALU_CYCLE_1)
	s_and_not1_saveexec_b32 s0, s0
	s_cbranch_execz .LBB110_12
; %bb.11:                               ;   in Loop: Header=BB110_10 Depth=1
	ds_load_u16 v9, v14
	ds_load_u16 v27, v14 offset:2
	ds_load_u16 v26, v12 offset:2
	ds_load_u16 v25, v12
	s_waitcnt lgkmcnt(3)
	v_cvt_f32_f16_e32 v9, v9
	s_waitcnt lgkmcnt(2)
	v_cvt_f32_f16_e32 v24, v27
	;; [unrolled: 2-line block ×3, first 2 shown]
	s_delay_alu instid0(VALU_DEP_2) | instskip(NEXT) | instid1(VALU_DEP_2)
	v_dual_mul_f32 v29, v1, v9 :: v_dual_mul_f32 v30, v3, v24
	v_mul_f32_e32 v3, v3, v28
	s_waitcnt lgkmcnt(0)
	s_delay_alu instid0(VALU_DEP_2) | instskip(NEXT) | instid1(VALU_DEP_3)
	v_fma_mix_f32 v24, v0, v25, -v29 op_sel_hi:[0,1,0]
	v_fma_mix_f32 v26, v2, v26, -v30 op_sel_hi:[0,1,0]
	s_delay_alu instid0(VALU_DEP_3) | instskip(SKIP_1) | instid1(VALU_DEP_1)
	v_fma_mix_f32 v27, v2, v27, v3 op_sel_hi:[0,1,0]
	v_mul_f32_e32 v9, v0, v9
	v_fma_mix_f32 v25, v1, v25, v9 op_sel_hi:[0,1,0]
	v_mov_b32_e32 v0, v24
	s_delay_alu instid0(VALU_DEP_4) | instskip(NEXT) | instid1(VALU_DEP_3)
	v_dual_mov_b32 v2, v26 :: v_dual_mov_b32 v3, v27
	v_mov_b32_e32 v1, v25
.LBB110_12:                             ;   in Loop: Header=BB110_10 Depth=1
	s_or_b32 exec_lo, exec_lo, s0
	s_delay_alu instid0(VALU_DEP_3) | instskip(NEXT) | instid1(VALU_DEP_1)
	v_and_b32_e32 v9, 0x7f800000, v0
                                        ; implicit-def: $vgpr24
	v_cmp_ne_u32_e64 s0, 0x7f800000, v9
	s_delay_alu instid0(VALU_DEP_1) | instskip(NEXT) | instid1(SALU_CYCLE_1)
	s_and_saveexec_b32 s1, s0
	s_xor_b32 s0, exec_lo, s1
; %bb.13:                               ;   in Loop: Header=BB110_10 Depth=1
	v_bfe_u32 v9, v0, 16, 1
	s_delay_alu instid0(VALU_DEP_1)
	v_add3_u32 v24, v0, v9, 0x7fff
; %bb.14:                               ;   in Loop: Header=BB110_10 Depth=1
	s_and_not1_saveexec_b32 s1, s0
; %bb.15:                               ;   in Loop: Header=BB110_10 Depth=1
	v_and_b32_e32 v9, 0xffff, v0
	v_or_b32_e32 v24, 0x10000, v0
	s_delay_alu instid0(VALU_DEP_2) | instskip(NEXT) | instid1(VALU_DEP_1)
	v_cmp_eq_u32_e64 s0, 0, v9
	v_cndmask_b32_e64 v24, v24, v0, s0
; %bb.16:                               ;   in Loop: Header=BB110_10 Depth=1
	s_or_b32 exec_lo, exec_lo, s1
	v_and_b32_e32 v0, 0x7f800000, v1
                                        ; implicit-def: $vgpr25
	s_delay_alu instid0(VALU_DEP_1) | instskip(NEXT) | instid1(VALU_DEP_1)
	v_cmp_ne_u32_e64 s0, 0x7f800000, v0
	s_and_saveexec_b32 s1, s0
	s_delay_alu instid0(SALU_CYCLE_1)
	s_xor_b32 s0, exec_lo, s1
; %bb.17:                               ;   in Loop: Header=BB110_10 Depth=1
	v_bfe_u32 v0, v1, 16, 1
	s_delay_alu instid0(VALU_DEP_1)
	v_add3_u32 v25, v1, v0, 0x7fff
; %bb.18:                               ;   in Loop: Header=BB110_10 Depth=1
	s_and_not1_saveexec_b32 s1, s0
; %bb.19:                               ;   in Loop: Header=BB110_10 Depth=1
	v_and_b32_e32 v0, 0xffff, v1
	v_or_b32_e32 v9, 0x10000, v1
	s_delay_alu instid0(VALU_DEP_2) | instskip(NEXT) | instid1(VALU_DEP_1)
	v_cmp_eq_u32_e64 s0, 0, v0
	v_cndmask_b32_e64 v25, v9, v1, s0
; %bb.20:                               ;   in Loop: Header=BB110_10 Depth=1
	s_or_b32 exec_lo, exec_lo, s1
	v_and_b32_e32 v0, 0x7f800000, v2
                                        ; implicit-def: $vgpr26
	s_delay_alu instid0(VALU_DEP_1) | instskip(NEXT) | instid1(VALU_DEP_1)
	v_cmp_ne_u32_e64 s0, 0x7f800000, v0
	s_and_saveexec_b32 s1, s0
	s_delay_alu instid0(SALU_CYCLE_1)
	s_xor_b32 s0, exec_lo, s1
; %bb.21:                               ;   in Loop: Header=BB110_10 Depth=1
	v_bfe_u32 v0, v2, 16, 1
	s_delay_alu instid0(VALU_DEP_1)
	v_add3_u32 v26, v2, v0, 0x7fff
; %bb.22:                               ;   in Loop: Header=BB110_10 Depth=1
	s_and_not1_saveexec_b32 s1, s0
; %bb.23:                               ;   in Loop: Header=BB110_10 Depth=1
	v_and_b32_e32 v0, 0xffff, v2
	v_or_b32_e32 v1, 0x10000, v2
	s_delay_alu instid0(VALU_DEP_2) | instskip(NEXT) | instid1(VALU_DEP_1)
	v_cmp_eq_u32_e64 s0, 0, v0
	v_cndmask_b32_e64 v26, v1, v2, s0
; %bb.24:                               ;   in Loop: Header=BB110_10 Depth=1
	s_or_b32 exec_lo, exec_lo, s1
	v_and_b32_e32 v0, 0x7f800000, v3
                                        ; implicit-def: $vgpr27
	s_delay_alu instid0(VALU_DEP_1) | instskip(NEXT) | instid1(VALU_DEP_1)
	v_cmp_ne_u32_e64 s0, 0x7f800000, v0
	s_and_saveexec_b32 s1, s0
	s_delay_alu instid0(SALU_CYCLE_1)
	s_xor_b32 s0, exec_lo, s1
; %bb.25:                               ;   in Loop: Header=BB110_10 Depth=1
	v_bfe_u32 v0, v3, 16, 1
	s_delay_alu instid0(VALU_DEP_1)
	v_add3_u32 v27, v3, v0, 0x7fff
                                        ; implicit-def: $vgpr0_vgpr1_vgpr2_vgpr3
; %bb.26:                               ;   in Loop: Header=BB110_10 Depth=1
	s_and_not1_saveexec_b32 s1, s0
	s_cbranch_execz .LBB110_9
; %bb.27:                               ;   in Loop: Header=BB110_10 Depth=1
	v_and_b32_e32 v0, 0xffff, v3
	v_or_b32_e32 v1, 0x10000, v3
	s_delay_alu instid0(VALU_DEP_2) | instskip(NEXT) | instid1(VALU_DEP_1)
	v_cmp_eq_u32_e64 s0, 0, v0
	v_cndmask_b32_e64 v27, v1, v3, s0
	s_branch .LBB110_9
.LBB110_28:
	s_nop 0
	s_sendmsg sendmsg(MSG_DEALLOC_VGPRS)
	s_endpgm
	.section	.rodata,"a",@progbits
	.p2align	6, 0x0
	.amdhsa_kernel _ZN12tensorrt_llm7kernels32fusedQKNormRopeKernelNTokenHeadsIN3c108BFloat16ENS2_4HalfELi128ELb1ELi4EEEvPviiifPKvS7_S7_PKlii
		.amdhsa_group_segment_fixed_size 0
		.amdhsa_private_segment_fixed_size 0
		.amdhsa_kernarg_size 320
		.amdhsa_user_sgpr_count 15
		.amdhsa_user_sgpr_dispatch_ptr 0
		.amdhsa_user_sgpr_queue_ptr 0
		.amdhsa_user_sgpr_kernarg_segment_ptr 1
		.amdhsa_user_sgpr_dispatch_id 0
		.amdhsa_user_sgpr_private_segment_size 0
		.amdhsa_wavefront_size32 1
		.amdhsa_uses_dynamic_stack 0
		.amdhsa_enable_private_segment 0
		.amdhsa_system_sgpr_workgroup_id_x 1
		.amdhsa_system_sgpr_workgroup_id_y 0
		.amdhsa_system_sgpr_workgroup_id_z 0
		.amdhsa_system_sgpr_workgroup_info 0
		.amdhsa_system_vgpr_workitem_id 0
		.amdhsa_next_free_vgpr 31
		.amdhsa_next_free_sgpr 21
		.amdhsa_reserve_vcc 1
		.amdhsa_float_round_mode_32 0
		.amdhsa_float_round_mode_16_64 0
		.amdhsa_float_denorm_mode_32 3
		.amdhsa_float_denorm_mode_16_64 3
		.amdhsa_dx10_clamp 1
		.amdhsa_ieee_mode 1
		.amdhsa_fp16_overflow 0
		.amdhsa_workgroup_processor_mode 1
		.amdhsa_memory_ordered 1
		.amdhsa_forward_progress 0
		.amdhsa_shared_vgpr_count 0
		.amdhsa_exception_fp_ieee_invalid_op 0
		.amdhsa_exception_fp_denorm_src 0
		.amdhsa_exception_fp_ieee_div_zero 0
		.amdhsa_exception_fp_ieee_overflow 0
		.amdhsa_exception_fp_ieee_underflow 0
		.amdhsa_exception_fp_ieee_inexact 0
		.amdhsa_exception_int_div_zero 0
	.end_amdhsa_kernel
	.section	.text._ZN12tensorrt_llm7kernels32fusedQKNormRopeKernelNTokenHeadsIN3c108BFloat16ENS2_4HalfELi128ELb1ELi4EEEvPviiifPKvS7_S7_PKlii,"axG",@progbits,_ZN12tensorrt_llm7kernels32fusedQKNormRopeKernelNTokenHeadsIN3c108BFloat16ENS2_4HalfELi128ELb1ELi4EEEvPviiifPKvS7_S7_PKlii,comdat
.Lfunc_end110:
	.size	_ZN12tensorrt_llm7kernels32fusedQKNormRopeKernelNTokenHeadsIN3c108BFloat16ENS2_4HalfELi128ELb1ELi4EEEvPviiifPKvS7_S7_PKlii, .Lfunc_end110-_ZN12tensorrt_llm7kernels32fusedQKNormRopeKernelNTokenHeadsIN3c108BFloat16ENS2_4HalfELi128ELb1ELi4EEEvPviiifPKvS7_S7_PKlii
                                        ; -- End function
	.section	.AMDGPU.csdata,"",@progbits
; Kernel info:
; codeLenInByte = 2192
; NumSgprs: 23
; NumVgprs: 31
; ScratchSize: 0
; MemoryBound: 0
; FloatMode: 240
; IeeeMode: 1
; LDSByteSize: 0 bytes/workgroup (compile time only)
; SGPRBlocks: 2
; VGPRBlocks: 3
; NumSGPRsForWavesPerEU: 23
; NumVGPRsForWavesPerEU: 31
; Occupancy: 16
; WaveLimiterHint : 0
; COMPUTE_PGM_RSRC2:SCRATCH_EN: 0
; COMPUTE_PGM_RSRC2:USER_SGPR: 15
; COMPUTE_PGM_RSRC2:TRAP_HANDLER: 0
; COMPUTE_PGM_RSRC2:TGID_X_EN: 1
; COMPUTE_PGM_RSRC2:TGID_Y_EN: 0
; COMPUTE_PGM_RSRC2:TGID_Z_EN: 0
; COMPUTE_PGM_RSRC2:TIDIG_COMP_CNT: 0
	.section	.text._ZN12tensorrt_llm7kernels32fusedQKNormRopeKernelNTokenHeadsIN3c108BFloat16ENS2_4HalfELi128ELb0ELi4EEEvPviiifPKvS7_S7_PKlii,"axG",@progbits,_ZN12tensorrt_llm7kernels32fusedQKNormRopeKernelNTokenHeadsIN3c108BFloat16ENS2_4HalfELi128ELb0ELi4EEEvPviiifPKvS7_S7_PKlii,comdat
	.protected	_ZN12tensorrt_llm7kernels32fusedQKNormRopeKernelNTokenHeadsIN3c108BFloat16ENS2_4HalfELi128ELb0ELi4EEEvPviiifPKvS7_S7_PKlii ; -- Begin function _ZN12tensorrt_llm7kernels32fusedQKNormRopeKernelNTokenHeadsIN3c108BFloat16ENS2_4HalfELi128ELb0ELi4EEEvPviiifPKvS7_S7_PKlii
	.globl	_ZN12tensorrt_llm7kernels32fusedQKNormRopeKernelNTokenHeadsIN3c108BFloat16ENS2_4HalfELi128ELb0ELi4EEEvPviiifPKvS7_S7_PKlii
	.p2align	8
	.type	_ZN12tensorrt_llm7kernels32fusedQKNormRopeKernelNTokenHeadsIN3c108BFloat16ENS2_4HalfELi128ELb0ELi4EEEvPviiifPKvS7_S7_PKlii,@function
_ZN12tensorrt_llm7kernels32fusedQKNormRopeKernelNTokenHeadsIN3c108BFloat16ENS2_4HalfELi128ELb0ELi4EEEvPviiifPKvS7_S7_PKlii: ; @_ZN12tensorrt_llm7kernels32fusedQKNormRopeKernelNTokenHeadsIN3c108BFloat16ENS2_4HalfELi128ELb0ELi4EEEvPviiifPKvS7_S7_PKlii
; %bb.0:
	s_clause 0x1
	s_load_b128 s[16:19], s[0:1], 0x8
	s_load_b64 s[2:3], s[0:1], 0x38
	v_lshrrev_b32_e32 v2, 5, v0
	s_waitcnt lgkmcnt(0)
	s_add_i32 s4, s17, s16
	s_delay_alu instid0(SALU_CYCLE_1) | instskip(NEXT) | instid1(SALU_CYCLE_1)
	s_add_i32 s5, s4, 3
	s_ashr_i32 s6, s5, 31
	s_delay_alu instid0(SALU_CYCLE_1) | instskip(NEXT) | instid1(SALU_CYCLE_1)
	s_lshr_b32 s6, s6, 30
	s_add_i32 s5, s5, s6
	s_delay_alu instid0(SALU_CYCLE_1) | instskip(SKIP_2) | instid1(SALU_CYCLE_1)
	s_ashr_i32 s14, s5, 2
	s_load_b32 s5, s[0:1], 0x4c
	s_abs_i32 s6, s14
	v_cvt_f32_u32_e32 v1, s6
	s_sub_i32 s7, 0, s6
	s_delay_alu instid0(VALU_DEP_1) | instskip(SKIP_4) | instid1(SALU_CYCLE_1)
	v_rcp_iflag_f32_e32 v1, v1
	s_waitcnt_depctr 0xfff
	v_mul_f32_e32 v1, 0x4f7ffffe, v1
	s_waitcnt lgkmcnt(0)
	s_bfe_u32 s5, s5, 0xb0005
	v_mad_u64_u32 v[3:4], null, s15, s5, v[2:3]
	s_delay_alu instid0(VALU_DEP_2) | instskip(NEXT) | instid1(VALU_DEP_1)
	v_cvt_u32_f32_e32 v1, v1
	v_mul_lo_u32 v5, s7, v1
	s_delay_alu instid0(VALU_DEP_1) | instskip(NEXT) | instid1(VALU_DEP_4)
	v_mul_hi_u32 v4, v1, v5
	v_sub_nc_u32_e32 v5, 0, v3
	s_delay_alu instid0(VALU_DEP_1) | instskip(NEXT) | instid1(VALU_DEP_3)
	v_max_i32_e32 v5, v3, v5
	v_add_nc_u32_e32 v1, v1, v4
	s_delay_alu instid0(VALU_DEP_1) | instskip(NEXT) | instid1(VALU_DEP_1)
	v_mul_hi_u32 v1, v5, v1
	v_mul_lo_u32 v4, v1, s6
	s_delay_alu instid0(VALU_DEP_1) | instskip(SKIP_1) | instid1(VALU_DEP_2)
	v_sub_nc_u32_e32 v4, v5, v4
	v_add_nc_u32_e32 v5, 1, v1
	v_subrev_nc_u32_e32 v6, s6, v4
	v_cmp_le_u32_e32 vcc_lo, s6, v4
	s_delay_alu instid0(VALU_DEP_2) | instskip(SKIP_1) | instid1(VALU_DEP_2)
	v_dual_cndmask_b32 v4, v4, v6 :: v_dual_cndmask_b32 v1, v1, v5
	v_xor_b32_e32 v5, s14, v3
	v_cmp_le_u32_e32 vcc_lo, s6, v4
	s_delay_alu instid0(VALU_DEP_3) | instskip(NEXT) | instid1(VALU_DEP_3)
	v_add_nc_u32_e32 v6, 1, v1
	v_ashrrev_i32_e32 v5, 31, v5
	s_delay_alu instid0(VALU_DEP_2) | instskip(NEXT) | instid1(VALU_DEP_1)
	v_cndmask_b32_e32 v1, v1, v6, vcc_lo
	v_xor_b32_e32 v1, v1, v5
	s_delay_alu instid0(VALU_DEP_1) | instskip(NEXT) | instid1(VALU_DEP_1)
	v_sub_nc_u32_e32 v1, v1, v5
	v_cmp_gt_i32_e32 vcc_lo, s2, v1
	s_and_saveexec_b32 s2, vcc_lo
	s_cbranch_execz .LBB111_28
; %bb.1:
	v_mul_lo_u32 v4, v1, s14
	s_load_b64 s[12:13], s[0:1], 0x0
	v_and_b32_e32 v8, 31, v0
	v_lshlrev_b32_e32 v12, 10, v2
	v_lshlrev_b32_e32 v9, 9, v3
	s_lshl_b32 s20, s3, 1
	s_delay_alu instid0(VALU_DEP_3) | instskip(SKIP_2) | instid1(VALU_DEP_1)
	v_lshlrev_b32_e32 v0, 3, v8
	v_sub_nc_u32_e32 v4, v3, v4
	s_mul_i32 s15, s20, s5
	v_lshlrev_b32_e32 v10, 2, v4
	s_delay_alu instid0(VALU_DEP_1) | instskip(SKIP_1) | instid1(VALU_DEP_2)
	v_add_nc_u32_e32 v4, 4, v10
	v_sub_nc_u32_e32 v5, s4, v10
	v_cmp_lt_i32_e32 vcc_lo, s4, v4
	s_delay_alu instid0(VALU_DEP_2) | instskip(NEXT) | instid1(VALU_DEP_1)
	v_cndmask_b32_e32 v11, 4, v5, vcc_lo
	v_cmp_lt_i32_e32 vcc_lo, 0, v11
	s_and_saveexec_b32 s4, vcc_lo
	s_cbranch_execz .LBB111_4
; %bb.2:
	s_add_i32 s2, s18, s17
	s_lshl_b32 s5, s14, 2
	s_add_i32 s2, s2, s16
	s_mov_b32 s6, 0
	s_sub_i32 s2, s2, s5
	s_mov_b32 s5, 0
	v_mul_lo_u32 v3, s2, v1
	s_add_i32 s2, s15, 0
	s_delay_alu instid0(SALU_CYCLE_1) | instskip(NEXT) | instid1(VALU_DEP_2)
	v_add3_u32 v5, s2, v12, v0
	v_lshl_add_u32 v3, v3, 7, v9
	s_delay_alu instid0(VALU_DEP_1)
	v_lshl_or_b32 v3, v8, 2, v3
	.p2align	6
.LBB111_3:                              ; =>This Inner Loop Header: Depth=1
	s_delay_alu instid0(VALU_DEP_1) | instskip(SKIP_1) | instid1(VALU_DEP_1)
	v_ashrrev_i32_e32 v4, 31, v3
	s_add_i32 s6, s6, 1
	v_lshlrev_b64 v[6:7], 1, v[3:4]
	v_add_nc_u32_e32 v3, 0x80, v3
	s_waitcnt lgkmcnt(0)
	s_delay_alu instid0(VALU_DEP_2) | instskip(NEXT) | instid1(VALU_DEP_1)
	v_add_co_u32 v6, s2, s12, v6
	v_add_co_ci_u32_e64 v7, s2, s13, v7, s2
	v_cmp_ge_i32_e64 s2, s6, v11
	global_load_b64 v[6:7], v[6:7], off
	s_or_b32 s5, s2, s5
	s_waitcnt vmcnt(0)
	ds_store_b64 v5, v[6:7]
	v_add_nc_u32_e32 v5, 0x100, v5
	s_and_not1_b32 exec_lo, exec_lo, s5
	s_cbranch_execnz .LBB111_3
.LBB111_4:
	s_or_b32 exec_lo, exec_lo, s4
	s_load_b256 s[4:11], s[0:1], 0x18
	s_add_i32 s0, s20, 15
	v_mul_lo_u32 v13, v2, s3
	s_ashr_i32 s1, s0, 31
	s_mov_b32 s20, exec_lo
	s_lshr_b32 s1, s1, 28
	s_delay_alu instid0(SALU_CYCLE_1) | instskip(NEXT) | instid1(SALU_CYCLE_1)
	s_add_i32 s0, s0, s1
	s_ashr_i32 s2, s0, 4
	s_delay_alu instid0(SALU_CYCLE_1)
	v_cmpx_gt_i32_e64 s2, v8
	s_cbranch_execz .LBB111_7
; %bb.5:
	v_ashrrev_i32_e32 v2, 31, v1
	s_delay_alu instid0(VALU_DEP_1) | instskip(SKIP_1) | instid1(VALU_DEP_1)
	v_lshlrev_b64 v[2:3], 3, v[1:2]
	s_waitcnt lgkmcnt(0)
	v_add_co_u32 v2, s0, s10, v2
	s_delay_alu instid0(VALU_DEP_1)
	v_add_co_ci_u32_e64 v3, s0, s11, v3, s0
	s_ashr_i32 s0, s3, 31
	global_load_b64 v[2:3], v[2:3], off
	s_waitcnt vmcnt(0)
	v_mul_lo_u32 v5, v3, s3
	v_mul_lo_u32 v6, v2, s0
	v_mad_u64_u32 v[3:4], null, v2, s3, 0
	s_delay_alu instid0(VALU_DEP_1) | instskip(SKIP_1) | instid1(VALU_DEP_2)
	v_add3_u32 v4, v4, v6, v5
	v_lshlrev_b32_e32 v5, 1, v13
	v_lshlrev_b64 v[2:3], 1, v[3:4]
	v_lshlrev_b32_e32 v4, 4, v8
	s_delay_alu instid0(VALU_DEP_1) | instskip(NEXT) | instid1(VALU_DEP_1)
	v_add_co_u32 v2, s0, v2, v4
	v_add_co_ci_u32_e64 v3, s0, 0, v3, s0
	v_add3_u32 v4, v5, v4, 0
	v_mov_b32_e32 v5, v8
	s_delay_alu instid0(VALU_DEP_4) | instskip(NEXT) | instid1(VALU_DEP_1)
	v_add_co_u32 v2, s0, s8, v2
	v_add_co_ci_u32_e64 v3, s0, s9, v3, s0
	s_mov_b32 s8, 0
	.p2align	6
.LBB111_6:                              ; =>This Inner Loop Header: Depth=1
	global_load_b128 v[14:17], v[2:3], off
	v_add_nc_u32_e32 v5, 32, v5
	v_add_co_u32 v2, s0, 0x200, v2
	s_delay_alu instid0(VALU_DEP_1) | instskip(NEXT) | instid1(VALU_DEP_3)
	v_add_co_ci_u32_e64 v3, s0, 0, v3, s0
	v_cmp_le_i32_e64 s1, s2, v5
	s_delay_alu instid0(VALU_DEP_1)
	s_or_b32 s8, s1, s8
	s_waitcnt vmcnt(0)
	ds_store_b128 v4, v[14:17]
	v_add_nc_u32_e32 v4, 0x200, v4
	s_and_not1_b32 exec_lo, exec_lo, s8
	s_cbranch_execnz .LBB111_6
.LBB111_7:
	s_or_b32 exec_lo, exec_lo, s20
	s_delay_alu instid0(SALU_CYCLE_1)
	s_and_b32 exec_lo, exec_lo, vcc_lo
	s_cbranch_execz .LBB111_28
; %bb.8:
	s_waitcnt lgkmcnt(0)
	s_clause 0x1
	global_load_b64 v[4:5], v0, s[4:5]
	global_load_b64 v[6:7], v0, s[6:7]
	s_abs_i32 s2, s3
	s_lshr_b32 s0, s3, 31
	v_cvt_f32_u32_e32 v2, s2
	s_add_i32 s0, s3, s0
	v_lshl_add_u32 v3, v13, 1, 0
	s_and_b32 s0, s0, -2
	v_mbcnt_lo_u32_b32 v13, -1, 0
	v_rcp_iflag_f32_e32 v2, v2
	s_ashr_i32 s1, s3, 31
	v_add_nc_u32_e32 v30, s15, v12
	s_lshr_b32 s6, s1, 30
	s_lshr_b32 s1, s1, 29
	v_xor_b32_e32 v12, 16, v13
	s_add_i32 s6, s3, s6
	s_add_i32 s1, s3, s1
	s_sub_i32 s7, 0, s2
	s_waitcnt_depctr 0xfff
	v_dual_mul_f32 v2, 0x4f7ffffe, v2 :: v_dual_add_nc_u32 v25, s0, v3
	s_ashr_i32 s0, s6, 2
	s_ashr_i32 s1, s1, 3
	v_xor_b32_e32 v14, 8, v13
	v_cmp_gt_i32_e32 vcc_lo, s0, v8
	v_cvt_u32_f32_e32 v2, v2
	v_xor_b32_e32 v22, s1, v13
	v_cmp_gt_i32_e64 s0, s1, v8
	v_cmp_gt_i32_e64 s1, 32, v12
	v_xor_b32_e32 v19, 4, v13
	v_mul_lo_u32 v15, s7, v2
	v_xor_b32_e32 v20, 2, v13
	s_add_i32 s4, s18, s17
	v_cndmask_b32_e64 v12, v13, v12, s1
	v_cmp_gt_i32_e64 s1, 32, v14
	s_lshl_b32 s5, s14, 2
	s_add_i32 s4, s4, s16
	v_or_b32_e32 v16, 2, v0
	v_mul_hi_u32 v15, v2, v15
	v_cndmask_b32_e64 v14, v13, v14, s1
	v_cmp_gt_i32_e64 s1, 32, v19
	s_sub_i32 s3, s4, s5
	v_or_b32_e32 v17, 4, v0
	v_or_b32_e32 v18, 6, v0
	v_mul_lo_u32 v1, s3, v1
	v_xor_b32_e32 v21, 1, v13
	v_add_nc_u32_e32 v2, v2, v15
	v_cndmask_b32_e64 v15, v13, v19, s1
	v_cmp_gt_i32_e64 s1, 32, v20
	v_lshlrev_b32_e32 v12, 2, v12
	v_add3_u32 v30, v30, v0, 0
	v_mul_hi_u32 v23, v16, v2
	v_mul_hi_u32 v24, v17, v2
	v_cndmask_b32_e64 v19, v13, v20, s1
	v_mul_hi_u32 v20, v0, v2
	v_mul_hi_u32 v2, v18, v2
	v_lshl_add_u32 v1, v1, 7, v9
	v_cmp_gt_i32_e64 s1, 32, v21
	s_mov_b32 s3, 0
	s_mov_b32 s4, 0
	s_delay_alu instid0(VALU_DEP_2)
	v_lshl_or_b32 v8, v8, 2, v1
	v_mul_lo_u32 v9, v20, s2
	v_mul_lo_u32 v20, v23, s2
	;; [unrolled: 1-line block ×3, first 2 shown]
	v_cndmask_b32_e64 v21, v13, v21, s1
	v_cmp_gt_i32_e64 s1, 32, v22
	v_mul_lo_u32 v23, v24, s2
	v_sub_nc_u32_e32 v9, v0, v9
	s_delay_alu instid0(VALU_DEP_3)
	v_cndmask_b32_e64 v22, v13, v22, s1
	v_lshlrev_b32_e32 v13, 2, v14
	v_lshlrev_b32_e32 v14, 2, v15
	;; [unrolled: 1-line block ×3, first 2 shown]
	v_sub_nc_u32_e32 v19, v16, v20
	v_sub_nc_u32_e32 v2, v18, v2
	v_subrev_nc_u32_e32 v18, s2, v9
	v_cmp_le_u32_e64 s1, s2, v9
	v_sub_nc_u32_e32 v17, v17, v23
	v_subrev_nc_u32_e32 v20, s2, v19
	v_lshlrev_b32_e32 v16, 2, v21
	v_subrev_nc_u32_e32 v23, s2, v2
	v_cndmask_b32_e64 v9, v9, v18, s1
	v_cmp_le_u32_e64 s1, s2, v19
	v_subrev_nc_u32_e32 v21, s2, v17
	s_delay_alu instid0(VALU_DEP_2) | instskip(SKIP_2) | instid1(VALU_DEP_2)
	v_cndmask_b32_e64 v18, v19, v20, s1
	v_cmp_le_u32_e64 s1, s2, v17
	v_subrev_nc_u32_e32 v20, s2, v9
	v_cndmask_b32_e64 v19, v17, v21, s1
	v_cmp_le_u32_e64 s1, s2, v2
	v_subrev_nc_u32_e32 v21, s2, v18
	v_lshlrev_b32_e32 v17, 2, v22
	s_delay_alu instid0(VALU_DEP_4) | instskip(NEXT) | instid1(VALU_DEP_4)
	v_subrev_nc_u32_e32 v22, s2, v19
	v_cndmask_b32_e64 v2, v2, v23, s1
	v_cmp_le_u32_e64 s1, s2, v9
	s_delay_alu instid0(VALU_DEP_2) | instskip(NEXT) | instid1(VALU_DEP_2)
	v_subrev_nc_u32_e32 v23, s2, v2
	v_cndmask_b32_e64 v9, v9, v20, s1
	v_cmp_le_u32_e64 s1, s2, v18
	s_delay_alu instid0(VALU_DEP_2) | instskip(NEXT) | instid1(VALU_DEP_2)
	v_and_b32_e32 v9, -2, v9
	v_cndmask_b32_e64 v18, v18, v21, s1
	v_cmp_le_u32_e64 s1, s2, v19
	s_delay_alu instid0(VALU_DEP_2) | instskip(NEXT) | instid1(VALU_DEP_2)
	v_and_b32_e32 v1, -2, v18
	v_cndmask_b32_e64 v19, v19, v22, s1
	v_cmp_le_u32_e64 s1, s2, v2
	v_add_nc_u32_e32 v18, v3, v9
	s_delay_alu instid0(VALU_DEP_4) | instskip(SKIP_1) | instid1(VALU_DEP_4)
	v_add_nc_u32_e32 v20, v3, v1
	v_add_nc_u32_e32 v21, v25, v1
	v_cndmask_b32_e64 v2, v2, v23, s1
	v_and_b32_e32 v23, -2, v19
	v_add_nc_u32_e32 v19, v25, v9
	s_delay_alu instid0(VALU_DEP_3) | instskip(NEXT) | instid1(VALU_DEP_3)
	v_and_b32_e32 v2, -2, v2
	v_add_nc_u32_e32 v22, v3, v23
	v_add_nc_u32_e32 v23, v25, v23
	s_delay_alu instid0(VALU_DEP_3)
	v_add_nc_u32_e32 v24, v3, v2
	v_add_nc_u32_e32 v25, v25, v2
	s_waitcnt vmcnt(1)
	v_lshrrev_b32_e32 v26, 16, v4
	v_lshrrev_b32_e32 v27, 16, v5
	s_waitcnt vmcnt(0)
	v_lshrrev_b32_e32 v28, 16, v6
	v_lshrrev_b32_e32 v29, 16, v7
	s_branch .LBB111_10
.LBB111_9:                              ;   in Loop: Header=BB111_10 Depth=1
	s_or_b32 exec_lo, exec_lo, s2
	v_ashrrev_i32_e32 v9, 31, v8
	v_lshrrev_b32_e32 v2, 16, v33
	v_and_b32_e32 v3, 0xffff0000, v34
	s_add_i32 s4, s4, 1
	v_add_nc_u32_e32 v30, 0x100, v30
	v_lshlrev_b64 v[0:1], 1, v[8:9]
	v_lshrrev_b32_e32 v9, 16, v31
	v_cmp_ge_i32_e64 s1, s4, v11
	v_or_b32_e32 v2, v3, v2
	v_add_nc_u32_e32 v8, 0x80, v8
	v_add_co_u32 v33, s2, s12, v0
	s_delay_alu instid0(VALU_DEP_1)
	v_add_co_ci_u32_e64 v34, s2, s13, v1, s2
	v_and_or_b32 v1, 0xffff0000, v32, v9
	s_or_b32 s3, s1, s3
	global_store_b64 v[33:34], v[1:2], off
	s_and_not1_b32 exec_lo, exec_lo, s3
	s_cbranch_execz .LBB111_28
.LBB111_10:                             ; =>This Inner Loop Header: Depth=1
	ds_load_b64 v[0:1], v30
	s_waitcnt lgkmcnt(0)
	v_and_b32_e32 v3, 0xffff0000, v0
	v_lshlrev_b32_e32 v2, 16, v0
	v_alignbit_b32 v0, v1, v0, 16
	v_and_b32_e32 v31, 0xffff0000, v1
	s_delay_alu instid0(VALU_DEP_2) | instskip(NEXT) | instid1(VALU_DEP_1)
	v_dual_mul_f32 v9, v3, v3 :: v_dual_and_b32 v0, 0xffff0000, v0
	v_fmac_f32_e32 v9, v2, v2
	s_delay_alu instid0(VALU_DEP_1) | instskip(NEXT) | instid1(VALU_DEP_1)
	v_fmac_f32_e32 v9, v0, v0
	v_fmac_f32_e32 v9, v31, v31
	ds_bpermute_b32 v1, v12, v9
	s_waitcnt lgkmcnt(0)
	v_add_f32_e32 v1, v9, v1
	ds_bpermute_b32 v9, v13, v1
	s_waitcnt lgkmcnt(0)
	v_add_f32_e32 v1, v1, v9
	;; [unrolled: 3-line block ×5, first 2 shown]
	s_delay_alu instid0(VALU_DEP_1) | instskip(NEXT) | instid1(VALU_DEP_1)
	v_fma_f32 v1, 0x3c000000, v1, s19
	v_mul_f32_e32 v9, 0x4b800000, v1
	v_cmp_gt_f32_e64 s1, 0x800000, v1
	s_delay_alu instid0(VALU_DEP_1) | instskip(SKIP_1) | instid1(VALU_DEP_2)
	v_cndmask_b32_e64 v1, v1, v9, s1
	v_add_nc_u32_e32 v9, s4, v10
	v_rsq_f32_e32 v1, v1
	s_delay_alu instid0(VALU_DEP_1) | instskip(NEXT) | instid1(VALU_DEP_1)
	v_cmp_gt_i32_e64 s2, s16, v9
	v_cndmask_b32_e64 v9, v6, v4, s2
	v_cndmask_b32_e64 v33, v28, v26, s2
	;; [unrolled: 1-line block ×4, first 2 shown]
	s_waitcnt_depctr 0xfff
	v_mul_f32_e32 v32, 0x45800000, v1
	v_lshlrev_b32_e32 v9, 16, v9
	s_delay_alu instid0(VALU_DEP_2) | instskip(SKIP_2) | instid1(VALU_DEP_3)
	v_cndmask_b32_e64 v1, v1, v32, s1
	v_lshlrev_b32_e32 v32, 16, v33
	v_lshlrev_b32_e32 v33, 16, v34
	v_dual_mul_f32 v9, v1, v9 :: v_dual_lshlrev_b32 v34, 16, v35
	s_delay_alu instid0(VALU_DEP_3) | instskip(NEXT) | instid1(VALU_DEP_3)
	v_mul_f32_e32 v32, v1, v32
	v_mul_f32_e32 v33, v1, v33
	s_delay_alu instid0(VALU_DEP_3) | instskip(NEXT) | instid1(VALU_DEP_3)
	v_mul_f32_e32 v34, v1, v34
	v_dual_mul_f32 v2, v9, v2 :: v_dual_mul_f32 v1, v32, v3
	s_delay_alu instid0(VALU_DEP_2)
	v_dual_mul_f32 v0, v33, v0 :: v_dual_mul_f32 v3, v34, v31
	s_and_saveexec_b32 s1, vcc_lo
	s_cbranch_execz .LBB111_12
; %bb.11:                               ;   in Loop: Header=BB111_10 Depth=1
	; wave barrier
	ds_bpermute_b32 v9, v17, v2
	ds_load_u16 v31, v19
	ds_load_u16 v33, v21
	;; [unrolled: 1-line block ×3, first 2 shown]
	ds_bpermute_b32 v32, v17, v1
	ds_bpermute_b32 v34, v17, v0
	;; [unrolled: 1-line block ×3, first 2 shown]
	ds_load_u16 v37, v25
	ds_load_u16 v38, v18
	;; [unrolled: 1-line block ×5, first 2 shown]
	; wave barrier
	s_waitcnt lgkmcnt(11)
	v_cndmask_b32_e64 v9, v9, -v9, s0
	s_waitcnt lgkmcnt(10)
	v_cvt_f32_f16_e32 v31, v31
	s_waitcnt lgkmcnt(9)
	v_cvt_f32_f16_e32 v33, v33
	;; [unrolled: 2-line block ×3, first 2 shown]
	s_waitcnt lgkmcnt(7)
	v_cndmask_b32_e64 v32, v32, -v32, s0
	s_waitcnt lgkmcnt(6)
	v_cndmask_b32_e64 v34, v34, -v34, s0
	;; [unrolled: 2-line block ×3, first 2 shown]
	s_waitcnt lgkmcnt(4)
	v_cvt_f32_f16_e32 v37, v37
	v_mul_f32_e32 v9, v9, v31
	v_dual_mul_f32 v31, v32, v33 :: v_dual_mul_f32 v32, v34, v35
	s_delay_alu instid0(VALU_DEP_3) | instskip(SKIP_1) | instid1(VALU_DEP_3)
	v_mul_f32_e32 v33, v36, v37
	s_waitcnt lgkmcnt(3)
	v_fma_mix_f32 v2, v2, v38, v9 op_sel_hi:[0,1,0]
	s_waitcnt lgkmcnt(2)
	v_fma_mix_f32 v1, v1, v39, v31 op_sel_hi:[0,1,0]
	;; [unrolled: 2-line block ×4, first 2 shown]
.LBB111_12:                             ;   in Loop: Header=BB111_10 Depth=1
	s_or_b32 exec_lo, exec_lo, s1
	v_and_b32_e32 v9, 0x7f800000, v2
                                        ; implicit-def: $vgpr31
	s_delay_alu instid0(VALU_DEP_1) | instskip(NEXT) | instid1(VALU_DEP_1)
	v_cmp_ne_u32_e64 s1, 0x7f800000, v9
	s_and_saveexec_b32 s2, s1
	s_delay_alu instid0(SALU_CYCLE_1)
	s_xor_b32 s1, exec_lo, s2
; %bb.13:                               ;   in Loop: Header=BB111_10 Depth=1
	v_bfe_u32 v9, v2, 16, 1
	s_delay_alu instid0(VALU_DEP_1)
	v_add3_u32 v31, v2, v9, 0x7fff
; %bb.14:                               ;   in Loop: Header=BB111_10 Depth=1
	s_and_not1_saveexec_b32 s2, s1
; %bb.15:                               ;   in Loop: Header=BB111_10 Depth=1
	v_and_b32_e32 v9, 0xffff, v2
	v_or_b32_e32 v31, 0x10000, v2
	s_delay_alu instid0(VALU_DEP_2) | instskip(NEXT) | instid1(VALU_DEP_1)
	v_cmp_eq_u32_e64 s1, 0, v9
	v_cndmask_b32_e64 v31, v31, v2, s1
; %bb.16:                               ;   in Loop: Header=BB111_10 Depth=1
	s_or_b32 exec_lo, exec_lo, s2
	v_and_b32_e32 v2, 0x7f800000, v1
                                        ; implicit-def: $vgpr32
	s_delay_alu instid0(VALU_DEP_1) | instskip(NEXT) | instid1(VALU_DEP_1)
	v_cmp_ne_u32_e64 s1, 0x7f800000, v2
	s_and_saveexec_b32 s2, s1
	s_delay_alu instid0(SALU_CYCLE_1)
	s_xor_b32 s1, exec_lo, s2
; %bb.17:                               ;   in Loop: Header=BB111_10 Depth=1
	v_bfe_u32 v2, v1, 16, 1
	s_delay_alu instid0(VALU_DEP_1)
	v_add3_u32 v32, v1, v2, 0x7fff
; %bb.18:                               ;   in Loop: Header=BB111_10 Depth=1
	s_and_not1_saveexec_b32 s2, s1
; %bb.19:                               ;   in Loop: Header=BB111_10 Depth=1
	v_and_b32_e32 v2, 0xffff, v1
	v_or_b32_e32 v9, 0x10000, v1
	s_delay_alu instid0(VALU_DEP_2) | instskip(NEXT) | instid1(VALU_DEP_1)
	v_cmp_eq_u32_e64 s1, 0, v2
	v_cndmask_b32_e64 v32, v9, v1, s1
; %bb.20:                               ;   in Loop: Header=BB111_10 Depth=1
	s_or_b32 exec_lo, exec_lo, s2
	v_and_b32_e32 v1, 0x7f800000, v0
                                        ; implicit-def: $vgpr33
	s_delay_alu instid0(VALU_DEP_1) | instskip(NEXT) | instid1(VALU_DEP_1)
	v_cmp_ne_u32_e64 s1, 0x7f800000, v1
	s_and_saveexec_b32 s2, s1
	s_delay_alu instid0(SALU_CYCLE_1)
	s_xor_b32 s1, exec_lo, s2
; %bb.21:                               ;   in Loop: Header=BB111_10 Depth=1
	v_bfe_u32 v1, v0, 16, 1
	s_delay_alu instid0(VALU_DEP_1)
	v_add3_u32 v33, v0, v1, 0x7fff
; %bb.22:                               ;   in Loop: Header=BB111_10 Depth=1
	s_and_not1_saveexec_b32 s2, s1
; %bb.23:                               ;   in Loop: Header=BB111_10 Depth=1
	v_and_b32_e32 v1, 0xffff, v0
	v_or_b32_e32 v2, 0x10000, v0
	s_delay_alu instid0(VALU_DEP_2) | instskip(NEXT) | instid1(VALU_DEP_1)
	v_cmp_eq_u32_e64 s1, 0, v1
	v_cndmask_b32_e64 v33, v2, v0, s1
; %bb.24:                               ;   in Loop: Header=BB111_10 Depth=1
	s_or_b32 exec_lo, exec_lo, s2
	v_and_b32_e32 v0, 0x7f800000, v3
                                        ; implicit-def: $vgpr34
	s_delay_alu instid0(VALU_DEP_1) | instskip(NEXT) | instid1(VALU_DEP_1)
	v_cmp_ne_u32_e64 s1, 0x7f800000, v0
	s_and_saveexec_b32 s2, s1
	s_delay_alu instid0(SALU_CYCLE_1)
	s_xor_b32 s1, exec_lo, s2
; %bb.25:                               ;   in Loop: Header=BB111_10 Depth=1
	v_bfe_u32 v0, v3, 16, 1
	s_delay_alu instid0(VALU_DEP_1)
	v_add3_u32 v34, v3, v0, 0x7fff
                                        ; implicit-def: $vgpr0_vgpr1_vgpr2_vgpr3
; %bb.26:                               ;   in Loop: Header=BB111_10 Depth=1
	s_and_not1_saveexec_b32 s2, s1
	s_cbranch_execz .LBB111_9
; %bb.27:                               ;   in Loop: Header=BB111_10 Depth=1
	v_and_b32_e32 v0, 0xffff, v3
	v_or_b32_e32 v1, 0x10000, v3
	s_delay_alu instid0(VALU_DEP_2) | instskip(NEXT) | instid1(VALU_DEP_1)
	v_cmp_eq_u32_e64 s1, 0, v0
	v_cndmask_b32_e64 v34, v1, v3, s1
	s_branch .LBB111_9
.LBB111_28:
	s_nop 0
	s_sendmsg sendmsg(MSG_DEALLOC_VGPRS)
	s_endpgm
	.section	.rodata,"a",@progbits
	.p2align	6, 0x0
	.amdhsa_kernel _ZN12tensorrt_llm7kernels32fusedQKNormRopeKernelNTokenHeadsIN3c108BFloat16ENS2_4HalfELi128ELb0ELi4EEEvPviiifPKvS7_S7_PKlii
		.amdhsa_group_segment_fixed_size 0
		.amdhsa_private_segment_fixed_size 0
		.amdhsa_kernarg_size 320
		.amdhsa_user_sgpr_count 15
		.amdhsa_user_sgpr_dispatch_ptr 0
		.amdhsa_user_sgpr_queue_ptr 0
		.amdhsa_user_sgpr_kernarg_segment_ptr 1
		.amdhsa_user_sgpr_dispatch_id 0
		.amdhsa_user_sgpr_private_segment_size 0
		.amdhsa_wavefront_size32 1
		.amdhsa_uses_dynamic_stack 0
		.amdhsa_enable_private_segment 0
		.amdhsa_system_sgpr_workgroup_id_x 1
		.amdhsa_system_sgpr_workgroup_id_y 0
		.amdhsa_system_sgpr_workgroup_id_z 0
		.amdhsa_system_sgpr_workgroup_info 0
		.amdhsa_system_vgpr_workitem_id 0
		.amdhsa_next_free_vgpr 42
		.amdhsa_next_free_sgpr 21
		.amdhsa_reserve_vcc 1
		.amdhsa_float_round_mode_32 0
		.amdhsa_float_round_mode_16_64 0
		.amdhsa_float_denorm_mode_32 3
		.amdhsa_float_denorm_mode_16_64 3
		.amdhsa_dx10_clamp 1
		.amdhsa_ieee_mode 1
		.amdhsa_fp16_overflow 0
		.amdhsa_workgroup_processor_mode 1
		.amdhsa_memory_ordered 1
		.amdhsa_forward_progress 0
		.amdhsa_shared_vgpr_count 0
		.amdhsa_exception_fp_ieee_invalid_op 0
		.amdhsa_exception_fp_denorm_src 0
		.amdhsa_exception_fp_ieee_div_zero 0
		.amdhsa_exception_fp_ieee_overflow 0
		.amdhsa_exception_fp_ieee_underflow 0
		.amdhsa_exception_fp_ieee_inexact 0
		.amdhsa_exception_int_div_zero 0
	.end_amdhsa_kernel
	.section	.text._ZN12tensorrt_llm7kernels32fusedQKNormRopeKernelNTokenHeadsIN3c108BFloat16ENS2_4HalfELi128ELb0ELi4EEEvPviiifPKvS7_S7_PKlii,"axG",@progbits,_ZN12tensorrt_llm7kernels32fusedQKNormRopeKernelNTokenHeadsIN3c108BFloat16ENS2_4HalfELi128ELb0ELi4EEEvPviiifPKvS7_S7_PKlii,comdat
.Lfunc_end111:
	.size	_ZN12tensorrt_llm7kernels32fusedQKNormRopeKernelNTokenHeadsIN3c108BFloat16ENS2_4HalfELi128ELb0ELi4EEEvPviiifPKvS7_S7_PKlii, .Lfunc_end111-_ZN12tensorrt_llm7kernels32fusedQKNormRopeKernelNTokenHeadsIN3c108BFloat16ENS2_4HalfELi128ELb0ELi4EEEvPviiifPKvS7_S7_PKlii
                                        ; -- End function
	.section	.AMDGPU.csdata,"",@progbits
; Kernel info:
; codeLenInByte = 2712
; NumSgprs: 23
; NumVgprs: 42
; ScratchSize: 0
; MemoryBound: 0
; FloatMode: 240
; IeeeMode: 1
; LDSByteSize: 0 bytes/workgroup (compile time only)
; SGPRBlocks: 2
; VGPRBlocks: 5
; NumSGPRsForWavesPerEU: 23
; NumVGPRsForWavesPerEU: 42
; Occupancy: 16
; WaveLimiterHint : 0
; COMPUTE_PGM_RSRC2:SCRATCH_EN: 0
; COMPUTE_PGM_RSRC2:USER_SGPR: 15
; COMPUTE_PGM_RSRC2:TRAP_HANDLER: 0
; COMPUTE_PGM_RSRC2:TGID_X_EN: 1
; COMPUTE_PGM_RSRC2:TGID_Y_EN: 0
; COMPUTE_PGM_RSRC2:TGID_Z_EN: 0
; COMPUTE_PGM_RSRC2:TIDIG_COMP_CNT: 0
	.section	.text._ZN12tensorrt_llm7kernels32fusedQKNormRopeKernelNTokenHeadsIN3c108BFloat16ENS2_4HalfELi256ELb1ELi4EEEvPviiifPKvS7_S7_PKlii,"axG",@progbits,_ZN12tensorrt_llm7kernels32fusedQKNormRopeKernelNTokenHeadsIN3c108BFloat16ENS2_4HalfELi256ELb1ELi4EEEvPviiifPKvS7_S7_PKlii,comdat
	.protected	_ZN12tensorrt_llm7kernels32fusedQKNormRopeKernelNTokenHeadsIN3c108BFloat16ENS2_4HalfELi256ELb1ELi4EEEvPviiifPKvS7_S7_PKlii ; -- Begin function _ZN12tensorrt_llm7kernels32fusedQKNormRopeKernelNTokenHeadsIN3c108BFloat16ENS2_4HalfELi256ELb1ELi4EEEvPviiifPKvS7_S7_PKlii
	.globl	_ZN12tensorrt_llm7kernels32fusedQKNormRopeKernelNTokenHeadsIN3c108BFloat16ENS2_4HalfELi256ELb1ELi4EEEvPviiifPKvS7_S7_PKlii
	.p2align	8
	.type	_ZN12tensorrt_llm7kernels32fusedQKNormRopeKernelNTokenHeadsIN3c108BFloat16ENS2_4HalfELi256ELb1ELi4EEEvPviiifPKvS7_S7_PKlii,@function
_ZN12tensorrt_llm7kernels32fusedQKNormRopeKernelNTokenHeadsIN3c108BFloat16ENS2_4HalfELi256ELb1ELi4EEEvPviiifPKvS7_S7_PKlii: ; @_ZN12tensorrt_llm7kernels32fusedQKNormRopeKernelNTokenHeadsIN3c108BFloat16ENS2_4HalfELi256ELb1ELi4EEEvPviiifPKvS7_S7_PKlii
; %bb.0:
	s_clause 0x1
	s_load_b128 s[16:19], s[0:1], 0x8
	s_load_b64 s[2:3], s[0:1], 0x38
	v_lshrrev_b32_e32 v2, 5, v0
	s_waitcnt lgkmcnt(0)
	s_add_i32 s4, s17, s16
	s_delay_alu instid0(SALU_CYCLE_1) | instskip(NEXT) | instid1(SALU_CYCLE_1)
	s_add_i32 s5, s4, 3
	s_ashr_i32 s6, s5, 31
	s_delay_alu instid0(SALU_CYCLE_1) | instskip(NEXT) | instid1(SALU_CYCLE_1)
	s_lshr_b32 s6, s6, 30
	s_add_i32 s5, s5, s6
	s_delay_alu instid0(SALU_CYCLE_1) | instskip(SKIP_2) | instid1(SALU_CYCLE_1)
	s_ashr_i32 s14, s5, 2
	s_load_b32 s5, s[0:1], 0x4c
	s_abs_i32 s6, s14
	v_cvt_f32_u32_e32 v1, s6
	s_sub_i32 s7, 0, s6
	s_delay_alu instid0(VALU_DEP_1) | instskip(SKIP_4) | instid1(SALU_CYCLE_1)
	v_rcp_iflag_f32_e32 v1, v1
	s_waitcnt_depctr 0xfff
	v_mul_f32_e32 v1, 0x4f7ffffe, v1
	s_waitcnt lgkmcnt(0)
	s_bfe_u32 s5, s5, 0xb0005
	v_mad_u64_u32 v[3:4], null, s15, s5, v[2:3]
	s_delay_alu instid0(VALU_DEP_2) | instskip(NEXT) | instid1(VALU_DEP_1)
	v_cvt_u32_f32_e32 v1, v1
	v_mul_lo_u32 v5, s7, v1
	s_delay_alu instid0(VALU_DEP_1) | instskip(NEXT) | instid1(VALU_DEP_4)
	v_mul_hi_u32 v4, v1, v5
	v_sub_nc_u32_e32 v5, 0, v3
	s_delay_alu instid0(VALU_DEP_1) | instskip(NEXT) | instid1(VALU_DEP_3)
	v_max_i32_e32 v5, v3, v5
	v_add_nc_u32_e32 v1, v1, v4
	s_delay_alu instid0(VALU_DEP_1) | instskip(NEXT) | instid1(VALU_DEP_1)
	v_mul_hi_u32 v1, v5, v1
	v_mul_lo_u32 v4, v1, s6
	s_delay_alu instid0(VALU_DEP_1) | instskip(SKIP_1) | instid1(VALU_DEP_2)
	v_sub_nc_u32_e32 v4, v5, v4
	v_add_nc_u32_e32 v5, 1, v1
	v_subrev_nc_u32_e32 v6, s6, v4
	v_cmp_le_u32_e32 vcc_lo, s6, v4
	s_delay_alu instid0(VALU_DEP_2) | instskip(SKIP_1) | instid1(VALU_DEP_2)
	v_dual_cndmask_b32 v4, v4, v6 :: v_dual_cndmask_b32 v1, v1, v5
	v_xor_b32_e32 v5, s14, v3
	v_cmp_le_u32_e32 vcc_lo, s6, v4
	s_delay_alu instid0(VALU_DEP_3) | instskip(NEXT) | instid1(VALU_DEP_3)
	v_add_nc_u32_e32 v6, 1, v1
	v_ashrrev_i32_e32 v5, 31, v5
	s_delay_alu instid0(VALU_DEP_2) | instskip(NEXT) | instid1(VALU_DEP_1)
	v_cndmask_b32_e32 v1, v1, v6, vcc_lo
	v_xor_b32_e32 v1, v1, v5
	s_delay_alu instid0(VALU_DEP_1) | instskip(NEXT) | instid1(VALU_DEP_1)
	v_sub_nc_u32_e32 v1, v1, v5
	v_cmp_gt_i32_e32 vcc_lo, s2, v1
	s_and_saveexec_b32 s2, vcc_lo
	s_cbranch_execz .LBB112_44
; %bb.1:
	v_mul_lo_u32 v4, v1, s14
	s_load_b64 s[12:13], s[0:1], 0x0
	v_and_b32_e32 v6, 31, v0
	v_lshlrev_b32_e32 v12, 11, v2
	s_lshl_b32 s20, s3, 1
	s_delay_alu instid0(SALU_CYCLE_1) | instskip(NEXT) | instid1(VALU_DEP_2)
	s_mul_i32 s15, s20, s5
	v_lshlrev_b32_e32 v7, 4, v6
	s_delay_alu instid0(VALU_DEP_4) | instskip(NEXT) | instid1(VALU_DEP_1)
	v_sub_nc_u32_e32 v4, v3, v4
	v_lshlrev_b32_e32 v14, 2, v4
	s_delay_alu instid0(VALU_DEP_1) | instskip(SKIP_1) | instid1(VALU_DEP_2)
	v_add_nc_u32_e32 v4, 4, v14
	v_sub_nc_u32_e32 v5, s4, v14
	v_cmp_lt_i32_e32 vcc_lo, s4, v4
	s_delay_alu instid0(VALU_DEP_2) | instskip(SKIP_1) | instid1(VALU_DEP_2)
	v_cndmask_b32_e32 v15, 4, v5, vcc_lo
	v_lshlrev_b32_e32 v5, 10, v3
	v_cmp_lt_i32_e32 vcc_lo, 0, v15
	s_and_saveexec_b32 s4, vcc_lo
	s_cbranch_execz .LBB112_4
; %bb.2:
	s_add_i32 s2, s18, s17
	s_lshl_b32 s5, s14, 2
	s_add_i32 s2, s2, s16
	s_mov_b32 s6, 0
	s_sub_i32 s2, s2, s5
	s_mov_b32 s5, 0
	v_mul_lo_u32 v3, s2, v1
	s_add_i32 s2, s15, 0
	s_delay_alu instid0(SALU_CYCLE_1) | instskip(NEXT) | instid1(VALU_DEP_2)
	v_add3_u32 v8, s2, v12, v7
	v_lshl_add_u32 v3, v3, 8, v5
	s_delay_alu instid0(VALU_DEP_1)
	v_lshl_or_b32 v3, v6, 3, v3
	.p2align	6
.LBB112_3:                              ; =>This Inner Loop Header: Depth=1
	s_delay_alu instid0(VALU_DEP_1) | instskip(SKIP_1) | instid1(VALU_DEP_1)
	v_ashrrev_i32_e32 v4, 31, v3
	s_add_i32 s6, s6, 1
	v_lshlrev_b64 v[9:10], 1, v[3:4]
	v_add_nc_u32_e32 v3, 0x100, v3
	s_waitcnt lgkmcnt(0)
	s_delay_alu instid0(VALU_DEP_2) | instskip(NEXT) | instid1(VALU_DEP_1)
	v_add_co_u32 v9, s2, s12, v9
	v_add_co_ci_u32_e64 v10, s2, s13, v10, s2
	v_cmp_ge_i32_e64 s2, s6, v15
	global_load_b128 v[16:19], v[9:10], off
	s_or_b32 s5, s2, s5
	s_waitcnt vmcnt(0)
	ds_store_b128 v8, v[16:19]
	v_add_nc_u32_e32 v8, 0x200, v8
	s_and_not1_b32 exec_lo, exec_lo, s5
	s_cbranch_execnz .LBB112_3
.LBB112_4:
	s_or_b32 exec_lo, exec_lo, s4
	s_load_b256 s[4:11], s[0:1], 0x18
	v_mul_lo_u32 v2, v2, s3
	s_add_i32 s0, s20, 15
	s_mov_b32 s20, exec_lo
	s_ashr_i32 s1, s0, 31
	s_delay_alu instid0(SALU_CYCLE_1) | instskip(NEXT) | instid1(SALU_CYCLE_1)
	s_lshr_b32 s1, s1, 28
	s_add_i32 s0, s0, s1
	s_delay_alu instid0(VALU_DEP_1) | instskip(SKIP_1) | instid1(SALU_CYCLE_1)
	v_lshlrev_b32_e32 v4, 1, v2
	s_ashr_i32 s2, s0, 4
	v_cmpx_gt_i32_e64 s2, v6
	s_cbranch_execz .LBB112_7
; %bb.5:
	v_ashrrev_i32_e32 v2, 31, v1
	v_and_b32_e32 v0, 31, v0
	s_delay_alu instid0(VALU_DEP_2) | instskip(NEXT) | instid1(VALU_DEP_2)
	v_lshlrev_b64 v[2:3], 3, v[1:2]
	v_lshlrev_b32_e32 v0, 4, v0
	s_waitcnt lgkmcnt(0)
	s_delay_alu instid0(VALU_DEP_2) | instskip(NEXT) | instid1(VALU_DEP_1)
	v_add_co_u32 v2, s0, s10, v2
	v_add_co_ci_u32_e64 v3, s0, s11, v3, s0
	s_ashr_i32 s0, s3, 31
	global_load_b64 v[2:3], v[2:3], off
	s_waitcnt vmcnt(0)
	v_mul_lo_u32 v3, v3, s3
	v_mul_lo_u32 v10, v2, s0
	v_mad_u64_u32 v[8:9], null, v2, s3, 0
	s_delay_alu instid0(VALU_DEP_1) | instskip(NEXT) | instid1(VALU_DEP_1)
	v_add3_u32 v9, v9, v10, v3
	v_lshlrev_b64 v[2:3], 1, v[8:9]
	v_mov_b32_e32 v8, v6
	s_delay_alu instid0(VALU_DEP_2) | instskip(NEXT) | instid1(VALU_DEP_1)
	v_add_co_u32 v2, s0, v2, v0
	v_add_co_ci_u32_e64 v3, s0, 0, v3, s0
	v_add3_u32 v0, v4, v7, 0
	s_delay_alu instid0(VALU_DEP_3) | instskip(NEXT) | instid1(VALU_DEP_1)
	v_add_co_u32 v2, s0, s8, v2
	v_add_co_ci_u32_e64 v3, s0, s9, v3, s0
	s_mov_b32 s8, 0
	.p2align	6
.LBB112_6:                              ; =>This Inner Loop Header: Depth=1
	global_load_b128 v[16:19], v[2:3], off
	v_add_nc_u32_e32 v8, 32, v8
	v_add_co_u32 v2, s0, 0x200, v2
	s_delay_alu instid0(VALU_DEP_1) | instskip(NEXT) | instid1(VALU_DEP_3)
	v_add_co_ci_u32_e64 v3, s0, 0, v3, s0
	v_cmp_le_i32_e64 s1, s2, v8
	s_delay_alu instid0(VALU_DEP_1)
	s_or_b32 s8, s1, s8
	s_waitcnt vmcnt(0)
	ds_store_b128 v0, v[16:19]
	v_add_nc_u32_e32 v0, 0x200, v0
	s_and_not1_b32 exec_lo, exec_lo, s8
	s_cbranch_execnz .LBB112_6
.LBB112_7:
	s_or_b32 exec_lo, exec_lo, s20
	s_delay_alu instid0(SALU_CYCLE_1)
	s_and_b32 exec_lo, exec_lo, vcc_lo
	s_cbranch_execz .LBB112_44
; %bb.8:
	s_waitcnt lgkmcnt(0)
	s_clause 0x5
	global_load_b32 v16, v7, s[6:7] offset:2
	global_load_b64 v[8:9], v7, s[4:5] offset:8
	global_load_u16 v17, v7, s[4:5]
	global_load_u16 v18, v7, s[6:7]
	global_load_b32 v19, v7, s[4:5] offset:2
	global_load_b64 v[10:11], v7, s[6:7] offset:8
	v_mbcnt_lo_u32_b32 v2, -1, 0
	s_lshr_b32 s0, s3, 31
	s_ashr_i32 s1, s3, 31
	s_add_i32 s0, s3, s0
	s_lshr_b32 s1, s1, 29
	v_add_nc_u32_e32 v3, s15, v12
	v_xor_b32_e32 v12, 16, v2
	v_xor_b32_e32 v13, 8, v2
	v_lshlrev_b32_e32 v0, 3, v6
	v_xor_b32_e32 v22, 4, v2
	v_add3_u32 v21, v3, v7, 0
	v_xor_b32_e32 v23, 2, v2
	s_add_i32 s2, s18, s17
	v_add3_u32 v20, 0, v4, v0
	s_add_i32 s2, s2, s16
	v_xor_b32_e32 v24, 1, v2
	s_clause 0x1
	global_load_d16_hi_b16 v17, v7, s[4:5] offset:6
	global_load_d16_hi_b16 v18, v7, s[6:7] offset:6
	s_and_b32 s5, s0, -2
	s_add_i32 s0, s3, s1
	s_lshl_b32 s4, s14, 2
	s_ashr_i32 s0, s0, 3
	s_sub_i32 s1, s2, s4
	v_cmp_le_i32_e32 vcc_lo, s0, v6
	v_cmp_gt_i32_e64 s0, 32, v12
	v_mul_lo_u32 v1, s1, v1
	s_waitcnt vmcnt(3)
	v_lshrrev_b32_e32 v28, 16, v19
	v_lshrrev_b32_e32 v29, 16, v16
	;; [unrolled: 1-line block ×3, first 2 shown]
	v_cndmask_b32_e64 v3, v2, v12, s0
	v_cmp_gt_i32_e64 s0, 32, v13
	s_waitcnt vmcnt(2)
	v_lshrrev_b32_e32 v31, 16, v10
	v_lshrrev_b32_e32 v32, 16, v9
	v_lshl_add_u32 v1, v1, 8, v5
	v_lshrrev_b32_e32 v35, 16, v11
	v_cndmask_b32_e64 v4, v2, v13, s0
	v_cmp_gt_i32_e64 s0, 32, v22
	s_mov_b32 s2, 0
	v_or_b32_e32 v12, v1, v0
	s_mov_b32 s3, 0
	s_delay_alu instid0(VALU_DEP_2) | instskip(SKIP_2) | instid1(VALU_DEP_3)
	v_cndmask_b32_e64 v6, v2, v22, s0
	v_cmp_gt_i32_e64 s0, 32, v23
	v_add_nc_u32_e32 v22, s5, v20
	v_lshlrev_b32_e32 v25, 2, v6
	s_delay_alu instid0(VALU_DEP_3) | instskip(SKIP_2) | instid1(VALU_DEP_3)
	v_cndmask_b32_e64 v7, v2, v23, s0
	v_cmp_gt_i32_e64 s0, 32, v24
	v_lshlrev_b32_e32 v23, 2, v3
	v_lshlrev_b32_e32 v26, 2, v7
	s_delay_alu instid0(VALU_DEP_3) | instskip(SKIP_1) | instid1(VALU_DEP_2)
	v_cndmask_b32_e64 v2, v2, v24, s0
	v_lshlrev_b32_e32 v24, 2, v4
	v_lshlrev_b32_e32 v27, 2, v2
	s_waitcnt vmcnt(1)
	v_lshrrev_b32_e32 v33, 16, v17
	s_waitcnt vmcnt(0)
	v_lshrrev_b32_e32 v34, 16, v18
	s_branch .LBB112_10
.LBB112_9:                              ;   in Loop: Header=BB112_10 Depth=1
	s_or_b32 exec_lo, exec_lo, s1
	v_ashrrev_i32_e32 v13, 31, v12
	s_delay_alu instid0(VALU_DEP_2)
	v_perm_b32 v5, v6, v5, 0x7060302
	s_add_i32 s3, s3, 1
	v_perm_b32 v4, v4, v3, 0x7060302
	v_perm_b32 v3, v2, v1, 0x7060302
	v_lshlrev_b64 v[6:7], 1, v[12:13]
	v_perm_b32 v2, v0, v39, 0x7060302
	v_cmp_ge_i32_e64 s0, s3, v15
	v_add_nc_u32_e32 v12, 0x100, v12
	v_add_nc_u32_e32 v21, 0x200, v21
	v_add_co_u32 v0, s1, s12, v6
	s_delay_alu instid0(VALU_DEP_1)
	v_add_co_ci_u32_e64 v1, s1, s13, v7, s1
	s_or_b32 s2, s0, s2
	global_store_b128 v[0:1], v[2:5], off
	s_and_not1_b32 exec_lo, exec_lo, s2
	s_cbranch_execz .LBB112_44
.LBB112_10:                             ; =>This Inner Loop Header: Depth=1
	ds_load_b128 v[0:3], v21
	v_add_nc_u32_e32 v37, s3, v14
	s_delay_alu instid0(VALU_DEP_1) | instskip(NEXT) | instid1(VALU_DEP_1)
	v_cmp_gt_i32_e64 s1, s16, v37
	v_cndmask_b32_e64 v38, v34, v33, s1
	v_cndmask_b32_e64 v39, v18, v17, s1
	;; [unrolled: 1-line block ×6, first 2 shown]
	v_lshlrev_b32_e32 v39, 16, v39
	v_lshlrev_b32_e32 v38, 16, v38
	;; [unrolled: 1-line block ×3, first 2 shown]
	s_waitcnt lgkmcnt(0)
	v_lshlrev_b32_e32 v6, 16, v1
	v_and_b32_e32 v4, 0xffff0000, v0
	v_and_b32_e32 v1, 0xffff0000, v1
	v_lshlrev_b32_e32 v0, 16, v0
	v_lshlrev_b32_e32 v7, 16, v2
	s_delay_alu instid0(VALU_DEP_4) | instskip(SKIP_3) | instid1(VALU_DEP_4)
	v_dual_mul_f32 v5, v4, v4 :: v_dual_and_b32 v2, 0xffff0000, v2
	v_cndmask_b32_e64 v44, v11, v9, s1
	v_lshlrev_b32_e32 v37, 16, v37
	v_lshlrev_b32_e32 v40, 16, v40
	v_dual_fmac_f32 v5, v0, v0 :: v_dual_lshlrev_b32 v42, 16, v42
	s_delay_alu instid0(VALU_DEP_1) | instskip(NEXT) | instid1(VALU_DEP_1)
	v_fmac_f32_e32 v5, v6, v6
	v_fmac_f32_e32 v5, v1, v1
	s_delay_alu instid0(VALU_DEP_1) | instskip(SKIP_2) | instid1(VALU_DEP_3)
	v_fmac_f32_e32 v5, v7, v7
	v_lshlrev_b32_e32 v36, 16, v3
	v_and_b32_e32 v3, 0xffff0000, v3
	v_fmac_f32_e32 v5, v2, v2
	s_delay_alu instid0(VALU_DEP_1) | instskip(NEXT) | instid1(VALU_DEP_1)
	v_fmac_f32_e32 v5, v36, v36
	v_fmac_f32_e32 v5, v3, v3
	ds_bpermute_b32 v13, v23, v5
	s_waitcnt lgkmcnt(0)
	v_add_f32_e32 v5, v5, v13
	ds_bpermute_b32 v13, v24, v5
	s_waitcnt lgkmcnt(0)
	v_add_f32_e32 v5, v5, v13
	;; [unrolled: 3-line block ×5, first 2 shown]
	s_delay_alu instid0(VALU_DEP_1) | instskip(NEXT) | instid1(VALU_DEP_1)
	v_fma_f32 v5, 0x3b800000, v5, s19
	v_mul_f32_e32 v13, 0x4b800000, v5
	v_cmp_gt_f32_e64 s0, 0x800000, v5
	s_delay_alu instid0(VALU_DEP_1) | instskip(SKIP_1) | instid1(VALU_DEP_2)
	v_cndmask_b32_e64 v5, v5, v13, s0
	v_cndmask_b32_e64 v13, v29, v28, s1
	v_rsq_f32_e32 v5, v5
	s_delay_alu instid0(VALU_DEP_1) | instskip(SKIP_2) | instid1(VALU_DEP_1)
	v_lshlrev_b32_e32 v13, 16, v13
	s_waitcnt_depctr 0xfff
	v_mul_f32_e32 v43, 0x45800000, v5
	v_cndmask_b32_e64 v5, v5, v43, s0
	v_lshlrev_b32_e32 v43, 16, v44
	s_delay_alu instid0(VALU_DEP_2)
	v_mul_f32_e32 v39, v5, v39
	v_mul_f32_e32 v38, v5, v38
	;; [unrolled: 1-line block ×7, first 2 shown]
	v_dual_mul_f32 v5, v5, v42 :: v_dual_mul_f32 v40, v38, v1
	v_dual_mul_f32 v0, v39, v0 :: v_dual_mul_f32 v41, v13, v6
	s_delay_alu instid0(VALU_DEP_3) | instskip(SKIP_4) | instid1(SALU_CYCLE_1)
	v_mul_f32_e32 v36, v43, v36
	v_mul_f32_e32 v42, v37, v4
	v_dual_mul_f32 v37, v45, v2 :: v_dual_mul_f32 v38, v44, v7
	v_mul_f32_e32 v13, v5, v3
	s_and_saveexec_b32 s0, vcc_lo
	s_xor_b32 s0, exec_lo, s0
	s_delay_alu instid0(SALU_CYCLE_1)
	s_and_not1_saveexec_b32 s0, s0
	s_cbranch_execz .LBB112_12
; %bb.11:                               ;   in Loop: Header=BB112_10 Depth=1
	ds_load_b64 v[2:3], v20
	ds_load_b64 v[4:5], v22
	s_waitcnt lgkmcnt(1)
	v_cvt_f32_f16_e32 v6, v2
	s_waitcnt lgkmcnt(0)
	v_lshrrev_b32_e32 v7, 16, v4
	v_cvt_f32_f16_e32 v39, v4
	v_lshrrev_b32_e32 v43, 16, v5
	v_cvt_f32_f16_e32 v44, v5
	v_cvt_f32_f16_e32 v45, v3
	v_lshrrev_b32_e32 v1, 16, v3
	v_cvt_f32_f16_e32 v7, v7
	v_mul_f32_e32 v39, v42, v39
	v_mul_f32_e32 v6, v42, v6
	v_mul_f32_e32 v42, v37, v44
	v_mul_f32_e32 v37, v37, v45
	v_cvt_f32_f16_e32 v43, v43
	v_cvt_f32_f16_e32 v44, v1
	v_fma_mix_f32 v1, v0, v2, -v39 op_sel_hi:[0,1,0]
	v_mul_f32_e32 v39, v40, v7
	v_fma_mix_f32 v45, v38, v3, -v42 op_sel_hi:[0,1,0]
	v_fma_mix_f32 v37, v38, v5, v37 op_sel_hi:[0,1,0]
	v_mul_f32_e32 v38, v13, v43
	v_mul_f32_e32 v7, v41, v7
	v_mul_f32_e32 v13, v13, v44
	v_fma_mix_f32 v41, v41, v2, -v39 op_sel:[0,1,0] op_sel_hi:[0,1,0]
	v_fma_mix_f32 v42, v0, v4, v6 op_sel_hi:[0,1,0]
	v_fma_mix_f32 v39, v36, v3, -v38 op_sel:[0,1,0] op_sel_hi:[0,1,0]
	v_mov_b32_e32 v38, v45
	v_fma_mix_f32 v13, v36, v5, v13 op_sel:[0,1,0] op_sel_hi:[0,1,0]
	s_delay_alu instid0(VALU_DEP_3)
	v_mov_b32_e32 v36, v39
	v_fma_mix_f32 v40, v40, v2, v7 op_sel:[0,1,0] op_sel_hi:[0,1,0]
	v_mov_b32_e32 v0, v1
	v_mov_b32_e32 v1, v2
	;; [unrolled: 1-line block ×8, first 2 shown]
.LBB112_12:                             ;   in Loop: Header=BB112_10 Depth=1
	s_or_b32 exec_lo, exec_lo, s0
	v_and_b32_e32 v1, 0x7f800000, v0
                                        ; implicit-def: $vgpr39
	s_delay_alu instid0(VALU_DEP_1) | instskip(NEXT) | instid1(VALU_DEP_1)
	v_cmp_ne_u32_e64 s0, 0x7f800000, v1
	s_and_saveexec_b32 s1, s0
	s_delay_alu instid0(SALU_CYCLE_1)
	s_xor_b32 s0, exec_lo, s1
; %bb.13:                               ;   in Loop: Header=BB112_10 Depth=1
	v_bfe_u32 v1, v0, 16, 1
	s_delay_alu instid0(VALU_DEP_1)
	v_add3_u32 v39, v0, v1, 0x7fff
                                        ; implicit-def: $vgpr0_vgpr1_vgpr2_vgpr3_vgpr4_vgpr5_vgpr6_vgpr7
; %bb.14:                               ;   in Loop: Header=BB112_10 Depth=1
	s_and_not1_saveexec_b32 s1, s0
; %bb.15:                               ;   in Loop: Header=BB112_10 Depth=1
	v_and_b32_e32 v1, 0xffff, v0
	v_or_b32_e32 v2, 0x10000, v0
	s_delay_alu instid0(VALU_DEP_2) | instskip(NEXT) | instid1(VALU_DEP_1)
	v_cmp_eq_u32_e64 s0, 0, v1
	v_cndmask_b32_e64 v39, v2, v0, s0
; %bb.16:                               ;   in Loop: Header=BB112_10 Depth=1
	s_or_b32 exec_lo, exec_lo, s1
	v_and_b32_e32 v0, 0x7f800000, v42
	s_delay_alu instid0(VALU_DEP_1) | instskip(NEXT) | instid1(VALU_DEP_1)
	v_cmp_ne_u32_e64 s0, 0x7f800000, v0
                                        ; implicit-def: $vgpr0
	s_and_saveexec_b32 s1, s0
	s_delay_alu instid0(SALU_CYCLE_1)
	s_xor_b32 s0, exec_lo, s1
; %bb.17:                               ;   in Loop: Header=BB112_10 Depth=1
	v_bfe_u32 v0, v42, 16, 1
	s_delay_alu instid0(VALU_DEP_1)
	v_add3_u32 v0, v42, v0, 0x7fff
                                        ; implicit-def: $vgpr42
; %bb.18:                               ;   in Loop: Header=BB112_10 Depth=1
	s_and_not1_saveexec_b32 s1, s0
; %bb.19:                               ;   in Loop: Header=BB112_10 Depth=1
	v_and_b32_e32 v0, 0xffff, v42
	v_or_b32_e32 v1, 0x10000, v42
	s_delay_alu instid0(VALU_DEP_2) | instskip(NEXT) | instid1(VALU_DEP_1)
	v_cmp_eq_u32_e64 s0, 0, v0
	v_cndmask_b32_e64 v0, v1, v42, s0
; %bb.20:                               ;   in Loop: Header=BB112_10 Depth=1
	s_or_b32 exec_lo, exec_lo, s1
	v_and_b32_e32 v1, 0x7f800000, v41
	s_delay_alu instid0(VALU_DEP_1) | instskip(NEXT) | instid1(VALU_DEP_1)
	v_cmp_ne_u32_e64 s0, 0x7f800000, v1
                                        ; implicit-def: $vgpr1
	s_and_saveexec_b32 s1, s0
	s_delay_alu instid0(SALU_CYCLE_1)
	s_xor_b32 s0, exec_lo, s1
; %bb.21:                               ;   in Loop: Header=BB112_10 Depth=1
	v_bfe_u32 v1, v41, 16, 1
	s_delay_alu instid0(VALU_DEP_1)
	v_add3_u32 v1, v41, v1, 0x7fff
                                        ; implicit-def: $vgpr41
; %bb.22:                               ;   in Loop: Header=BB112_10 Depth=1
	s_and_not1_saveexec_b32 s1, s0
; %bb.23:                               ;   in Loop: Header=BB112_10 Depth=1
	v_and_b32_e32 v1, 0xffff, v41
	v_or_b32_e32 v2, 0x10000, v41
	s_delay_alu instid0(VALU_DEP_2) | instskip(NEXT) | instid1(VALU_DEP_1)
	v_cmp_eq_u32_e64 s0, 0, v1
	v_cndmask_b32_e64 v1, v2, v41, s0
; %bb.24:                               ;   in Loop: Header=BB112_10 Depth=1
	s_or_b32 exec_lo, exec_lo, s1
	v_and_b32_e32 v2, 0x7f800000, v40
	s_delay_alu instid0(VALU_DEP_1) | instskip(NEXT) | instid1(VALU_DEP_1)
	v_cmp_ne_u32_e64 s0, 0x7f800000, v2
                                        ; implicit-def: $vgpr2
	s_and_saveexec_b32 s1, s0
	s_delay_alu instid0(SALU_CYCLE_1)
	s_xor_b32 s0, exec_lo, s1
; %bb.25:                               ;   in Loop: Header=BB112_10 Depth=1
	v_bfe_u32 v2, v40, 16, 1
	s_delay_alu instid0(VALU_DEP_1)
	v_add3_u32 v2, v40, v2, 0x7fff
                                        ; implicit-def: $vgpr40
; %bb.26:                               ;   in Loop: Header=BB112_10 Depth=1
	s_and_not1_saveexec_b32 s1, s0
; %bb.27:                               ;   in Loop: Header=BB112_10 Depth=1
	v_and_b32_e32 v2, 0xffff, v40
	v_or_b32_e32 v3, 0x10000, v40
	s_delay_alu instid0(VALU_DEP_2) | instskip(NEXT) | instid1(VALU_DEP_1)
	v_cmp_eq_u32_e64 s0, 0, v2
	v_cndmask_b32_e64 v2, v3, v40, s0
; %bb.28:                               ;   in Loop: Header=BB112_10 Depth=1
	s_or_b32 exec_lo, exec_lo, s1
	v_and_b32_e32 v3, 0x7f800000, v38
	s_delay_alu instid0(VALU_DEP_1) | instskip(NEXT) | instid1(VALU_DEP_1)
	v_cmp_ne_u32_e64 s0, 0x7f800000, v3
                                        ; implicit-def: $vgpr3
	s_and_saveexec_b32 s1, s0
	s_delay_alu instid0(SALU_CYCLE_1)
	s_xor_b32 s0, exec_lo, s1
; %bb.29:                               ;   in Loop: Header=BB112_10 Depth=1
	v_bfe_u32 v3, v38, 16, 1
	s_delay_alu instid0(VALU_DEP_1)
	v_add3_u32 v3, v38, v3, 0x7fff
                                        ; implicit-def: $vgpr38
; %bb.30:                               ;   in Loop: Header=BB112_10 Depth=1
	s_and_not1_saveexec_b32 s1, s0
; %bb.31:                               ;   in Loop: Header=BB112_10 Depth=1
	v_and_b32_e32 v3, 0xffff, v38
	v_or_b32_e32 v4, 0x10000, v38
	s_delay_alu instid0(VALU_DEP_2) | instskip(NEXT) | instid1(VALU_DEP_1)
	v_cmp_eq_u32_e64 s0, 0, v3
	v_cndmask_b32_e64 v3, v4, v38, s0
; %bb.32:                               ;   in Loop: Header=BB112_10 Depth=1
	s_or_b32 exec_lo, exec_lo, s1
	v_and_b32_e32 v4, 0x7f800000, v37
	s_delay_alu instid0(VALU_DEP_1) | instskip(NEXT) | instid1(VALU_DEP_1)
	v_cmp_ne_u32_e64 s0, 0x7f800000, v4
                                        ; implicit-def: $vgpr4
	s_and_saveexec_b32 s1, s0
	s_delay_alu instid0(SALU_CYCLE_1)
	s_xor_b32 s0, exec_lo, s1
; %bb.33:                               ;   in Loop: Header=BB112_10 Depth=1
	v_bfe_u32 v4, v37, 16, 1
	s_delay_alu instid0(VALU_DEP_1)
	v_add3_u32 v4, v37, v4, 0x7fff
                                        ; implicit-def: $vgpr37
; %bb.34:                               ;   in Loop: Header=BB112_10 Depth=1
	s_and_not1_saveexec_b32 s1, s0
; %bb.35:                               ;   in Loop: Header=BB112_10 Depth=1
	v_and_b32_e32 v4, 0xffff, v37
	v_or_b32_e32 v5, 0x10000, v37
	s_delay_alu instid0(VALU_DEP_2) | instskip(NEXT) | instid1(VALU_DEP_1)
	v_cmp_eq_u32_e64 s0, 0, v4
	v_cndmask_b32_e64 v4, v5, v37, s0
; %bb.36:                               ;   in Loop: Header=BB112_10 Depth=1
	s_or_b32 exec_lo, exec_lo, s1
	v_and_b32_e32 v5, 0x7f800000, v36
	s_delay_alu instid0(VALU_DEP_1) | instskip(NEXT) | instid1(VALU_DEP_1)
	v_cmp_ne_u32_e64 s0, 0x7f800000, v5
                                        ; implicit-def: $vgpr5
	s_and_saveexec_b32 s1, s0
	s_delay_alu instid0(SALU_CYCLE_1)
	s_xor_b32 s0, exec_lo, s1
; %bb.37:                               ;   in Loop: Header=BB112_10 Depth=1
	v_bfe_u32 v5, v36, 16, 1
	s_delay_alu instid0(VALU_DEP_1)
	v_add3_u32 v5, v36, v5, 0x7fff
                                        ; implicit-def: $vgpr36
; %bb.38:                               ;   in Loop: Header=BB112_10 Depth=1
	s_and_not1_saveexec_b32 s1, s0
; %bb.39:                               ;   in Loop: Header=BB112_10 Depth=1
	v_and_b32_e32 v5, 0xffff, v36
	v_or_b32_e32 v6, 0x10000, v36
	s_delay_alu instid0(VALU_DEP_2) | instskip(NEXT) | instid1(VALU_DEP_1)
	v_cmp_eq_u32_e64 s0, 0, v5
	v_cndmask_b32_e64 v5, v6, v36, s0
; %bb.40:                               ;   in Loop: Header=BB112_10 Depth=1
	s_or_b32 exec_lo, exec_lo, s1
	v_and_b32_e32 v6, 0x7f800000, v13
	s_delay_alu instid0(VALU_DEP_1) | instskip(NEXT) | instid1(VALU_DEP_1)
	v_cmp_ne_u32_e64 s0, 0x7f800000, v6
                                        ; implicit-def: $vgpr6
	s_and_saveexec_b32 s1, s0
	s_delay_alu instid0(SALU_CYCLE_1)
	s_xor_b32 s0, exec_lo, s1
; %bb.41:                               ;   in Loop: Header=BB112_10 Depth=1
	v_bfe_u32 v6, v13, 16, 1
	s_delay_alu instid0(VALU_DEP_1)
	v_add3_u32 v6, v13, v6, 0x7fff
                                        ; implicit-def: $vgpr13
; %bb.42:                               ;   in Loop: Header=BB112_10 Depth=1
	s_and_not1_saveexec_b32 s1, s0
	s_cbranch_execz .LBB112_9
; %bb.43:                               ;   in Loop: Header=BB112_10 Depth=1
	v_and_b32_e32 v6, 0xffff, v13
	v_or_b32_e32 v7, 0x10000, v13
	s_delay_alu instid0(VALU_DEP_2) | instskip(NEXT) | instid1(VALU_DEP_1)
	v_cmp_eq_u32_e64 s0, 0, v6
	v_cndmask_b32_e64 v6, v7, v13, s0
	s_branch .LBB112_9
.LBB112_44:
	s_nop 0
	s_sendmsg sendmsg(MSG_DEALLOC_VGPRS)
	s_endpgm
	.section	.rodata,"a",@progbits
	.p2align	6, 0x0
	.amdhsa_kernel _ZN12tensorrt_llm7kernels32fusedQKNormRopeKernelNTokenHeadsIN3c108BFloat16ENS2_4HalfELi256ELb1ELi4EEEvPviiifPKvS7_S7_PKlii
		.amdhsa_group_segment_fixed_size 0
		.amdhsa_private_segment_fixed_size 0
		.amdhsa_kernarg_size 320
		.amdhsa_user_sgpr_count 15
		.amdhsa_user_sgpr_dispatch_ptr 0
		.amdhsa_user_sgpr_queue_ptr 0
		.amdhsa_user_sgpr_kernarg_segment_ptr 1
		.amdhsa_user_sgpr_dispatch_id 0
		.amdhsa_user_sgpr_private_segment_size 0
		.amdhsa_wavefront_size32 1
		.amdhsa_uses_dynamic_stack 0
		.amdhsa_enable_private_segment 0
		.amdhsa_system_sgpr_workgroup_id_x 1
		.amdhsa_system_sgpr_workgroup_id_y 0
		.amdhsa_system_sgpr_workgroup_id_z 0
		.amdhsa_system_sgpr_workgroup_info 0
		.amdhsa_system_vgpr_workitem_id 0
		.amdhsa_next_free_vgpr 46
		.amdhsa_next_free_sgpr 21
		.amdhsa_reserve_vcc 1
		.amdhsa_float_round_mode_32 0
		.amdhsa_float_round_mode_16_64 0
		.amdhsa_float_denorm_mode_32 3
		.amdhsa_float_denorm_mode_16_64 3
		.amdhsa_dx10_clamp 1
		.amdhsa_ieee_mode 1
		.amdhsa_fp16_overflow 0
		.amdhsa_workgroup_processor_mode 1
		.amdhsa_memory_ordered 1
		.amdhsa_forward_progress 0
		.amdhsa_shared_vgpr_count 0
		.amdhsa_exception_fp_ieee_invalid_op 0
		.amdhsa_exception_fp_denorm_src 0
		.amdhsa_exception_fp_ieee_div_zero 0
		.amdhsa_exception_fp_ieee_overflow 0
		.amdhsa_exception_fp_ieee_underflow 0
		.amdhsa_exception_fp_ieee_inexact 0
		.amdhsa_exception_int_div_zero 0
	.end_amdhsa_kernel
	.section	.text._ZN12tensorrt_llm7kernels32fusedQKNormRopeKernelNTokenHeadsIN3c108BFloat16ENS2_4HalfELi256ELb1ELi4EEEvPviiifPKvS7_S7_PKlii,"axG",@progbits,_ZN12tensorrt_llm7kernels32fusedQKNormRopeKernelNTokenHeadsIN3c108BFloat16ENS2_4HalfELi256ELb1ELi4EEEvPviiifPKvS7_S7_PKlii,comdat
.Lfunc_end112:
	.size	_ZN12tensorrt_llm7kernels32fusedQKNormRopeKernelNTokenHeadsIN3c108BFloat16ENS2_4HalfELi256ELb1ELi4EEEvPviiifPKvS7_S7_PKlii, .Lfunc_end112-_ZN12tensorrt_llm7kernels32fusedQKNormRopeKernelNTokenHeadsIN3c108BFloat16ENS2_4HalfELi256ELb1ELi4EEEvPviiifPKvS7_S7_PKlii
                                        ; -- End function
	.section	.AMDGPU.csdata,"",@progbits
; Kernel info:
; codeLenInByte = 2892
; NumSgprs: 23
; NumVgprs: 46
; ScratchSize: 0
; MemoryBound: 0
; FloatMode: 240
; IeeeMode: 1
; LDSByteSize: 0 bytes/workgroup (compile time only)
; SGPRBlocks: 2
; VGPRBlocks: 5
; NumSGPRsForWavesPerEU: 23
; NumVGPRsForWavesPerEU: 46
; Occupancy: 16
; WaveLimiterHint : 0
; COMPUTE_PGM_RSRC2:SCRATCH_EN: 0
; COMPUTE_PGM_RSRC2:USER_SGPR: 15
; COMPUTE_PGM_RSRC2:TRAP_HANDLER: 0
; COMPUTE_PGM_RSRC2:TGID_X_EN: 1
; COMPUTE_PGM_RSRC2:TGID_Y_EN: 0
; COMPUTE_PGM_RSRC2:TGID_Z_EN: 0
; COMPUTE_PGM_RSRC2:TIDIG_COMP_CNT: 0
	.section	.text._ZN12tensorrt_llm7kernels32fusedQKNormRopeKernelNTokenHeadsIN3c108BFloat16ENS2_4HalfELi256ELb0ELi4EEEvPviiifPKvS7_S7_PKlii,"axG",@progbits,_ZN12tensorrt_llm7kernels32fusedQKNormRopeKernelNTokenHeadsIN3c108BFloat16ENS2_4HalfELi256ELb0ELi4EEEvPviiifPKvS7_S7_PKlii,comdat
	.protected	_ZN12tensorrt_llm7kernels32fusedQKNormRopeKernelNTokenHeadsIN3c108BFloat16ENS2_4HalfELi256ELb0ELi4EEEvPviiifPKvS7_S7_PKlii ; -- Begin function _ZN12tensorrt_llm7kernels32fusedQKNormRopeKernelNTokenHeadsIN3c108BFloat16ENS2_4HalfELi256ELb0ELi4EEEvPviiifPKvS7_S7_PKlii
	.globl	_ZN12tensorrt_llm7kernels32fusedQKNormRopeKernelNTokenHeadsIN3c108BFloat16ENS2_4HalfELi256ELb0ELi4EEEvPviiifPKvS7_S7_PKlii
	.p2align	8
	.type	_ZN12tensorrt_llm7kernels32fusedQKNormRopeKernelNTokenHeadsIN3c108BFloat16ENS2_4HalfELi256ELb0ELi4EEEvPviiifPKvS7_S7_PKlii,@function
_ZN12tensorrt_llm7kernels32fusedQKNormRopeKernelNTokenHeadsIN3c108BFloat16ENS2_4HalfELi256ELb0ELi4EEEvPviiifPKvS7_S7_PKlii: ; @_ZN12tensorrt_llm7kernels32fusedQKNormRopeKernelNTokenHeadsIN3c108BFloat16ENS2_4HalfELi256ELb0ELi4EEEvPviiifPKvS7_S7_PKlii
; %bb.0:
	s_clause 0x1
	s_load_b128 s[16:19], s[0:1], 0x8
	s_load_b64 s[2:3], s[0:1], 0x38
	v_lshrrev_b32_e32 v2, 5, v0
	s_waitcnt lgkmcnt(0)
	s_add_i32 s4, s17, s16
	s_delay_alu instid0(SALU_CYCLE_1) | instskip(NEXT) | instid1(SALU_CYCLE_1)
	s_add_i32 s5, s4, 3
	s_ashr_i32 s6, s5, 31
	s_delay_alu instid0(SALU_CYCLE_1) | instskip(NEXT) | instid1(SALU_CYCLE_1)
	s_lshr_b32 s6, s6, 30
	s_add_i32 s5, s5, s6
	s_delay_alu instid0(SALU_CYCLE_1) | instskip(SKIP_2) | instid1(SALU_CYCLE_1)
	s_ashr_i32 s14, s5, 2
	s_load_b32 s5, s[0:1], 0x4c
	s_abs_i32 s6, s14
	v_cvt_f32_u32_e32 v1, s6
	s_sub_i32 s7, 0, s6
	s_delay_alu instid0(VALU_DEP_1) | instskip(SKIP_4) | instid1(SALU_CYCLE_1)
	v_rcp_iflag_f32_e32 v1, v1
	s_waitcnt_depctr 0xfff
	v_mul_f32_e32 v1, 0x4f7ffffe, v1
	s_waitcnt lgkmcnt(0)
	s_bfe_u32 s5, s5, 0xb0005
	v_mad_u64_u32 v[3:4], null, s15, s5, v[2:3]
	s_delay_alu instid0(VALU_DEP_2) | instskip(NEXT) | instid1(VALU_DEP_1)
	v_cvt_u32_f32_e32 v1, v1
	v_mul_lo_u32 v5, s7, v1
	s_delay_alu instid0(VALU_DEP_1) | instskip(NEXT) | instid1(VALU_DEP_4)
	v_mul_hi_u32 v4, v1, v5
	v_sub_nc_u32_e32 v5, 0, v3
	s_delay_alu instid0(VALU_DEP_1) | instskip(NEXT) | instid1(VALU_DEP_3)
	v_max_i32_e32 v5, v3, v5
	v_add_nc_u32_e32 v1, v1, v4
	s_delay_alu instid0(VALU_DEP_1) | instskip(NEXT) | instid1(VALU_DEP_1)
	v_mul_hi_u32 v1, v5, v1
	v_mul_lo_u32 v4, v1, s6
	s_delay_alu instid0(VALU_DEP_1) | instskip(SKIP_1) | instid1(VALU_DEP_2)
	v_sub_nc_u32_e32 v4, v5, v4
	v_add_nc_u32_e32 v5, 1, v1
	v_subrev_nc_u32_e32 v6, s6, v4
	v_cmp_le_u32_e32 vcc_lo, s6, v4
	s_delay_alu instid0(VALU_DEP_2) | instskip(SKIP_1) | instid1(VALU_DEP_2)
	v_dual_cndmask_b32 v4, v4, v6 :: v_dual_cndmask_b32 v1, v1, v5
	v_xor_b32_e32 v5, s14, v3
	v_cmp_le_u32_e32 vcc_lo, s6, v4
	s_delay_alu instid0(VALU_DEP_3) | instskip(NEXT) | instid1(VALU_DEP_3)
	v_add_nc_u32_e32 v6, 1, v1
	v_ashrrev_i32_e32 v5, 31, v5
	s_delay_alu instid0(VALU_DEP_2) | instskip(NEXT) | instid1(VALU_DEP_1)
	v_cndmask_b32_e32 v1, v1, v6, vcc_lo
	v_xor_b32_e32 v1, v1, v5
	s_delay_alu instid0(VALU_DEP_1) | instskip(NEXT) | instid1(VALU_DEP_1)
	v_sub_nc_u32_e32 v1, v1, v5
	v_cmp_gt_i32_e32 vcc_lo, s2, v1
	s_and_saveexec_b32 s2, vcc_lo
	s_cbranch_execz .LBB113_44
; %bb.1:
	v_mul_lo_u32 v4, v1, s14
	s_load_b64 s[12:13], s[0:1], 0x0
	v_and_b32_e32 v6, 31, v0
	v_lshlrev_b32_e32 v16, 11, v2
	v_lshlrev_b32_e32 v7, 10, v3
	s_lshl_b32 s20, s3, 1
	s_delay_alu instid0(SALU_CYCLE_1) | instskip(NEXT) | instid1(VALU_DEP_4)
	s_mul_i32 s15, s20, s5
	v_sub_nc_u32_e32 v4, v3, v4
	s_delay_alu instid0(VALU_DEP_1) | instskip(NEXT) | instid1(VALU_DEP_1)
	v_lshlrev_b32_e32 v18, 2, v4
	v_add_nc_u32_e32 v4, 4, v18
	v_sub_nc_u32_e32 v5, s4, v18
	s_delay_alu instid0(VALU_DEP_2) | instskip(NEXT) | instid1(VALU_DEP_2)
	v_cmp_lt_i32_e32 vcc_lo, s4, v4
	v_cndmask_b32_e32 v19, 4, v5, vcc_lo
	v_lshlrev_b32_e32 v5, 4, v6
	s_delay_alu instid0(VALU_DEP_2)
	v_cmp_lt_i32_e32 vcc_lo, 0, v19
	s_and_saveexec_b32 s4, vcc_lo
	s_cbranch_execz .LBB113_4
; %bb.2:
	s_add_i32 s2, s18, s17
	s_lshl_b32 s5, s14, 2
	s_add_i32 s2, s2, s16
	s_mov_b32 s6, 0
	s_sub_i32 s2, s2, s5
	s_mov_b32 s5, 0
	v_mul_lo_u32 v3, s2, v1
	s_add_i32 s2, s15, 0
	s_delay_alu instid0(SALU_CYCLE_1) | instskip(NEXT) | instid1(VALU_DEP_2)
	v_add3_u32 v8, s2, v16, v5
	v_lshl_add_u32 v3, v3, 8, v7
	s_delay_alu instid0(VALU_DEP_1)
	v_lshl_or_b32 v3, v6, 3, v3
	.p2align	6
.LBB113_3:                              ; =>This Inner Loop Header: Depth=1
	s_delay_alu instid0(VALU_DEP_1) | instskip(SKIP_1) | instid1(VALU_DEP_1)
	v_ashrrev_i32_e32 v4, 31, v3
	s_add_i32 s6, s6, 1
	v_lshlrev_b64 v[9:10], 1, v[3:4]
	v_add_nc_u32_e32 v3, 0x100, v3
	s_waitcnt lgkmcnt(0)
	s_delay_alu instid0(VALU_DEP_2) | instskip(NEXT) | instid1(VALU_DEP_1)
	v_add_co_u32 v9, s2, s12, v9
	v_add_co_ci_u32_e64 v10, s2, s13, v10, s2
	v_cmp_ge_i32_e64 s2, s6, v19
	global_load_b128 v[9:12], v[9:10], off
	s_or_b32 s5, s2, s5
	s_waitcnt vmcnt(0)
	ds_store_b128 v8, v[9:12]
	v_add_nc_u32_e32 v8, 0x200, v8
	s_and_not1_b32 exec_lo, exec_lo, s5
	s_cbranch_execnz .LBB113_3
.LBB113_4:
	s_or_b32 exec_lo, exec_lo, s4
	s_load_b256 s[4:11], s[0:1], 0x18
	s_add_i32 s0, s20, 15
	v_mul_lo_u32 v4, v2, s3
	s_ashr_i32 s1, s0, 31
	s_mov_b32 s20, exec_lo
	s_lshr_b32 s1, s1, 28
	s_delay_alu instid0(SALU_CYCLE_1) | instskip(NEXT) | instid1(SALU_CYCLE_1)
	s_add_i32 s0, s0, s1
	s_ashr_i32 s2, s0, 4
	s_delay_alu instid0(SALU_CYCLE_1)
	v_cmpx_gt_i32_e64 s2, v6
	s_cbranch_execz .LBB113_7
; %bb.5:
	v_ashrrev_i32_e32 v2, 31, v1
	v_and_b32_e32 v0, 31, v0
	s_delay_alu instid0(VALU_DEP_2) | instskip(NEXT) | instid1(VALU_DEP_2)
	v_lshlrev_b64 v[2:3], 3, v[1:2]
	v_lshlrev_b32_e32 v0, 4, v0
	s_waitcnt lgkmcnt(0)
	s_delay_alu instid0(VALU_DEP_2) | instskip(NEXT) | instid1(VALU_DEP_1)
	v_add_co_u32 v2, s0, s10, v2
	v_add_co_ci_u32_e64 v3, s0, s11, v3, s0
	s_ashr_i32 s0, s3, 31
	global_load_b64 v[2:3], v[2:3], off
	s_waitcnt vmcnt(0)
	v_mul_lo_u32 v3, v3, s3
	v_mul_lo_u32 v10, v2, s0
	v_mad_u64_u32 v[8:9], null, v2, s3, 0
	s_delay_alu instid0(VALU_DEP_1) | instskip(NEXT) | instid1(VALU_DEP_1)
	v_add3_u32 v9, v9, v10, v3
	v_lshlrev_b64 v[2:3], 1, v[8:9]
	v_lshlrev_b32_e32 v8, 1, v4
	s_delay_alu instid0(VALU_DEP_2) | instskip(NEXT) | instid1(VALU_DEP_1)
	v_add_co_u32 v2, s0, v2, v0
	v_add_co_ci_u32_e64 v3, s0, 0, v3, s0
	s_delay_alu instid0(VALU_DEP_3) | instskip(NEXT) | instid1(VALU_DEP_3)
	v_add3_u32 v0, v8, v5, 0
	v_add_co_u32 v2, s0, s8, v2
	s_delay_alu instid0(VALU_DEP_1)
	v_add_co_ci_u32_e64 v3, s0, s9, v3, s0
	v_mov_b32_e32 v8, v6
	s_mov_b32 s8, 0
	.p2align	6
.LBB113_6:                              ; =>This Inner Loop Header: Depth=1
	global_load_b128 v[9:12], v[2:3], off
	v_add_nc_u32_e32 v8, 32, v8
	v_add_co_u32 v2, s0, 0x200, v2
	s_delay_alu instid0(VALU_DEP_1) | instskip(NEXT) | instid1(VALU_DEP_3)
	v_add_co_ci_u32_e64 v3, s0, 0, v3, s0
	v_cmp_le_i32_e64 s1, s2, v8
	s_delay_alu instid0(VALU_DEP_1)
	s_or_b32 s8, s1, s8
	s_waitcnt vmcnt(0)
	ds_store_b128 v0, v[9:12]
	v_add_nc_u32_e32 v0, 0x200, v0
	s_and_not1_b32 exec_lo, exec_lo, s8
	s_cbranch_execnz .LBB113_6
.LBB113_7:
	s_or_b32 exec_lo, exec_lo, s20
	s_delay_alu instid0(SALU_CYCLE_1)
	s_and_b32 exec_lo, exec_lo, vcc_lo
	s_cbranch_execz .LBB113_44
; %bb.8:
	s_waitcnt lgkmcnt(0)
	s_clause 0x1
	global_load_b128 v[8:11], v5, s[4:5]
	global_load_b128 v[12:15], v5, s[6:7]
	v_mbcnt_lo_u32_b32 v2, -1, 0
	s_lshr_b32 s0, s3, 31
	s_ashr_i32 s1, s3, 31
	v_lshl_add_u32 v0, v4, 1, 0
	s_abs_i32 s2, s3
	s_add_i32 s0, s3, s0
	s_lshr_b32 s6, s1, 29
	s_lshr_b32 s1, s1, 28
	v_add_nc_u32_e32 v50, s15, v16
	v_cvt_f32_u32_e32 v16, s2
	v_xor_b32_e32 v20, 16, v2
	s_and_b32 s0, s0, -2
	s_add_i32 s6, s3, s6
	s_add_i32 s1, s3, s1
	v_add_nc_u32_e32 v41, s0, v0
	s_ashr_i32 s0, s6, 3
	s_ashr_i32 s1, s1, 4
	v_rcp_iflag_f32_e32 v16, v16
	v_xor_b32_e32 v21, 8, v2
	v_cmp_gt_i32_e32 vcc_lo, s0, v6
	v_xor_b32_e32 v25, s1, v2
	v_cmp_gt_i32_e64 s0, s1, v6
	v_cmp_gt_i32_e64 s1, 32, v20
	v_xor_b32_e32 v22, 4, v2
	s_sub_i32 s7, 0, s2
	v_xor_b32_e32 v23, 2, v2
	s_add_i32 s4, s18, s17
	v_cndmask_b32_e64 v20, v2, v20, s1
	v_cmp_gt_i32_e64 s1, 32, v21
	s_lshl_b32 s5, s14, 2
	s_add_i32 s4, s4, s16
	v_xor_b32_e32 v24, 1, v2
	s_sub_i32 s3, s4, s5
	v_cndmask_b32_e64 v21, v2, v21, s1
	v_mul_f32_e32 v16, 0x4f7ffffe, v16
	v_cmp_gt_i32_e64 s1, 32, v22
	v_mul_lo_u32 v1, s3, v1
	v_or_b32_e32 v3, 2, v5
	v_lshlrev_b32_e32 v21, 2, v21
	v_cvt_u32_f32_e32 v16, v16
	v_cndmask_b32_e64 v22, v2, v22, s1
	v_cmp_gt_i32_e64 s1, 32, v23
	v_or_b32_e32 v4, 4, v5
	v_or_b32_e32 v17, 6, v5
	v_mul_lo_u32 v30, s7, v16
	v_lshl_add_u32 v1, v1, 8, v7
	v_cndmask_b32_e64 v23, v2, v23, s1
	v_cmp_gt_i32_e64 s1, 32, v24
	v_or_b32_e32 v27, 10, v5
	v_or_b32_e32 v26, 8, v5
	;; [unrolled: 1-line block ×4, first 2 shown]
	v_mul_hi_u32 v30, v16, v30
	v_cndmask_b32_e64 v24, v2, v24, s1
	v_cmp_gt_i32_e64 s1, 32, v25
	v_lshlrev_b32_e32 v20, 2, v20
	v_lshlrev_b32_e32 v22, 2, v22
	;; [unrolled: 1-line block ×4, first 2 shown]
	v_cndmask_b32_e64 v2, v2, v25, s1
	v_add_nc_u32_e32 v7, v16, v30
	v_lshl_or_b32 v16, v6, 3, v1
	v_add3_u32 v50, v50, v5, 0
	s_mov_b32 s3, 0
	v_lshlrev_b32_e32 v25, 2, v2
	v_mul_hi_u32 v1, v5, v7
	v_mul_hi_u32 v2, v3, v7
	;; [unrolled: 1-line block ×8, first 2 shown]
	v_mul_lo_u32 v1, v1, s2
	v_mul_lo_u32 v2, v2, s2
	;; [unrolled: 1-line block ×8, first 2 shown]
	v_sub_nc_u32_e32 v1, v5, v1
	v_sub_nc_u32_e32 v2, v3, v2
	v_sub_nc_u32_e32 v3, v4, v6
	v_sub_nc_u32_e32 v4, v17, v30
	v_sub_nc_u32_e32 v17, v27, v32
	v_subrev_nc_u32_e32 v27, s2, v1
	v_cmp_le_u32_e64 s1, s2, v1
	v_sub_nc_u32_e32 v6, v26, v31
	v_sub_nc_u32_e32 v26, v28, v33
	v_subrev_nc_u32_e32 v28, s2, v2
	v_sub_nc_u32_e32 v7, v29, v7
	v_cndmask_b32_e64 v1, v1, v27, s1
	v_cmp_le_u32_e64 s1, s2, v2
	v_subrev_nc_u32_e32 v29, s2, v3
	v_subrev_nc_u32_e32 v30, s2, v4
	;; [unrolled: 1-line block ×4, first 2 shown]
	v_cndmask_b32_e64 v2, v2, v28, s1
	v_cmp_le_u32_e64 s1, s2, v3
	v_subrev_nc_u32_e32 v33, s2, v26
	v_subrev_nc_u32_e32 v34, s2, v7
	;; [unrolled: 1-line block ×4, first 2 shown]
	v_cndmask_b32_e64 v3, v3, v29, s1
	v_cmp_le_u32_e64 s1, s2, v4
	s_mov_b32 s4, 0
	s_delay_alu instid0(VALU_DEP_2) | instskip(NEXT) | instid1(VALU_DEP_2)
	v_subrev_nc_u32_e32 v29, s2, v3
	v_cndmask_b32_e64 v4, v4, v30, s1
	v_cmp_le_u32_e64 s1, s2, v6
	s_delay_alu instid0(VALU_DEP_2) | instskip(NEXT) | instid1(VALU_DEP_2)
	v_subrev_nc_u32_e32 v30, s2, v4
	v_cndmask_b32_e64 v6, v6, v31, s1
	v_cmp_le_u32_e64 s1, s2, v17
	;; [unrolled: 4-line block ×6, first 2 shown]
	s_delay_alu instid0(VALU_DEP_2) | instskip(NEXT) | instid1(VALU_DEP_2)
	v_and_b32_e32 v1, -2, v1
	v_cndmask_b32_e64 v2, v2, v28, s1
	v_cmp_le_u32_e64 s1, s2, v3
	s_delay_alu instid0(VALU_DEP_3) | instskip(NEXT) | instid1(VALU_DEP_3)
	v_add_nc_u32_e32 v27, v41, v1
	v_and_b32_e32 v2, -2, v2
	s_delay_alu instid0(VALU_DEP_3) | instskip(SKIP_1) | instid1(VALU_DEP_3)
	v_cndmask_b32_e64 v3, v3, v29, s1
	v_cmp_le_u32_e64 s1, s2, v4
	v_add_nc_u32_e32 v28, v0, v2
	s_delay_alu instid0(VALU_DEP_3) | instskip(NEXT) | instid1(VALU_DEP_3)
	v_and_b32_e32 v3, -2, v3
	v_cndmask_b32_e64 v4, v4, v30, s1
	v_cmp_le_u32_e64 s1, s2, v6
	v_add_nc_u32_e32 v29, v41, v2
	s_delay_alu instid0(VALU_DEP_4) | instskip(NEXT) | instid1(VALU_DEP_4)
	v_add_nc_u32_e32 v30, v0, v3
	v_and_b32_e32 v4, -2, v4
	s_delay_alu instid0(VALU_DEP_4) | instskip(SKIP_2) | instid1(VALU_DEP_3)
	v_cndmask_b32_e64 v6, v6, v31, s1
	v_cmp_le_u32_e64 s1, s2, v17
	v_add_nc_u32_e32 v31, v41, v3
	v_and_b32_e32 v6, -2, v6
	s_delay_alu instid0(VALU_DEP_3) | instskip(SKIP_2) | instid1(VALU_DEP_4)
	v_cndmask_b32_e64 v17, v17, v32, s1
	v_cmp_le_u32_e64 s1, s2, v26
	v_add_nc_u32_e32 v32, v0, v4
	v_add_nc_u32_e32 v35, v41, v6
	s_delay_alu instid0(VALU_DEP_4) | instskip(NEXT) | instid1(VALU_DEP_4)
	v_and_b32_e32 v17, -2, v17
	v_cndmask_b32_e64 v26, v26, v33, s1
	v_cmp_le_u32_e64 s1, s2, v7
	v_add_nc_u32_e32 v33, v41, v4
	s_delay_alu instid0(VALU_DEP_4) | instskip(NEXT) | instid1(VALU_DEP_4)
	v_add_nc_u32_e32 v36, v0, v17
	v_and_b32_e32 v39, -2, v26
	s_delay_alu instid0(VALU_DEP_4)
	v_cndmask_b32_e64 v7, v7, v34, s1
	v_add_nc_u32_e32 v26, v0, v1
	v_add_nc_u32_e32 v34, v0, v6
	;; [unrolled: 1-line block ×4, first 2 shown]
	v_and_b32_e32 v7, -2, v7
	v_add_nc_u32_e32 v39, v41, v39
	s_delay_alu instid0(VALU_DEP_2)
	v_add_nc_u32_e32 v40, v0, v7
	v_add_nc_u32_e32 v41, v41, v7
	s_waitcnt vmcnt(1)
	v_lshrrev_b32_e32 v42, 16, v8
	v_lshrrev_b32_e32 v43, 16, v9
	;; [unrolled: 1-line block ×4, first 2 shown]
	s_waitcnt vmcnt(0)
	v_lshrrev_b32_e32 v46, 16, v12
	v_lshrrev_b32_e32 v47, 16, v13
	v_lshrrev_b32_e32 v48, 16, v14
	v_lshrrev_b32_e32 v49, 16, v15
	s_branch .LBB113_10
.LBB113_9:                              ;   in Loop: Header=BB113_10 Depth=1
	s_or_b32 exec_lo, exec_lo, s2
	v_ashrrev_i32_e32 v17, 31, v16
	s_add_i32 s4, s4, 1
	v_perm_b32 v3, v58, v57, 0x7060302
	v_cmp_ge_i32_e64 s1, s4, v19
	v_perm_b32 v2, v56, v55, 0x7060302
	v_lshlrev_b64 v[4:5], 1, v[16:17]
	v_perm_b32 v1, v54, v53, 0x7060302
	v_perm_b32 v0, v52, v51, 0x7060302
	v_add_nc_u32_e32 v16, 0x100, v16
	v_add_nc_u32_e32 v50, 0x200, v50
	s_or_b32 s3, s1, s3
	v_add_co_u32 v4, s2, s12, v4
	s_delay_alu instid0(VALU_DEP_1)
	v_add_co_ci_u32_e64 v5, s2, s13, v5, s2
	global_store_b128 v[4:5], v[0:3], off
	s_and_not1_b32 exec_lo, exec_lo, s3
	s_cbranch_execz .LBB113_44
.LBB113_10:                             ; =>This Inner Loop Header: Depth=1
	ds_load_b128 v[0:3], v50
	s_waitcnt lgkmcnt(0)
	v_lshlrev_b32_e32 v7, 16, v1
	v_and_b32_e32 v4, 0xffff0000, v0
	v_and_b32_e32 v1, 0xffff0000, v1
	v_lshlrev_b32_e32 v0, 16, v0
	v_lshlrev_b32_e32 v17, 16, v2
	s_delay_alu instid0(VALU_DEP_4) | instskip(SKIP_2) | instid1(VALU_DEP_3)
	v_dual_mul_f32 v5, v4, v4 :: v_dual_lshlrev_b32 v52, 16, v3
	v_and_b32_e32 v51, 0xffff0000, v2
	v_and_b32_e32 v53, 0xffff0000, v3
	v_fmac_f32_e32 v5, v0, v0
	s_delay_alu instid0(VALU_DEP_1) | instskip(NEXT) | instid1(VALU_DEP_1)
	v_fmac_f32_e32 v5, v7, v7
	v_fmac_f32_e32 v5, v1, v1
	s_delay_alu instid0(VALU_DEP_1) | instskip(NEXT) | instid1(VALU_DEP_1)
	v_fmac_f32_e32 v5, v17, v17
	;; [unrolled: 3-line block ×3, first 2 shown]
	v_fmac_f32_e32 v5, v53, v53
	ds_bpermute_b32 v2, v20, v5
	s_waitcnt lgkmcnt(0)
	v_add_f32_e32 v2, v5, v2
	v_add_nc_u32_e32 v5, s4, v18
	ds_bpermute_b32 v3, v21, v2
	v_cmp_gt_i32_e64 s2, s16, v5
	s_delay_alu instid0(VALU_DEP_1)
	v_cndmask_b32_e64 v59, v49, v45, s2
	v_cndmask_b32_e64 v5, v46, v42, s2
	;; [unrolled: 1-line block ×7, first 2 shown]
	v_lshlrev_b32_e32 v6, 16, v6
	s_delay_alu instid0(VALU_DEP_4) | instskip(NEXT) | instid1(VALU_DEP_3)
	v_lshlrev_b32_e32 v54, 16, v54
	v_lshlrev_b32_e32 v56, 16, v56
	s_waitcnt lgkmcnt(0)
	v_add_f32_e32 v2, v2, v3
	ds_bpermute_b32 v3, v22, v2
	s_waitcnt lgkmcnt(0)
	v_add_f32_e32 v2, v2, v3
	ds_bpermute_b32 v3, v23, v2
	;; [unrolled: 3-line block ×3, first 2 shown]
	s_waitcnt lgkmcnt(0)
	v_add_f32_e32 v2, v2, v3
	s_delay_alu instid0(VALU_DEP_1) | instskip(NEXT) | instid1(VALU_DEP_1)
	v_fma_f32 v2, 0x3b800000, v2, s19
	v_mul_f32_e32 v3, 0x4b800000, v2
	v_cmp_gt_f32_e64 s1, 0x800000, v2
	s_delay_alu instid0(VALU_DEP_1) | instskip(SKIP_1) | instid1(VALU_DEP_2)
	v_cndmask_b32_e64 v2, v2, v3, s1
	v_cndmask_b32_e64 v3, v12, v8, s2
	v_rsq_f32_e32 v2, v2
	s_waitcnt_depctr 0xfff
	v_mul_f32_e32 v58, 0x45800000, v2
	s_delay_alu instid0(VALU_DEP_1) | instskip(SKIP_2) | instid1(VALU_DEP_3)
	v_cndmask_b32_e64 v2, v2, v58, s1
	v_lshlrev_b32_e32 v58, 16, v59
	v_lshlrev_b32_e32 v3, 16, v3
	v_mul_f32_e32 v59, v2, v6
	s_delay_alu instid0(VALU_DEP_3) | instskip(NEXT) | instid1(VALU_DEP_3)
	v_mul_f32_e32 v58, v2, v58
	v_mul_f32_e32 v3, v2, v3
	v_lshlrev_b32_e32 v5, 16, v5
	v_dual_mul_f32 v54, v2, v54 :: v_dual_lshlrev_b32 v57, 16, v57
	v_mul_f32_e32 v56, v2, v56
	s_delay_alu instid0(VALU_DEP_3) | instskip(NEXT) | instid1(VALU_DEP_3)
	v_dual_mul_f32 v6, v3, v0 :: v_dual_mul_f32 v5, v2, v5
	v_mul_f32_e32 v3, v54, v1
	s_delay_alu instid0(VALU_DEP_3) | instskip(NEXT) | instid1(VALU_DEP_3)
	v_mul_f32_e32 v1, v56, v51
	v_dual_mul_f32 v5, v5, v4 :: v_dual_mul_f32 v4, v59, v7
	v_mul_f32_e32 v57, v2, v57
	v_lshlrev_b32_e32 v55, 16, v55
	s_delay_alu instid0(VALU_DEP_2) | instskip(NEXT) | instid1(VALU_DEP_2)
	v_dual_mul_f32 v7, v58, v53 :: v_dual_mul_f32 v0, v57, v52
	v_mul_f32_e32 v55, v2, v55
	s_delay_alu instid0(VALU_DEP_1)
	v_mul_f32_e32 v2, v55, v17
	s_and_saveexec_b32 s1, vcc_lo
	s_cbranch_execz .LBB113_12
; %bb.11:                               ;   in Loop: Header=BB113_10 Depth=1
	; wave barrier
	ds_bpermute_b32 v17, v25, v6
	ds_load_u16 v51, v27
	ds_load_u16 v53, v29
	ds_bpermute_b32 v52, v25, v5
	ds_bpermute_b32 v54, v25, v4
	ds_load_u16 v55, v31
	ds_load_u16 v56, v26
	;; [unrolled: 1-line block ×4, first 2 shown]
	ds_bpermute_b32 v59, v25, v3
	ds_load_u16 v60, v32
	ds_load_u16 v61, v33
	ds_bpermute_b32 v62, v25, v2
	ds_load_u16 v63, v35
	ds_load_u16 v65, v37
	;; [unrolled: 1-line block ×3, first 2 shown]
	ds_bpermute_b32 v64, v25, v1
	ds_bpermute_b32 v66, v25, v0
	;; [unrolled: 1-line block ×3, first 2 shown]
	ds_load_u16 v69, v41
	ds_load_u16 v70, v34
	;; [unrolled: 1-line block ×3, first 2 shown]
	s_waitcnt lgkmcnt(21)
	v_cndmask_b32_e64 v17, v17, -v17, s0
	s_waitcnt lgkmcnt(20)
	v_cvt_f32_f16_e32 v51, v51
	s_waitcnt lgkmcnt(19)
	v_cvt_f32_f16_e32 v53, v53
	s_waitcnt lgkmcnt(18)
	v_cndmask_b32_e64 v52, v52, -v52, s0
	s_waitcnt lgkmcnt(17)
	v_cndmask_b32_e64 v54, v54, -v54, s0
	s_waitcnt lgkmcnt(16)
	v_cvt_f32_f16_e32 v55, v55
	v_mul_f32_e32 v17, v17, v51
	s_delay_alu instid0(VALU_DEP_2)
	v_dual_mul_f32 v51, v52, v53 :: v_dual_mul_f32 v52, v54, v55
	ds_load_u16 v53, v38
	ds_load_u16 v54, v40
	s_waitcnt lgkmcnt(17)
	v_fma_mix_f32 v6, v6, v56, v17 op_sel_hi:[0,1,0]
	s_waitcnt lgkmcnt(16)
	v_fma_mix_f32 v5, v5, v57, v51 op_sel_hi:[0,1,0]
	s_waitcnt lgkmcnt(14)
	v_cndmask_b32_e64 v17, v59, -v59, s0
	v_fma_mix_f32 v4, v4, v58, v52 op_sel_hi:[0,1,0]
	s_waitcnt lgkmcnt(12)
	v_cvt_f32_f16_e32 v51, v61
	s_waitcnt lgkmcnt(11)
	v_cndmask_b32_e64 v52, v62, -v62, s0
	s_waitcnt lgkmcnt(10)
	v_cvt_f32_f16_e32 v55, v63
	s_waitcnt lgkmcnt(7)
	v_cndmask_b32_e64 v56, v64, -v64, s0
	v_cvt_f32_f16_e32 v57, v65
	s_waitcnt lgkmcnt(6)
	v_cndmask_b32_e64 v58, v66, -v66, s0
	v_cvt_f32_f16_e32 v59, v67
	s_waitcnt lgkmcnt(5)
	v_cndmask_b32_e64 v61, v68, -v68, s0
	s_waitcnt lgkmcnt(4)
	v_cvt_f32_f16_e32 v62, v69
	v_mul_f32_e32 v17, v17, v51
	v_mul_f32_e32 v51, v52, v55
	v_dual_mul_f32 v52, v56, v57 :: v_dual_mul_f32 v55, v58, v59
	s_delay_alu instid0(VALU_DEP_4) | instskip(NEXT) | instid1(VALU_DEP_4)
	v_mul_f32_e32 v56, v61, v62
	v_fma_mix_f32 v3, v3, v60, v17 op_sel_hi:[0,1,0]
	s_waitcnt lgkmcnt(3)
	v_fma_mix_f32 v2, v2, v70, v51 op_sel_hi:[0,1,0]
	s_waitcnt lgkmcnt(2)
	;; [unrolled: 2-line block ×4, first 2 shown]
	v_fma_mix_f32 v7, v7, v54, v56 op_sel_hi:[0,1,0]
	; wave barrier
.LBB113_12:                             ;   in Loop: Header=BB113_10 Depth=1
	s_or_b32 exec_lo, exec_lo, s1
	v_and_b32_e32 v17, 0x7f800000, v6
                                        ; implicit-def: $vgpr51
	s_delay_alu instid0(VALU_DEP_1) | instskip(NEXT) | instid1(VALU_DEP_1)
	v_cmp_ne_u32_e64 s1, 0x7f800000, v17
	s_and_saveexec_b32 s2, s1
	s_delay_alu instid0(SALU_CYCLE_1)
	s_xor_b32 s1, exec_lo, s2
; %bb.13:                               ;   in Loop: Header=BB113_10 Depth=1
	v_bfe_u32 v17, v6, 16, 1
	s_delay_alu instid0(VALU_DEP_1)
	v_add3_u32 v51, v6, v17, 0x7fff
; %bb.14:                               ;   in Loop: Header=BB113_10 Depth=1
	s_and_not1_saveexec_b32 s2, s1
; %bb.15:                               ;   in Loop: Header=BB113_10 Depth=1
	v_and_b32_e32 v17, 0xffff, v6
	v_or_b32_e32 v51, 0x10000, v6
	s_delay_alu instid0(VALU_DEP_2) | instskip(NEXT) | instid1(VALU_DEP_1)
	v_cmp_eq_u32_e64 s1, 0, v17
	v_cndmask_b32_e64 v51, v51, v6, s1
; %bb.16:                               ;   in Loop: Header=BB113_10 Depth=1
	s_or_b32 exec_lo, exec_lo, s2
	v_and_b32_e32 v6, 0x7f800000, v5
                                        ; implicit-def: $vgpr52
	s_delay_alu instid0(VALU_DEP_1) | instskip(NEXT) | instid1(VALU_DEP_1)
	v_cmp_ne_u32_e64 s1, 0x7f800000, v6
	s_and_saveexec_b32 s2, s1
	s_delay_alu instid0(SALU_CYCLE_1)
	s_xor_b32 s1, exec_lo, s2
; %bb.17:                               ;   in Loop: Header=BB113_10 Depth=1
	v_bfe_u32 v6, v5, 16, 1
	s_delay_alu instid0(VALU_DEP_1)
	v_add3_u32 v52, v5, v6, 0x7fff
; %bb.18:                               ;   in Loop: Header=BB113_10 Depth=1
	s_and_not1_saveexec_b32 s2, s1
; %bb.19:                               ;   in Loop: Header=BB113_10 Depth=1
	v_and_b32_e32 v6, 0xffff, v5
	v_or_b32_e32 v17, 0x10000, v5
	s_delay_alu instid0(VALU_DEP_2) | instskip(NEXT) | instid1(VALU_DEP_1)
	v_cmp_eq_u32_e64 s1, 0, v6
	v_cndmask_b32_e64 v52, v17, v5, s1
; %bb.20:                               ;   in Loop: Header=BB113_10 Depth=1
	s_or_b32 exec_lo, exec_lo, s2
	v_and_b32_e32 v5, 0x7f800000, v4
                                        ; implicit-def: $vgpr53
	s_delay_alu instid0(VALU_DEP_1) | instskip(NEXT) | instid1(VALU_DEP_1)
	v_cmp_ne_u32_e64 s1, 0x7f800000, v5
	s_and_saveexec_b32 s2, s1
	s_delay_alu instid0(SALU_CYCLE_1)
	s_xor_b32 s1, exec_lo, s2
; %bb.21:                               ;   in Loop: Header=BB113_10 Depth=1
	v_bfe_u32 v5, v4, 16, 1
	s_delay_alu instid0(VALU_DEP_1)
	v_add3_u32 v53, v4, v5, 0x7fff
; %bb.22:                               ;   in Loop: Header=BB113_10 Depth=1
	s_and_not1_saveexec_b32 s2, s1
; %bb.23:                               ;   in Loop: Header=BB113_10 Depth=1
	v_and_b32_e32 v5, 0xffff, v4
	v_or_b32_e32 v6, 0x10000, v4
	s_delay_alu instid0(VALU_DEP_2) | instskip(NEXT) | instid1(VALU_DEP_1)
	v_cmp_eq_u32_e64 s1, 0, v5
	v_cndmask_b32_e64 v53, v6, v4, s1
; %bb.24:                               ;   in Loop: Header=BB113_10 Depth=1
	s_or_b32 exec_lo, exec_lo, s2
	v_and_b32_e32 v4, 0x7f800000, v3
                                        ; implicit-def: $vgpr54
	s_delay_alu instid0(VALU_DEP_1) | instskip(NEXT) | instid1(VALU_DEP_1)
	v_cmp_ne_u32_e64 s1, 0x7f800000, v4
	s_and_saveexec_b32 s2, s1
	s_delay_alu instid0(SALU_CYCLE_1)
	s_xor_b32 s1, exec_lo, s2
; %bb.25:                               ;   in Loop: Header=BB113_10 Depth=1
	v_bfe_u32 v4, v3, 16, 1
	s_delay_alu instid0(VALU_DEP_1)
	v_add3_u32 v54, v3, v4, 0x7fff
; %bb.26:                               ;   in Loop: Header=BB113_10 Depth=1
	s_and_not1_saveexec_b32 s2, s1
; %bb.27:                               ;   in Loop: Header=BB113_10 Depth=1
	v_and_b32_e32 v4, 0xffff, v3
	v_or_b32_e32 v5, 0x10000, v3
	s_delay_alu instid0(VALU_DEP_2) | instskip(NEXT) | instid1(VALU_DEP_1)
	v_cmp_eq_u32_e64 s1, 0, v4
	v_cndmask_b32_e64 v54, v5, v3, s1
; %bb.28:                               ;   in Loop: Header=BB113_10 Depth=1
	s_or_b32 exec_lo, exec_lo, s2
	v_and_b32_e32 v3, 0x7f800000, v2
                                        ; implicit-def: $vgpr55
	s_delay_alu instid0(VALU_DEP_1) | instskip(NEXT) | instid1(VALU_DEP_1)
	v_cmp_ne_u32_e64 s1, 0x7f800000, v3
	s_and_saveexec_b32 s2, s1
	s_delay_alu instid0(SALU_CYCLE_1)
	s_xor_b32 s1, exec_lo, s2
; %bb.29:                               ;   in Loop: Header=BB113_10 Depth=1
	v_bfe_u32 v3, v2, 16, 1
	s_delay_alu instid0(VALU_DEP_1)
	v_add3_u32 v55, v2, v3, 0x7fff
; %bb.30:                               ;   in Loop: Header=BB113_10 Depth=1
	s_and_not1_saveexec_b32 s2, s1
; %bb.31:                               ;   in Loop: Header=BB113_10 Depth=1
	v_and_b32_e32 v3, 0xffff, v2
	v_or_b32_e32 v4, 0x10000, v2
	s_delay_alu instid0(VALU_DEP_2) | instskip(NEXT) | instid1(VALU_DEP_1)
	v_cmp_eq_u32_e64 s1, 0, v3
	v_cndmask_b32_e64 v55, v4, v2, s1
; %bb.32:                               ;   in Loop: Header=BB113_10 Depth=1
	s_or_b32 exec_lo, exec_lo, s2
	v_and_b32_e32 v2, 0x7f800000, v1
                                        ; implicit-def: $vgpr56
	s_delay_alu instid0(VALU_DEP_1) | instskip(NEXT) | instid1(VALU_DEP_1)
	v_cmp_ne_u32_e64 s1, 0x7f800000, v2
	s_and_saveexec_b32 s2, s1
	s_delay_alu instid0(SALU_CYCLE_1)
	s_xor_b32 s1, exec_lo, s2
; %bb.33:                               ;   in Loop: Header=BB113_10 Depth=1
	v_bfe_u32 v2, v1, 16, 1
	s_delay_alu instid0(VALU_DEP_1)
	v_add3_u32 v56, v1, v2, 0x7fff
; %bb.34:                               ;   in Loop: Header=BB113_10 Depth=1
	s_and_not1_saveexec_b32 s2, s1
; %bb.35:                               ;   in Loop: Header=BB113_10 Depth=1
	v_and_b32_e32 v2, 0xffff, v1
	v_or_b32_e32 v3, 0x10000, v1
	s_delay_alu instid0(VALU_DEP_2) | instskip(NEXT) | instid1(VALU_DEP_1)
	v_cmp_eq_u32_e64 s1, 0, v2
	v_cndmask_b32_e64 v56, v3, v1, s1
; %bb.36:                               ;   in Loop: Header=BB113_10 Depth=1
	s_or_b32 exec_lo, exec_lo, s2
	v_and_b32_e32 v1, 0x7f800000, v0
                                        ; implicit-def: $vgpr57
	s_delay_alu instid0(VALU_DEP_1) | instskip(NEXT) | instid1(VALU_DEP_1)
	v_cmp_ne_u32_e64 s1, 0x7f800000, v1
	s_and_saveexec_b32 s2, s1
	s_delay_alu instid0(SALU_CYCLE_1)
	s_xor_b32 s1, exec_lo, s2
; %bb.37:                               ;   in Loop: Header=BB113_10 Depth=1
	v_bfe_u32 v1, v0, 16, 1
	s_delay_alu instid0(VALU_DEP_1)
	v_add3_u32 v57, v0, v1, 0x7fff
; %bb.38:                               ;   in Loop: Header=BB113_10 Depth=1
	s_and_not1_saveexec_b32 s2, s1
; %bb.39:                               ;   in Loop: Header=BB113_10 Depth=1
	v_and_b32_e32 v1, 0xffff, v0
	v_or_b32_e32 v2, 0x10000, v0
	s_delay_alu instid0(VALU_DEP_2) | instskip(NEXT) | instid1(VALU_DEP_1)
	v_cmp_eq_u32_e64 s1, 0, v1
	v_cndmask_b32_e64 v57, v2, v0, s1
; %bb.40:                               ;   in Loop: Header=BB113_10 Depth=1
	s_or_b32 exec_lo, exec_lo, s2
	v_and_b32_e32 v0, 0x7f800000, v7
                                        ; implicit-def: $vgpr58
	s_delay_alu instid0(VALU_DEP_1) | instskip(NEXT) | instid1(VALU_DEP_1)
	v_cmp_ne_u32_e64 s1, 0x7f800000, v0
	s_and_saveexec_b32 s2, s1
	s_delay_alu instid0(SALU_CYCLE_1)
	s_xor_b32 s1, exec_lo, s2
; %bb.41:                               ;   in Loop: Header=BB113_10 Depth=1
	v_bfe_u32 v0, v7, 16, 1
	s_delay_alu instid0(VALU_DEP_1)
	v_add3_u32 v58, v7, v0, 0x7fff
                                        ; implicit-def: $vgpr0_vgpr1_vgpr2_vgpr3_vgpr4_vgpr5_vgpr6_vgpr7
; %bb.42:                               ;   in Loop: Header=BB113_10 Depth=1
	s_and_not1_saveexec_b32 s2, s1
	s_cbranch_execz .LBB113_9
; %bb.43:                               ;   in Loop: Header=BB113_10 Depth=1
	v_and_b32_e32 v0, 0xffff, v7
	v_or_b32_e32 v1, 0x10000, v7
	s_delay_alu instid0(VALU_DEP_2) | instskip(NEXT) | instid1(VALU_DEP_1)
	v_cmp_eq_u32_e64 s1, 0, v0
	v_cndmask_b32_e64 v58, v1, v7, s1
	s_branch .LBB113_9
.LBB113_44:
	s_nop 0
	s_sendmsg sendmsg(MSG_DEALLOC_VGPRS)
	s_endpgm
	.section	.rodata,"a",@progbits
	.p2align	6, 0x0
	.amdhsa_kernel _ZN12tensorrt_llm7kernels32fusedQKNormRopeKernelNTokenHeadsIN3c108BFloat16ENS2_4HalfELi256ELb0ELi4EEEvPviiifPKvS7_S7_PKlii
		.amdhsa_group_segment_fixed_size 0
		.amdhsa_private_segment_fixed_size 0
		.amdhsa_kernarg_size 320
		.amdhsa_user_sgpr_count 15
		.amdhsa_user_sgpr_dispatch_ptr 0
		.amdhsa_user_sgpr_queue_ptr 0
		.amdhsa_user_sgpr_kernarg_segment_ptr 1
		.amdhsa_user_sgpr_dispatch_id 0
		.amdhsa_user_sgpr_private_segment_size 0
		.amdhsa_wavefront_size32 1
		.amdhsa_uses_dynamic_stack 0
		.amdhsa_enable_private_segment 0
		.amdhsa_system_sgpr_workgroup_id_x 1
		.amdhsa_system_sgpr_workgroup_id_y 0
		.amdhsa_system_sgpr_workgroup_id_z 0
		.amdhsa_system_sgpr_workgroup_info 0
		.amdhsa_system_vgpr_workitem_id 0
		.amdhsa_next_free_vgpr 72
		.amdhsa_next_free_sgpr 21
		.amdhsa_reserve_vcc 1
		.amdhsa_float_round_mode_32 0
		.amdhsa_float_round_mode_16_64 0
		.amdhsa_float_denorm_mode_32 3
		.amdhsa_float_denorm_mode_16_64 3
		.amdhsa_dx10_clamp 1
		.amdhsa_ieee_mode 1
		.amdhsa_fp16_overflow 0
		.amdhsa_workgroup_processor_mode 1
		.amdhsa_memory_ordered 1
		.amdhsa_forward_progress 0
		.amdhsa_shared_vgpr_count 0
		.amdhsa_exception_fp_ieee_invalid_op 0
		.amdhsa_exception_fp_denorm_src 0
		.amdhsa_exception_fp_ieee_div_zero 0
		.amdhsa_exception_fp_ieee_overflow 0
		.amdhsa_exception_fp_ieee_underflow 0
		.amdhsa_exception_fp_ieee_inexact 0
		.amdhsa_exception_int_div_zero 0
	.end_amdhsa_kernel
	.section	.text._ZN12tensorrt_llm7kernels32fusedQKNormRopeKernelNTokenHeadsIN3c108BFloat16ENS2_4HalfELi256ELb0ELi4EEEvPviiifPKvS7_S7_PKlii,"axG",@progbits,_ZN12tensorrt_llm7kernels32fusedQKNormRopeKernelNTokenHeadsIN3c108BFloat16ENS2_4HalfELi256ELb0ELi4EEEvPviiifPKvS7_S7_PKlii,comdat
.Lfunc_end113:
	.size	_ZN12tensorrt_llm7kernels32fusedQKNormRopeKernelNTokenHeadsIN3c108BFloat16ENS2_4HalfELi256ELb0ELi4EEEvPviiifPKvS7_S7_PKlii, .Lfunc_end113-_ZN12tensorrt_llm7kernels32fusedQKNormRopeKernelNTokenHeadsIN3c108BFloat16ENS2_4HalfELi256ELb0ELi4EEEvPviiifPKvS7_S7_PKlii
                                        ; -- End function
	.section	.AMDGPU.csdata,"",@progbits
; Kernel info:
; codeLenInByte = 3856
; NumSgprs: 23
; NumVgprs: 72
; ScratchSize: 0
; MemoryBound: 0
; FloatMode: 240
; IeeeMode: 1
; LDSByteSize: 0 bytes/workgroup (compile time only)
; SGPRBlocks: 2
; VGPRBlocks: 8
; NumSGPRsForWavesPerEU: 23
; NumVGPRsForWavesPerEU: 72
; Occupancy: 16
; WaveLimiterHint : 0
; COMPUTE_PGM_RSRC2:SCRATCH_EN: 0
; COMPUTE_PGM_RSRC2:USER_SGPR: 15
; COMPUTE_PGM_RSRC2:TRAP_HANDLER: 0
; COMPUTE_PGM_RSRC2:TGID_X_EN: 1
; COMPUTE_PGM_RSRC2:TGID_Y_EN: 0
; COMPUTE_PGM_RSRC2:TGID_Z_EN: 0
; COMPUTE_PGM_RSRC2:TIDIG_COMP_CNT: 0
	.section	.text._ZN12tensorrt_llm7kernels32fusedQKNormRopeKernelNTokenHeadsIN3c108BFloat16ENS2_4HalfELi64ELb1ELi8EEEvPviiifPKvS7_S7_PKlii,"axG",@progbits,_ZN12tensorrt_llm7kernels32fusedQKNormRopeKernelNTokenHeadsIN3c108BFloat16ENS2_4HalfELi64ELb1ELi8EEEvPviiifPKvS7_S7_PKlii,comdat
	.protected	_ZN12tensorrt_llm7kernels32fusedQKNormRopeKernelNTokenHeadsIN3c108BFloat16ENS2_4HalfELi64ELb1ELi8EEEvPviiifPKvS7_S7_PKlii ; -- Begin function _ZN12tensorrt_llm7kernels32fusedQKNormRopeKernelNTokenHeadsIN3c108BFloat16ENS2_4HalfELi64ELb1ELi8EEEvPviiifPKvS7_S7_PKlii
	.globl	_ZN12tensorrt_llm7kernels32fusedQKNormRopeKernelNTokenHeadsIN3c108BFloat16ENS2_4HalfELi64ELb1ELi8EEEvPviiifPKvS7_S7_PKlii
	.p2align	8
	.type	_ZN12tensorrt_llm7kernels32fusedQKNormRopeKernelNTokenHeadsIN3c108BFloat16ENS2_4HalfELi64ELb1ELi8EEEvPviiifPKvS7_S7_PKlii,@function
_ZN12tensorrt_llm7kernels32fusedQKNormRopeKernelNTokenHeadsIN3c108BFloat16ENS2_4HalfELi64ELb1ELi8EEEvPviiifPKvS7_S7_PKlii: ; @_ZN12tensorrt_llm7kernels32fusedQKNormRopeKernelNTokenHeadsIN3c108BFloat16ENS2_4HalfELi64ELb1ELi8EEEvPviiifPKvS7_S7_PKlii
; %bb.0:
	s_clause 0x1
	s_load_b128 s[16:19], s[0:1], 0x8
	s_load_b64 s[2:3], s[0:1], 0x38
	v_lshrrev_b32_e32 v2, 5, v0
	s_waitcnt lgkmcnt(0)
	s_add_i32 s4, s17, s16
	s_delay_alu instid0(SALU_CYCLE_1) | instskip(NEXT) | instid1(SALU_CYCLE_1)
	s_add_i32 s5, s4, 7
	s_ashr_i32 s6, s5, 31
	s_delay_alu instid0(SALU_CYCLE_1) | instskip(NEXT) | instid1(SALU_CYCLE_1)
	s_lshr_b32 s6, s6, 29
	s_add_i32 s5, s5, s6
	s_delay_alu instid0(SALU_CYCLE_1) | instskip(SKIP_2) | instid1(SALU_CYCLE_1)
	s_ashr_i32 s14, s5, 3
	s_load_b32 s5, s[0:1], 0x4c
	s_abs_i32 s6, s14
	v_cvt_f32_u32_e32 v1, s6
	s_sub_i32 s7, 0, s6
	s_delay_alu instid0(VALU_DEP_1) | instskip(SKIP_4) | instid1(SALU_CYCLE_1)
	v_rcp_iflag_f32_e32 v1, v1
	s_waitcnt_depctr 0xfff
	v_mul_f32_e32 v1, 0x4f7ffffe, v1
	s_waitcnt lgkmcnt(0)
	s_bfe_u32 s5, s5, 0xb0005
	v_mad_u64_u32 v[3:4], null, s15, s5, v[2:3]
	s_delay_alu instid0(VALU_DEP_2) | instskip(NEXT) | instid1(VALU_DEP_1)
	v_cvt_u32_f32_e32 v1, v1
	v_mul_lo_u32 v5, s7, v1
	s_delay_alu instid0(VALU_DEP_1) | instskip(NEXT) | instid1(VALU_DEP_4)
	v_mul_hi_u32 v4, v1, v5
	v_sub_nc_u32_e32 v5, 0, v3
	s_delay_alu instid0(VALU_DEP_1) | instskip(NEXT) | instid1(VALU_DEP_3)
	v_max_i32_e32 v5, v3, v5
	v_add_nc_u32_e32 v1, v1, v4
	s_delay_alu instid0(VALU_DEP_1) | instskip(NEXT) | instid1(VALU_DEP_1)
	v_mul_hi_u32 v1, v5, v1
	v_mul_lo_u32 v4, v1, s6
	s_delay_alu instid0(VALU_DEP_1) | instskip(SKIP_1) | instid1(VALU_DEP_2)
	v_sub_nc_u32_e32 v4, v5, v4
	v_add_nc_u32_e32 v5, 1, v1
	v_subrev_nc_u32_e32 v6, s6, v4
	v_cmp_le_u32_e32 vcc_lo, s6, v4
	s_delay_alu instid0(VALU_DEP_2) | instskip(SKIP_1) | instid1(VALU_DEP_2)
	v_dual_cndmask_b32 v4, v4, v6 :: v_dual_cndmask_b32 v1, v1, v5
	v_xor_b32_e32 v5, s14, v3
	v_cmp_le_u32_e32 vcc_lo, s6, v4
	s_delay_alu instid0(VALU_DEP_3) | instskip(NEXT) | instid1(VALU_DEP_3)
	v_add_nc_u32_e32 v6, 1, v1
	v_ashrrev_i32_e32 v5, 31, v5
	s_delay_alu instid0(VALU_DEP_2) | instskip(NEXT) | instid1(VALU_DEP_1)
	v_cndmask_b32_e32 v1, v1, v6, vcc_lo
	v_xor_b32_e32 v1, v1, v5
	s_delay_alu instid0(VALU_DEP_1) | instskip(NEXT) | instid1(VALU_DEP_1)
	v_sub_nc_u32_e32 v1, v1, v5
	v_cmp_gt_i32_e32 vcc_lo, s2, v1
	s_and_saveexec_b32 s2, vcc_lo
	s_cbranch_execz .LBB114_20
; %bb.1:
	v_mul_lo_u32 v4, v1, s14
	s_load_b64 s[12:13], s[0:1], 0x0
	v_and_b32_e32 v7, 31, v0
	v_lshlrev_b32_e32 v8, 10, v2
	v_lshlrev_b32_e32 v0, 9, v3
	s_lshl_b32 s20, s3, 1
	s_delay_alu instid0(VALU_DEP_3) | instskip(SKIP_2) | instid1(VALU_DEP_1)
	v_lshlrev_b32_e32 v9, 2, v7
	v_sub_nc_u32_e32 v4, v3, v4
	s_mul_i32 s15, s20, s5
	v_lshlrev_b32_e32 v5, 3, v4
	s_delay_alu instid0(VALU_DEP_1) | instskip(SKIP_1) | instid1(VALU_DEP_2)
	v_add_nc_u32_e32 v4, 8, v5
	v_sub_nc_u32_e32 v6, s4, v5
	v_cmp_lt_i32_e32 vcc_lo, s4, v4
	s_delay_alu instid0(VALU_DEP_2) | instskip(NEXT) | instid1(VALU_DEP_1)
	v_cndmask_b32_e32 v6, 8, v6, vcc_lo
	v_cmp_lt_i32_e32 vcc_lo, 0, v6
	s_and_saveexec_b32 s4, vcc_lo
	s_cbranch_execz .LBB114_4
; %bb.2:
	s_add_i32 s2, s18, s17
	s_lshl_b32 s5, s14, 3
	s_add_i32 s2, s2, s16
	s_mov_b32 s6, 0
	s_sub_i32 s2, s2, s5
	s_mov_b32 s5, 0
	v_mul_lo_u32 v3, s2, v1
	s_add_i32 s2, s15, 0
	s_delay_alu instid0(SALU_CYCLE_1) | instskip(NEXT) | instid1(VALU_DEP_2)
	v_add3_u32 v10, s2, v8, v9
	v_lshl_add_u32 v3, v3, 6, v0
	s_delay_alu instid0(VALU_DEP_1)
	v_lshl_or_b32 v3, v7, 1, v3
	.p2align	6
.LBB114_3:                              ; =>This Inner Loop Header: Depth=1
	s_delay_alu instid0(VALU_DEP_1) | instskip(SKIP_1) | instid1(VALU_DEP_1)
	v_ashrrev_i32_e32 v4, 31, v3
	s_add_i32 s6, s6, 1
	v_lshlrev_b64 v[11:12], 1, v[3:4]
	v_add_nc_u32_e32 v3, 64, v3
	s_waitcnt lgkmcnt(0)
	s_delay_alu instid0(VALU_DEP_2) | instskip(NEXT) | instid1(VALU_DEP_1)
	v_add_co_u32 v11, s2, s12, v11
	v_add_co_ci_u32_e64 v12, s2, s13, v12, s2
	v_cmp_ge_i32_e64 s2, s6, v6
	global_load_b32 v4, v[11:12], off
	s_or_b32 s5, s2, s5
	s_waitcnt vmcnt(0)
	ds_store_b32 v10, v4
	v_add_nc_u32_e32 v10, 0x80, v10
	s_and_not1_b32 exec_lo, exec_lo, s5
	s_cbranch_execnz .LBB114_3
.LBB114_4:
	s_or_b32 exec_lo, exec_lo, s4
	s_load_b256 s[4:11], s[0:1], 0x18
	v_mul_lo_u32 v2, v2, s3
	s_add_i32 s0, s20, 15
	s_mov_b32 s20, exec_lo
	s_ashr_i32 s1, s0, 31
	s_delay_alu instid0(SALU_CYCLE_1) | instskip(NEXT) | instid1(SALU_CYCLE_1)
	s_lshr_b32 s1, s1, 28
	s_add_i32 s0, s0, s1
	s_delay_alu instid0(VALU_DEP_1) | instskip(SKIP_1) | instid1(SALU_CYCLE_1)
	v_lshlrev_b32_e32 v10, 1, v2
	s_ashr_i32 s2, s0, 4
	v_cmpx_gt_i32_e64 s2, v7
	s_cbranch_execz .LBB114_7
; %bb.5:
	v_ashrrev_i32_e32 v2, 31, v1
	s_delay_alu instid0(VALU_DEP_1) | instskip(SKIP_1) | instid1(VALU_DEP_1)
	v_lshlrev_b64 v[2:3], 3, v[1:2]
	s_waitcnt lgkmcnt(0)
	v_add_co_u32 v2, s0, s10, v2
	s_delay_alu instid0(VALU_DEP_1)
	v_add_co_ci_u32_e64 v3, s0, s11, v3, s0
	s_ashr_i32 s0, s3, 31
	global_load_b64 v[2:3], v[2:3], off
	s_waitcnt vmcnt(0)
	v_mul_lo_u32 v11, v3, s3
	v_mul_lo_u32 v12, v2, s0
	v_mad_u64_u32 v[3:4], null, v2, s3, 0
	s_delay_alu instid0(VALU_DEP_1) | instskip(SKIP_1) | instid1(VALU_DEP_2)
	v_add3_u32 v4, v4, v12, v11
	v_mov_b32_e32 v11, v7
	v_lshlrev_b64 v[2:3], 1, v[3:4]
	v_lshlrev_b32_e32 v4, 4, v7
	s_delay_alu instid0(VALU_DEP_1) | instskip(NEXT) | instid1(VALU_DEP_1)
	v_add_co_u32 v2, s0, v2, v4
	v_add_co_ci_u32_e64 v3, s0, 0, v3, s0
	v_add3_u32 v4, v10, v4, 0
	s_delay_alu instid0(VALU_DEP_3) | instskip(NEXT) | instid1(VALU_DEP_1)
	v_add_co_u32 v2, s0, s8, v2
	v_add_co_ci_u32_e64 v3, s0, s9, v3, s0
	s_mov_b32 s8, 0
	.p2align	6
.LBB114_6:                              ; =>This Inner Loop Header: Depth=1
	global_load_b128 v[12:15], v[2:3], off
	v_add_nc_u32_e32 v11, 32, v11
	v_add_co_u32 v2, s0, 0x200, v2
	s_delay_alu instid0(VALU_DEP_1) | instskip(NEXT) | instid1(VALU_DEP_3)
	v_add_co_ci_u32_e64 v3, s0, 0, v3, s0
	v_cmp_le_i32_e64 s1, s2, v11
	s_delay_alu instid0(VALU_DEP_1)
	s_or_b32 s8, s1, s8
	s_waitcnt vmcnt(0)
	ds_store_b128 v4, v[12:15]
	v_add_nc_u32_e32 v4, 0x200, v4
	s_and_not1_b32 exec_lo, exec_lo, s8
	s_cbranch_execnz .LBB114_6
.LBB114_7:
	s_or_b32 exec_lo, exec_lo, s20
	s_delay_alu instid0(SALU_CYCLE_1)
	s_and_b32 exec_lo, exec_lo, vcc_lo
	s_cbranch_execz .LBB114_20
; %bb.8:
	s_waitcnt lgkmcnt(0)
	s_clause 0x1
	global_load_b32 v3, v9, s[4:5]
	global_load_b32 v4, v9, s[6:7]
	v_mbcnt_lo_u32_b32 v11, -1, 0
	s_lshr_b32 s0, s3, 31
	s_add_i32 s1, s18, s17
	s_lshl_b32 s2, s14, 3
	s_add_i32 s0, s3, s0
	v_xor_b32_e32 v13, 16, v11
	s_add_i32 s1, s1, s16
	s_ashr_i32 s3, s0, 1
	s_and_b32 s4, s0, -2
	s_sub_i32 s0, s1, s2
	v_lshlrev_b32_e32 v2, 1, v7
	v_xor_b32_e32 v14, 8, v11
	v_mul_lo_u32 v1, s0, v1
	v_cmp_gt_i32_e64 s0, 32, v13
	v_add_nc_u32_e32 v12, s15, v8
	v_xor_b32_e32 v15, 4, v11
	v_add3_u32 v8, 0, v10, v2
	v_xor_b32_e32 v16, 2, v11
	v_cndmask_b32_e64 v10, v11, v13, s0
	v_cmp_gt_i32_e64 s0, 32, v14
	v_add3_u32 v9, v12, v9, 0
	v_xor_b32_e32 v17, 1, v11
	v_lshl_add_u32 v0, v1, 6, v0
	v_cmp_le_i32_e32 vcc_lo, s3, v7
	v_cndmask_b32_e64 v12, v11, v14, s0
	v_cmp_gt_i32_e64 s0, 32, v15
	v_add_nc_u32_e32 v7, s4, v8
	v_lshlrev_b32_e32 v10, 2, v10
	v_or_b32_e32 v0, v0, v2
	s_mov_b32 s2, 0
	v_cndmask_b32_e64 v13, v11, v15, s0
	v_cmp_gt_i32_e64 s0, 32, v16
	s_mov_b32 s3, 0
	s_delay_alu instid0(VALU_DEP_1) | instskip(SKIP_1) | instid1(VALU_DEP_1)
	v_cndmask_b32_e64 v14, v11, v16, s0
	v_cmp_gt_i32_e64 s0, 32, v17
	v_cndmask_b32_e64 v15, v11, v17, s0
	v_lshlrev_b32_e32 v11, 2, v12
	v_lshlrev_b32_e32 v12, 2, v13
	;; [unrolled: 1-line block ×3, first 2 shown]
	s_delay_alu instid0(VALU_DEP_4)
	v_lshlrev_b32_e32 v14, 2, v15
	s_waitcnt vmcnt(1)
	v_lshrrev_b32_e32 v15, 16, v3
	s_waitcnt vmcnt(0)
	v_lshrrev_b32_e32 v16, 16, v4
	s_branch .LBB114_10
.LBB114_9:                              ;   in Loop: Header=BB114_10 Depth=1
	s_or_b32 exec_lo, exec_lo, s1
	v_ashrrev_i32_e32 v1, 31, v0
	v_lshrrev_b32_e32 v17, 16, v17
	s_add_i32 s3, s3, 1
	v_add_nc_u32_e32 v9, 0x80, v9
	v_cmp_ge_i32_e64 s0, s3, v6
	v_lshlrev_b64 v[1:2], 1, v[0:1]
	v_and_or_b32 v17, 0xffff0000, v18, v17
	v_add_nc_u32_e32 v0, 64, v0
	s_delay_alu instid0(VALU_DEP_4) | instskip(NEXT) | instid1(VALU_DEP_3)
	s_or_b32 s2, s0, s2
	v_add_co_u32 v1, s1, s12, v1
	s_delay_alu instid0(VALU_DEP_1)
	v_add_co_ci_u32_e64 v2, s1, s13, v2, s1
	global_store_b32 v[1:2], v17, off
	s_and_not1_b32 exec_lo, exec_lo, s2
	s_cbranch_execz .LBB114_20
.LBB114_10:                             ; =>This Inner Loop Header: Depth=1
	ds_load_b32 v1, v9
	s_waitcnt lgkmcnt(0)
	v_lshlrev_b32_e32 v17, 16, v1
	v_and_b32_e32 v1, 0xffff0000, v1
	s_delay_alu instid0(VALU_DEP_2) | instskip(NEXT) | instid1(VALU_DEP_1)
	v_mul_f32_e32 v2, v17, v17
	v_fmac_f32_e32 v2, v1, v1
	ds_bpermute_b32 v18, v10, v2
	s_waitcnt lgkmcnt(0)
	v_add_f32_e32 v2, v2, v18
	ds_bpermute_b32 v18, v11, v2
	s_waitcnt lgkmcnt(0)
	v_add_f32_e32 v2, v2, v18
	;; [unrolled: 3-line block ×5, first 2 shown]
	s_delay_alu instid0(VALU_DEP_1) | instskip(NEXT) | instid1(VALU_DEP_1)
	v_fma_f32 v2, 0x3c800000, v2, s19
	v_mul_f32_e32 v18, 0x4b800000, v2
	v_cmp_gt_f32_e64 s0, 0x800000, v2
	s_delay_alu instid0(VALU_DEP_1) | instskip(NEXT) | instid1(VALU_DEP_1)
	v_cndmask_b32_e64 v2, v2, v18, s0
	v_rsq_f32_e32 v2, v2
	s_waitcnt_depctr 0xfff
	v_dual_mul_f32 v19, 0x45800000, v2 :: v_dual_add_nc_u32 v18, s3, v5
	s_delay_alu instid0(VALU_DEP_1) | instskip(NEXT) | instid1(VALU_DEP_2)
	v_cmp_gt_i32_e64 s1, s16, v18
	v_cndmask_b32_e64 v2, v2, v19, s0
	s_delay_alu instid0(VALU_DEP_2) | instskip(SKIP_1) | instid1(VALU_DEP_2)
	v_cndmask_b32_e64 v18, v16, v15, s1
	v_cndmask_b32_e64 v20, v4, v3, s1
	v_lshlrev_b32_e32 v18, 16, v18
	s_delay_alu instid0(VALU_DEP_1) | instskip(NEXT) | instid1(VALU_DEP_1)
	v_dual_mul_f32 v18, v2, v18 :: v_dual_lshlrev_b32 v19, 16, v20
	v_mul_f32_e32 v19, v2, v19
	s_delay_alu instid0(VALU_DEP_2) | instskip(NEXT) | instid1(VALU_DEP_2)
	v_mul_f32_e32 v2, v18, v1
	v_mul_f32_e32 v1, v19, v17
	s_and_saveexec_b32 s0, vcc_lo
	s_delay_alu instid0(SALU_CYCLE_1) | instskip(NEXT) | instid1(SALU_CYCLE_1)
	s_xor_b32 s0, exec_lo, s0
	s_and_not1_saveexec_b32 s0, s0
	s_cbranch_execz .LBB114_12
; %bb.11:                               ;   in Loop: Header=BB114_10 Depth=1
	ds_load_u16 v18, v7
	ds_load_u16 v17, v8
	s_waitcnt lgkmcnt(1)
	v_cvt_f32_f16_e32 v19, v18
	s_waitcnt lgkmcnt(0)
	v_cvt_f32_f16_e32 v20, v17
	s_delay_alu instid0(VALU_DEP_2) | instskip(NEXT) | instid1(VALU_DEP_2)
	v_mul_f32_e32 v19, v2, v19
	v_mul_f32_e32 v2, v2, v20
	s_delay_alu instid0(VALU_DEP_2) | instskip(NEXT) | instid1(VALU_DEP_2)
	v_fma_mix_f32 v17, v1, v17, -v19 op_sel_hi:[0,1,0]
	v_fma_mix_f32 v18, v1, v18, v2 op_sel_hi:[0,1,0]
	s_delay_alu instid0(VALU_DEP_1)
	v_dual_mov_b32 v1, v17 :: v_dual_mov_b32 v2, v18
.LBB114_12:                             ;   in Loop: Header=BB114_10 Depth=1
	s_or_b32 exec_lo, exec_lo, s0
	s_delay_alu instid0(VALU_DEP_1) | instskip(NEXT) | instid1(VALU_DEP_1)
	v_and_b32_e32 v17, 0x7f800000, v1
	v_cmp_ne_u32_e64 s0, 0x7f800000, v17
                                        ; implicit-def: $vgpr17
	s_delay_alu instid0(VALU_DEP_1) | instskip(NEXT) | instid1(SALU_CYCLE_1)
	s_and_saveexec_b32 s1, s0
	s_xor_b32 s0, exec_lo, s1
; %bb.13:                               ;   in Loop: Header=BB114_10 Depth=1
	v_bfe_u32 v17, v1, 16, 1
	s_delay_alu instid0(VALU_DEP_1)
	v_add3_u32 v17, v1, v17, 0x7fff
; %bb.14:                               ;   in Loop: Header=BB114_10 Depth=1
	s_and_not1_saveexec_b32 s1, s0
; %bb.15:                               ;   in Loop: Header=BB114_10 Depth=1
	v_and_b32_e32 v17, 0xffff, v1
	v_or_b32_e32 v18, 0x10000, v1
	s_delay_alu instid0(VALU_DEP_2) | instskip(NEXT) | instid1(VALU_DEP_1)
	v_cmp_eq_u32_e64 s0, 0, v17
	v_cndmask_b32_e64 v17, v18, v1, s0
; %bb.16:                               ;   in Loop: Header=BB114_10 Depth=1
	s_or_b32 exec_lo, exec_lo, s1
	v_and_b32_e32 v1, 0x7f800000, v2
                                        ; implicit-def: $vgpr18
	s_delay_alu instid0(VALU_DEP_1) | instskip(NEXT) | instid1(VALU_DEP_1)
	v_cmp_ne_u32_e64 s0, 0x7f800000, v1
	s_and_saveexec_b32 s1, s0
	s_delay_alu instid0(SALU_CYCLE_1)
	s_xor_b32 s0, exec_lo, s1
; %bb.17:                               ;   in Loop: Header=BB114_10 Depth=1
	v_bfe_u32 v1, v2, 16, 1
	s_delay_alu instid0(VALU_DEP_1)
	v_add3_u32 v18, v2, v1, 0x7fff
                                        ; implicit-def: $vgpr1_vgpr2
; %bb.18:                               ;   in Loop: Header=BB114_10 Depth=1
	s_and_not1_saveexec_b32 s1, s0
	s_cbranch_execz .LBB114_9
; %bb.19:                               ;   in Loop: Header=BB114_10 Depth=1
	v_and_b32_e32 v1, 0xffff, v2
	v_or_b32_e32 v18, 0x10000, v2
	s_delay_alu instid0(VALU_DEP_2) | instskip(NEXT) | instid1(VALU_DEP_1)
	v_cmp_eq_u32_e64 s0, 0, v1
	v_cndmask_b32_e64 v18, v18, v2, s0
	s_branch .LBB114_9
.LBB114_20:
	s_nop 0
	s_sendmsg sendmsg(MSG_DEALLOC_VGPRS)
	s_endpgm
	.section	.rodata,"a",@progbits
	.p2align	6, 0x0
	.amdhsa_kernel _ZN12tensorrt_llm7kernels32fusedQKNormRopeKernelNTokenHeadsIN3c108BFloat16ENS2_4HalfELi64ELb1ELi8EEEvPviiifPKvS7_S7_PKlii
		.amdhsa_group_segment_fixed_size 0
		.amdhsa_private_segment_fixed_size 0
		.amdhsa_kernarg_size 320
		.amdhsa_user_sgpr_count 15
		.amdhsa_user_sgpr_dispatch_ptr 0
		.amdhsa_user_sgpr_queue_ptr 0
		.amdhsa_user_sgpr_kernarg_segment_ptr 1
		.amdhsa_user_sgpr_dispatch_id 0
		.amdhsa_user_sgpr_private_segment_size 0
		.amdhsa_wavefront_size32 1
		.amdhsa_uses_dynamic_stack 0
		.amdhsa_enable_private_segment 0
		.amdhsa_system_sgpr_workgroup_id_x 1
		.amdhsa_system_sgpr_workgroup_id_y 0
		.amdhsa_system_sgpr_workgroup_id_z 0
		.amdhsa_system_sgpr_workgroup_info 0
		.amdhsa_system_vgpr_workitem_id 0
		.amdhsa_next_free_vgpr 21
		.amdhsa_next_free_sgpr 21
		.amdhsa_reserve_vcc 1
		.amdhsa_float_round_mode_32 0
		.amdhsa_float_round_mode_16_64 0
		.amdhsa_float_denorm_mode_32 3
		.amdhsa_float_denorm_mode_16_64 3
		.amdhsa_dx10_clamp 1
		.amdhsa_ieee_mode 1
		.amdhsa_fp16_overflow 0
		.amdhsa_workgroup_processor_mode 1
		.amdhsa_memory_ordered 1
		.amdhsa_forward_progress 0
		.amdhsa_shared_vgpr_count 0
		.amdhsa_exception_fp_ieee_invalid_op 0
		.amdhsa_exception_fp_denorm_src 0
		.amdhsa_exception_fp_ieee_div_zero 0
		.amdhsa_exception_fp_ieee_overflow 0
		.amdhsa_exception_fp_ieee_underflow 0
		.amdhsa_exception_fp_ieee_inexact 0
		.amdhsa_exception_int_div_zero 0
	.end_amdhsa_kernel
	.section	.text._ZN12tensorrt_llm7kernels32fusedQKNormRopeKernelNTokenHeadsIN3c108BFloat16ENS2_4HalfELi64ELb1ELi8EEEvPviiifPKvS7_S7_PKlii,"axG",@progbits,_ZN12tensorrt_llm7kernels32fusedQKNormRopeKernelNTokenHeadsIN3c108BFloat16ENS2_4HalfELi64ELb1ELi8EEEvPviiifPKvS7_S7_PKlii,comdat
.Lfunc_end114:
	.size	_ZN12tensorrt_llm7kernels32fusedQKNormRopeKernelNTokenHeadsIN3c108BFloat16ENS2_4HalfELi64ELb1ELi8EEEvPviiifPKvS7_S7_PKlii, .Lfunc_end114-_ZN12tensorrt_llm7kernels32fusedQKNormRopeKernelNTokenHeadsIN3c108BFloat16ENS2_4HalfELi64ELb1ELi8EEEvPviiifPKvS7_S7_PKlii
                                        ; -- End function
	.section	.AMDGPU.csdata,"",@progbits
; Kernel info:
; codeLenInByte = 1800
; NumSgprs: 23
; NumVgprs: 21
; ScratchSize: 0
; MemoryBound: 0
; FloatMode: 240
; IeeeMode: 1
; LDSByteSize: 0 bytes/workgroup (compile time only)
; SGPRBlocks: 2
; VGPRBlocks: 2
; NumSGPRsForWavesPerEU: 23
; NumVGPRsForWavesPerEU: 21
; Occupancy: 16
; WaveLimiterHint : 0
; COMPUTE_PGM_RSRC2:SCRATCH_EN: 0
; COMPUTE_PGM_RSRC2:USER_SGPR: 15
; COMPUTE_PGM_RSRC2:TRAP_HANDLER: 0
; COMPUTE_PGM_RSRC2:TGID_X_EN: 1
; COMPUTE_PGM_RSRC2:TGID_Y_EN: 0
; COMPUTE_PGM_RSRC2:TGID_Z_EN: 0
; COMPUTE_PGM_RSRC2:TIDIG_COMP_CNT: 0
	.section	.text._ZN12tensorrt_llm7kernels32fusedQKNormRopeKernelNTokenHeadsIN3c108BFloat16ENS2_4HalfELi64ELb0ELi8EEEvPviiifPKvS7_S7_PKlii,"axG",@progbits,_ZN12tensorrt_llm7kernels32fusedQKNormRopeKernelNTokenHeadsIN3c108BFloat16ENS2_4HalfELi64ELb0ELi8EEEvPviiifPKvS7_S7_PKlii,comdat
	.protected	_ZN12tensorrt_llm7kernels32fusedQKNormRopeKernelNTokenHeadsIN3c108BFloat16ENS2_4HalfELi64ELb0ELi8EEEvPviiifPKvS7_S7_PKlii ; -- Begin function _ZN12tensorrt_llm7kernels32fusedQKNormRopeKernelNTokenHeadsIN3c108BFloat16ENS2_4HalfELi64ELb0ELi8EEEvPviiifPKvS7_S7_PKlii
	.globl	_ZN12tensorrt_llm7kernels32fusedQKNormRopeKernelNTokenHeadsIN3c108BFloat16ENS2_4HalfELi64ELb0ELi8EEEvPviiifPKvS7_S7_PKlii
	.p2align	8
	.type	_ZN12tensorrt_llm7kernels32fusedQKNormRopeKernelNTokenHeadsIN3c108BFloat16ENS2_4HalfELi64ELb0ELi8EEEvPviiifPKvS7_S7_PKlii,@function
_ZN12tensorrt_llm7kernels32fusedQKNormRopeKernelNTokenHeadsIN3c108BFloat16ENS2_4HalfELi64ELb0ELi8EEEvPviiifPKvS7_S7_PKlii: ; @_ZN12tensorrt_llm7kernels32fusedQKNormRopeKernelNTokenHeadsIN3c108BFloat16ENS2_4HalfELi64ELb0ELi8EEEvPviiifPKvS7_S7_PKlii
; %bb.0:
	s_clause 0x1
	s_load_b128 s[16:19], s[0:1], 0x8
	s_load_b64 s[2:3], s[0:1], 0x38
	v_lshrrev_b32_e32 v2, 5, v0
	s_waitcnt lgkmcnt(0)
	s_add_i32 s4, s17, s16
	s_delay_alu instid0(SALU_CYCLE_1) | instskip(NEXT) | instid1(SALU_CYCLE_1)
	s_add_i32 s5, s4, 7
	s_ashr_i32 s6, s5, 31
	s_delay_alu instid0(SALU_CYCLE_1) | instskip(NEXT) | instid1(SALU_CYCLE_1)
	s_lshr_b32 s6, s6, 29
	s_add_i32 s5, s5, s6
	s_delay_alu instid0(SALU_CYCLE_1) | instskip(SKIP_2) | instid1(SALU_CYCLE_1)
	s_ashr_i32 s14, s5, 3
	s_load_b32 s5, s[0:1], 0x4c
	s_abs_i32 s6, s14
	v_cvt_f32_u32_e32 v1, s6
	s_sub_i32 s7, 0, s6
	s_delay_alu instid0(VALU_DEP_1) | instskip(SKIP_4) | instid1(SALU_CYCLE_1)
	v_rcp_iflag_f32_e32 v1, v1
	s_waitcnt_depctr 0xfff
	v_mul_f32_e32 v1, 0x4f7ffffe, v1
	s_waitcnt lgkmcnt(0)
	s_bfe_u32 s5, s5, 0xb0005
	v_mad_u64_u32 v[3:4], null, s15, s5, v[2:3]
	s_delay_alu instid0(VALU_DEP_2) | instskip(NEXT) | instid1(VALU_DEP_1)
	v_cvt_u32_f32_e32 v1, v1
	v_mul_lo_u32 v5, s7, v1
	s_delay_alu instid0(VALU_DEP_1) | instskip(NEXT) | instid1(VALU_DEP_4)
	v_mul_hi_u32 v4, v1, v5
	v_sub_nc_u32_e32 v5, 0, v3
	s_delay_alu instid0(VALU_DEP_1) | instskip(NEXT) | instid1(VALU_DEP_3)
	v_max_i32_e32 v5, v3, v5
	v_add_nc_u32_e32 v1, v1, v4
	s_delay_alu instid0(VALU_DEP_1) | instskip(NEXT) | instid1(VALU_DEP_1)
	v_mul_hi_u32 v1, v5, v1
	v_mul_lo_u32 v4, v1, s6
	s_delay_alu instid0(VALU_DEP_1) | instskip(SKIP_1) | instid1(VALU_DEP_2)
	v_sub_nc_u32_e32 v4, v5, v4
	v_add_nc_u32_e32 v5, 1, v1
	v_subrev_nc_u32_e32 v6, s6, v4
	v_cmp_le_u32_e32 vcc_lo, s6, v4
	s_delay_alu instid0(VALU_DEP_2) | instskip(SKIP_1) | instid1(VALU_DEP_2)
	v_dual_cndmask_b32 v4, v4, v6 :: v_dual_cndmask_b32 v1, v1, v5
	v_xor_b32_e32 v5, s14, v3
	v_cmp_le_u32_e32 vcc_lo, s6, v4
	s_delay_alu instid0(VALU_DEP_3) | instskip(NEXT) | instid1(VALU_DEP_3)
	v_add_nc_u32_e32 v6, 1, v1
	v_ashrrev_i32_e32 v5, 31, v5
	s_delay_alu instid0(VALU_DEP_2) | instskip(NEXT) | instid1(VALU_DEP_1)
	v_cndmask_b32_e32 v1, v1, v6, vcc_lo
	v_xor_b32_e32 v1, v1, v5
	s_delay_alu instid0(VALU_DEP_1) | instskip(NEXT) | instid1(VALU_DEP_1)
	v_sub_nc_u32_e32 v1, v1, v5
	v_cmp_gt_i32_e32 vcc_lo, s2, v1
	s_and_saveexec_b32 s2, vcc_lo
	s_cbranch_execz .LBB115_20
; %bb.1:
	v_mul_lo_u32 v4, v1, s14
	s_load_b64 s[12:13], s[0:1], 0x0
	v_and_b32_e32 v0, 31, v0
	v_lshlrev_b32_e32 v9, 10, v2
	v_lshlrev_b32_e32 v8, 9, v3
	s_lshl_b32 s20, s3, 1
	s_delay_alu instid0(VALU_DEP_3) | instskip(SKIP_2) | instid1(VALU_DEP_1)
	v_lshlrev_b32_e32 v7, 2, v0
	v_sub_nc_u32_e32 v4, v3, v4
	s_mul_i32 s15, s20, s5
	v_lshlrev_b32_e32 v5, 3, v4
	s_delay_alu instid0(VALU_DEP_1) | instskip(SKIP_1) | instid1(VALU_DEP_2)
	v_add_nc_u32_e32 v4, 8, v5
	v_sub_nc_u32_e32 v6, s4, v5
	v_cmp_lt_i32_e32 vcc_lo, s4, v4
	s_delay_alu instid0(VALU_DEP_2) | instskip(NEXT) | instid1(VALU_DEP_1)
	v_cndmask_b32_e32 v6, 8, v6, vcc_lo
	v_cmp_lt_i32_e32 vcc_lo, 0, v6
	s_and_saveexec_b32 s4, vcc_lo
	s_cbranch_execz .LBB115_4
; %bb.2:
	s_add_i32 s2, s18, s17
	s_lshl_b32 s5, s14, 3
	s_add_i32 s2, s2, s16
	s_mov_b32 s6, 0
	s_sub_i32 s2, s2, s5
	s_mov_b32 s5, 0
	v_mul_lo_u32 v3, s2, v1
	s_add_i32 s2, s15, 0
	s_delay_alu instid0(SALU_CYCLE_1) | instskip(NEXT) | instid1(VALU_DEP_2)
	v_add3_u32 v10, s2, v9, v7
	v_lshl_add_u32 v3, v3, 6, v8
	s_delay_alu instid0(VALU_DEP_1)
	v_lshl_or_b32 v3, v0, 1, v3
	.p2align	6
.LBB115_3:                              ; =>This Inner Loop Header: Depth=1
	s_delay_alu instid0(VALU_DEP_1) | instskip(SKIP_1) | instid1(VALU_DEP_1)
	v_ashrrev_i32_e32 v4, 31, v3
	s_add_i32 s6, s6, 1
	v_lshlrev_b64 v[11:12], 1, v[3:4]
	v_add_nc_u32_e32 v3, 64, v3
	s_waitcnt lgkmcnt(0)
	s_delay_alu instid0(VALU_DEP_2) | instskip(NEXT) | instid1(VALU_DEP_1)
	v_add_co_u32 v11, s2, s12, v11
	v_add_co_ci_u32_e64 v12, s2, s13, v12, s2
	v_cmp_ge_i32_e64 s2, s6, v6
	global_load_b32 v4, v[11:12], off
	s_or_b32 s5, s2, s5
	s_waitcnt vmcnt(0)
	ds_store_b32 v10, v4
	v_add_nc_u32_e32 v10, 0x80, v10
	s_and_not1_b32 exec_lo, exec_lo, s5
	s_cbranch_execnz .LBB115_3
.LBB115_4:
	s_or_b32 exec_lo, exec_lo, s4
	s_load_b256 s[4:11], s[0:1], 0x18
	s_add_i32 s0, s20, 15
	v_mul_lo_u32 v10, v2, s3
	s_ashr_i32 s1, s0, 31
	s_mov_b32 s20, exec_lo
	s_lshr_b32 s1, s1, 28
	s_delay_alu instid0(SALU_CYCLE_1) | instskip(NEXT) | instid1(SALU_CYCLE_1)
	s_add_i32 s0, s0, s1
	s_ashr_i32 s2, s0, 4
	s_delay_alu instid0(SALU_CYCLE_1)
	v_cmpx_gt_i32_e64 s2, v0
	s_cbranch_execz .LBB115_7
; %bb.5:
	v_ashrrev_i32_e32 v2, 31, v1
	s_delay_alu instid0(VALU_DEP_1) | instskip(SKIP_1) | instid1(VALU_DEP_1)
	v_lshlrev_b64 v[2:3], 3, v[1:2]
	s_waitcnt lgkmcnt(0)
	v_add_co_u32 v2, s0, s10, v2
	s_delay_alu instid0(VALU_DEP_1)
	v_add_co_ci_u32_e64 v3, s0, s11, v3, s0
	s_ashr_i32 s0, s3, 31
	global_load_b64 v[2:3], v[2:3], off
	s_waitcnt vmcnt(0)
	v_mul_lo_u32 v11, v3, s3
	v_mul_lo_u32 v12, v2, s0
	v_mad_u64_u32 v[3:4], null, v2, s3, 0
	s_delay_alu instid0(VALU_DEP_1) | instskip(SKIP_1) | instid1(VALU_DEP_2)
	v_add3_u32 v4, v4, v12, v11
	v_lshlrev_b32_e32 v11, 1, v10
	v_lshlrev_b64 v[2:3], 1, v[3:4]
	v_lshlrev_b32_e32 v4, 4, v0
	s_delay_alu instid0(VALU_DEP_1) | instskip(NEXT) | instid1(VALU_DEP_1)
	v_add_co_u32 v2, s0, v2, v4
	v_add_co_ci_u32_e64 v3, s0, 0, v3, s0
	v_add3_u32 v4, v11, v4, 0
	v_mov_b32_e32 v11, v0
	s_delay_alu instid0(VALU_DEP_4) | instskip(NEXT) | instid1(VALU_DEP_1)
	v_add_co_u32 v2, s0, s8, v2
	v_add_co_ci_u32_e64 v3, s0, s9, v3, s0
	s_mov_b32 s8, 0
	.p2align	6
.LBB115_6:                              ; =>This Inner Loop Header: Depth=1
	global_load_b128 v[12:15], v[2:3], off
	v_add_nc_u32_e32 v11, 32, v11
	v_add_co_u32 v2, s0, 0x200, v2
	s_delay_alu instid0(VALU_DEP_1) | instskip(NEXT) | instid1(VALU_DEP_3)
	v_add_co_ci_u32_e64 v3, s0, 0, v3, s0
	v_cmp_le_i32_e64 s1, s2, v11
	s_delay_alu instid0(VALU_DEP_1)
	s_or_b32 s8, s1, s8
	s_waitcnt vmcnt(0)
	ds_store_b128 v4, v[12:15]
	v_add_nc_u32_e32 v4, 0x200, v4
	s_and_not1_b32 exec_lo, exec_lo, s8
	s_cbranch_execnz .LBB115_6
.LBB115_7:
	s_or_b32 exec_lo, exec_lo, s20
	s_delay_alu instid0(SALU_CYCLE_1)
	s_and_b32 exec_lo, exec_lo, vcc_lo
	s_cbranch_execz .LBB115_20
; %bb.8:
	s_waitcnt lgkmcnt(0)
	s_clause 0x1
	global_load_b32 v3, v7, s[4:5]
	global_load_b32 v4, v7, s[6:7]
	s_abs_i32 s2, s3
	v_lshl_add_u32 v16, v10, 1, 0
	v_cvt_f32_u32_e32 v2, s2
	s_sub_i32 s0, 0, s2
	v_mbcnt_lo_u32_b32 v10, -1, 0
	v_or_b32_e32 v12, 2, v7
	s_add_i32 s1, s18, s17
	v_rcp_iflag_f32_e32 v2, v2
	v_add_nc_u32_e32 v20, s15, v9
	v_xor_b32_e32 v9, 16, v10
	s_lshl_b32 s4, s14, 3
	s_add_i32 s1, s1, s16
	v_xor_b32_e32 v13, 4, v10
	s_sub_i32 s1, s1, s4
	v_xor_b32_e32 v15, 2, v10
	v_mul_lo_u32 v1, s1, v1
	v_cmp_gt_i32_e64 s1, 32, v9
	v_mul_f32_e32 v2, 0x4f7ffffe, v2
	v_xor_b32_e32 v17, 1, v10
	s_mov_b32 s4, 0
	s_delay_alu instid0(VALU_DEP_3) | instskip(NEXT) | instid1(VALU_DEP_3)
	v_cndmask_b32_e64 v9, v10, v9, s1
	v_cvt_u32_f32_e32 v2, v2
	v_lshl_add_u32 v1, v1, 6, v8
	s_delay_alu instid0(VALU_DEP_3) | instskip(NEXT) | instid1(VALU_DEP_3)
	v_lshlrev_b32_e32 v8, 2, v9
	v_mul_lo_u32 v11, s0, v2
	s_lshr_b32 s0, s3, 31
	s_delay_alu instid0(SALU_CYCLE_1) | instskip(NEXT) | instid1(SALU_CYCLE_1)
	s_add_i32 s0, s3, s0
	s_ashr_i32 s3, s0, 1
	s_and_b32 s0, s0, -2
	v_cmp_gt_i32_e32 vcc_lo, s3, v0
	s_delay_alu instid0(VALU_DEP_2)
	v_mul_hi_u32 v11, v2, v11
	v_add_nc_u32_e32 v18, s0, v16
	s_lshr_b32 s0, s3, 1
	s_mov_b32 s3, 0
	v_xor_b32_e32 v19, s0, v10
	v_cmp_gt_u32_e64 s0, s0, v0
	v_lshl_or_b32 v0, v0, 1, v1
	v_add_nc_u32_e32 v2, v2, v11
	v_xor_b32_e32 v11, 8, v10
	s_delay_alu instid0(VALU_DEP_2) | instskip(SKIP_1) | instid1(VALU_DEP_3)
	v_mul_hi_u32 v14, v7, v2
	v_mul_hi_u32 v2, v12, v2
	v_cmp_gt_i32_e64 s1, 32, v11
	s_delay_alu instid0(VALU_DEP_1) | instskip(SKIP_1) | instid1(VALU_DEP_4)
	v_cndmask_b32_e64 v11, v10, v11, s1
	v_cmp_gt_i32_e64 s1, 32, v13
	v_mul_lo_u32 v2, v2, s2
	v_mul_lo_u32 v14, v14, s2
	s_delay_alu instid0(VALU_DEP_4) | instskip(NEXT) | instid1(VALU_DEP_3)
	v_lshlrev_b32_e32 v9, 2, v11
	v_sub_nc_u32_e32 v2, v12, v2
	v_cndmask_b32_e64 v12, v10, v13, s1
	v_cmp_gt_i32_e64 s1, 32, v15
	v_sub_nc_u32_e32 v14, v7, v14
	v_add3_u32 v7, v20, v7, 0
	v_subrev_nc_u32_e32 v21, s2, v2
	s_delay_alu instid0(VALU_DEP_4) | instskip(SKIP_2) | instid1(VALU_DEP_3)
	v_cndmask_b32_e64 v13, v10, v15, s1
	v_cmp_gt_i32_e64 s1, 32, v17
	v_subrev_nc_u32_e32 v15, s2, v14
	v_lshlrev_b32_e32 v11, 2, v13
	s_delay_alu instid0(VALU_DEP_3) | instskip(SKIP_1) | instid1(VALU_DEP_1)
	v_cndmask_b32_e64 v17, v10, v17, s1
	v_cmp_le_u32_e64 s1, s2, v14
	v_cndmask_b32_e64 v14, v14, v15, s1
	v_cmp_le_u32_e64 s1, s2, v2
	s_delay_alu instid0(VALU_DEP_1) | instskip(SKIP_1) | instid1(VALU_DEP_1)
	v_cndmask_b32_e64 v2, v2, v21, s1
	v_cmp_gt_i32_e64 s1, 32, v19
	v_cndmask_b32_e64 v15, v10, v19, s1
	v_subrev_nc_u32_e32 v10, s2, v14
	v_cmp_le_u32_e64 s1, s2, v14
	v_subrev_nc_u32_e32 v19, s2, v2
	s_delay_alu instid0(VALU_DEP_4) | instskip(NEXT) | instid1(VALU_DEP_3)
	v_lshlrev_b32_e32 v13, 2, v15
	v_cndmask_b32_e64 v14, v14, v10, s1
	v_cmp_le_u32_e64 s1, s2, v2
	v_lshlrev_b32_e32 v10, 2, v12
	v_lshlrev_b32_e32 v12, 2, v17
	s_delay_alu instid0(VALU_DEP_3) | instskip(SKIP_1) | instid1(VALU_DEP_2)
	v_cndmask_b32_e64 v2, v2, v19, s1
	v_and_b32_e32 v19, -2, v14
	v_and_b32_e32 v2, -2, v2
	s_delay_alu instid0(VALU_DEP_2) | instskip(SKIP_1) | instid1(VALU_DEP_3)
	v_add_nc_u32_e32 v14, v16, v19
	v_add_nc_u32_e32 v15, v18, v19
	;; [unrolled: 1-line block ×4, first 2 shown]
	s_waitcnt vmcnt(1)
	v_lshrrev_b32_e32 v18, 16, v3
	s_waitcnt vmcnt(0)
	v_lshrrev_b32_e32 v19, 16, v4
	s_branch .LBB115_10
.LBB115_9:                              ;   in Loop: Header=BB115_10 Depth=1
	s_or_b32 exec_lo, exec_lo, s2
	v_ashrrev_i32_e32 v1, 31, v0
	v_lshrrev_b32_e32 v20, 16, v20
	s_add_i32 s4, s4, 1
	v_add_nc_u32_e32 v7, 0x80, v7
	v_cmp_ge_i32_e64 s1, s4, v6
	v_lshlrev_b64 v[1:2], 1, v[0:1]
	v_and_or_b32 v20, 0xffff0000, v21, v20
	v_add_nc_u32_e32 v0, 64, v0
	s_delay_alu instid0(VALU_DEP_4) | instskip(NEXT) | instid1(VALU_DEP_3)
	s_or_b32 s3, s1, s3
	v_add_co_u32 v1, s2, s12, v1
	s_delay_alu instid0(VALU_DEP_1)
	v_add_co_ci_u32_e64 v2, s2, s13, v2, s2
	global_store_b32 v[1:2], v20, off
	s_and_not1_b32 exec_lo, exec_lo, s3
	s_cbranch_execz .LBB115_20
.LBB115_10:                             ; =>This Inner Loop Header: Depth=1
	ds_load_b32 v1, v7
	s_waitcnt lgkmcnt(0)
	v_and_b32_e32 v20, 0xffff0000, v1
	v_lshlrev_b32_e32 v2, 16, v1
	s_delay_alu instid0(VALU_DEP_1) | instskip(NEXT) | instid1(VALU_DEP_1)
	v_mul_f32_e32 v1, v2, v2
	v_fmac_f32_e32 v1, v20, v20
	ds_bpermute_b32 v21, v8, v1
	s_waitcnt lgkmcnt(0)
	v_add_f32_e32 v1, v1, v21
	ds_bpermute_b32 v21, v9, v1
	s_waitcnt lgkmcnt(0)
	v_add_f32_e32 v1, v1, v21
	;; [unrolled: 3-line block ×5, first 2 shown]
	s_delay_alu instid0(VALU_DEP_1) | instskip(NEXT) | instid1(VALU_DEP_1)
	v_fma_f32 v1, 0x3c800000, v1, s19
	v_mul_f32_e32 v21, 0x4b800000, v1
	v_cmp_gt_f32_e64 s1, 0x800000, v1
	s_delay_alu instid0(VALU_DEP_1) | instskip(SKIP_1) | instid1(VALU_DEP_2)
	v_cndmask_b32_e64 v1, v1, v21, s1
	v_add_nc_u32_e32 v21, s4, v5
	v_rsq_f32_e32 v1, v1
	s_delay_alu instid0(VALU_DEP_1) | instskip(NEXT) | instid1(VALU_DEP_1)
	v_cmp_gt_i32_e64 s2, s16, v21
	v_cndmask_b32_e64 v21, v4, v3, s2
	v_cndmask_b32_e64 v23, v19, v18, s2
	s_waitcnt_depctr 0xfff
	v_mul_f32_e32 v22, 0x45800000, v1
	v_lshlrev_b32_e32 v21, 16, v21
	s_delay_alu instid0(VALU_DEP_2) | instskip(NEXT) | instid1(VALU_DEP_1)
	v_cndmask_b32_e64 v1, v1, v22, s1
	v_dual_mul_f32 v21, v1, v21 :: v_dual_lshlrev_b32 v22, 16, v23
	s_delay_alu instid0(VALU_DEP_1) | instskip(NEXT) | instid1(VALU_DEP_1)
	v_mul_f32_e32 v22, v1, v22
	v_dual_mul_f32 v1, v21, v2 :: v_dual_mul_f32 v2, v22, v20
	s_and_saveexec_b32 s1, vcc_lo
	s_cbranch_execz .LBB115_12
; %bb.11:                               ;   in Loop: Header=BB115_10 Depth=1
	; wave barrier
	ds_bpermute_b32 v20, v13, v1
	ds_load_u16 v21, v15
	ds_bpermute_b32 v22, v13, v2
	ds_load_u16 v23, v17
	ds_load_u16 v24, v14
	;; [unrolled: 1-line block ×3, first 2 shown]
	; wave barrier
	s_waitcnt lgkmcnt(5)
	v_cndmask_b32_e64 v20, v20, -v20, s0
	s_waitcnt lgkmcnt(4)
	v_cvt_f32_f16_e32 v21, v21
	s_waitcnt lgkmcnt(3)
	v_cndmask_b32_e64 v22, v22, -v22, s0
	s_waitcnt lgkmcnt(2)
	v_cvt_f32_f16_e32 v23, v23
	s_delay_alu instid0(VALU_DEP_1) | instskip(SKIP_1) | instid1(VALU_DEP_1)
	v_dual_mul_f32 v20, v20, v21 :: v_dual_mul_f32 v21, v22, v23
	s_waitcnt lgkmcnt(1)
	v_fma_mix_f32 v1, v1, v24, v20 op_sel_hi:[0,1,0]
	s_waitcnt lgkmcnt(0)
	s_delay_alu instid0(VALU_DEP_2)
	v_fma_mix_f32 v2, v2, v25, v21 op_sel_hi:[0,1,0]
.LBB115_12:                             ;   in Loop: Header=BB115_10 Depth=1
	s_or_b32 exec_lo, exec_lo, s1
	s_delay_alu instid0(VALU_DEP_1) | instskip(NEXT) | instid1(VALU_DEP_1)
	v_and_b32_e32 v20, 0x7f800000, v1
	v_cmp_ne_u32_e64 s1, 0x7f800000, v20
                                        ; implicit-def: $vgpr20
	s_delay_alu instid0(VALU_DEP_1) | instskip(NEXT) | instid1(SALU_CYCLE_1)
	s_and_saveexec_b32 s2, s1
	s_xor_b32 s1, exec_lo, s2
; %bb.13:                               ;   in Loop: Header=BB115_10 Depth=1
	v_bfe_u32 v20, v1, 16, 1
	s_delay_alu instid0(VALU_DEP_1)
	v_add3_u32 v20, v1, v20, 0x7fff
; %bb.14:                               ;   in Loop: Header=BB115_10 Depth=1
	s_and_not1_saveexec_b32 s2, s1
; %bb.15:                               ;   in Loop: Header=BB115_10 Depth=1
	v_and_b32_e32 v20, 0xffff, v1
	v_or_b32_e32 v21, 0x10000, v1
	s_delay_alu instid0(VALU_DEP_2) | instskip(NEXT) | instid1(VALU_DEP_1)
	v_cmp_eq_u32_e64 s1, 0, v20
	v_cndmask_b32_e64 v20, v21, v1, s1
; %bb.16:                               ;   in Loop: Header=BB115_10 Depth=1
	s_or_b32 exec_lo, exec_lo, s2
	v_and_b32_e32 v1, 0x7f800000, v2
                                        ; implicit-def: $vgpr21
	s_delay_alu instid0(VALU_DEP_1) | instskip(NEXT) | instid1(VALU_DEP_1)
	v_cmp_ne_u32_e64 s1, 0x7f800000, v1
	s_and_saveexec_b32 s2, s1
	s_delay_alu instid0(SALU_CYCLE_1)
	s_xor_b32 s1, exec_lo, s2
; %bb.17:                               ;   in Loop: Header=BB115_10 Depth=1
	v_bfe_u32 v1, v2, 16, 1
	s_delay_alu instid0(VALU_DEP_1)
	v_add3_u32 v21, v2, v1, 0x7fff
                                        ; implicit-def: $vgpr1_vgpr2
; %bb.18:                               ;   in Loop: Header=BB115_10 Depth=1
	s_and_not1_saveexec_b32 s2, s1
	s_cbranch_execz .LBB115_9
; %bb.19:                               ;   in Loop: Header=BB115_10 Depth=1
	v_and_b32_e32 v1, 0xffff, v2
	v_or_b32_e32 v21, 0x10000, v2
	s_delay_alu instid0(VALU_DEP_2) | instskip(NEXT) | instid1(VALU_DEP_1)
	v_cmp_eq_u32_e64 s1, 0, v1
	v_cndmask_b32_e64 v21, v21, v2, s1
	s_branch .LBB115_9
.LBB115_20:
	s_nop 0
	s_sendmsg sendmsg(MSG_DEALLOC_VGPRS)
	s_endpgm
	.section	.rodata,"a",@progbits
	.p2align	6, 0x0
	.amdhsa_kernel _ZN12tensorrt_llm7kernels32fusedQKNormRopeKernelNTokenHeadsIN3c108BFloat16ENS2_4HalfELi64ELb0ELi8EEEvPviiifPKvS7_S7_PKlii
		.amdhsa_group_segment_fixed_size 0
		.amdhsa_private_segment_fixed_size 0
		.amdhsa_kernarg_size 320
		.amdhsa_user_sgpr_count 15
		.amdhsa_user_sgpr_dispatch_ptr 0
		.amdhsa_user_sgpr_queue_ptr 0
		.amdhsa_user_sgpr_kernarg_segment_ptr 1
		.amdhsa_user_sgpr_dispatch_id 0
		.amdhsa_user_sgpr_private_segment_size 0
		.amdhsa_wavefront_size32 1
		.amdhsa_uses_dynamic_stack 0
		.amdhsa_enable_private_segment 0
		.amdhsa_system_sgpr_workgroup_id_x 1
		.amdhsa_system_sgpr_workgroup_id_y 0
		.amdhsa_system_sgpr_workgroup_id_z 0
		.amdhsa_system_sgpr_workgroup_info 0
		.amdhsa_system_vgpr_workitem_id 0
		.amdhsa_next_free_vgpr 26
		.amdhsa_next_free_sgpr 21
		.amdhsa_reserve_vcc 1
		.amdhsa_float_round_mode_32 0
		.amdhsa_float_round_mode_16_64 0
		.amdhsa_float_denorm_mode_32 3
		.amdhsa_float_denorm_mode_16_64 3
		.amdhsa_dx10_clamp 1
		.amdhsa_ieee_mode 1
		.amdhsa_fp16_overflow 0
		.amdhsa_workgroup_processor_mode 1
		.amdhsa_memory_ordered 1
		.amdhsa_forward_progress 0
		.amdhsa_shared_vgpr_count 0
		.amdhsa_exception_fp_ieee_invalid_op 0
		.amdhsa_exception_fp_denorm_src 0
		.amdhsa_exception_fp_ieee_div_zero 0
		.amdhsa_exception_fp_ieee_overflow 0
		.amdhsa_exception_fp_ieee_underflow 0
		.amdhsa_exception_fp_ieee_inexact 0
		.amdhsa_exception_int_div_zero 0
	.end_amdhsa_kernel
	.section	.text._ZN12tensorrt_llm7kernels32fusedQKNormRopeKernelNTokenHeadsIN3c108BFloat16ENS2_4HalfELi64ELb0ELi8EEEvPviiifPKvS7_S7_PKlii,"axG",@progbits,_ZN12tensorrt_llm7kernels32fusedQKNormRopeKernelNTokenHeadsIN3c108BFloat16ENS2_4HalfELi64ELb0ELi8EEEvPviiifPKvS7_S7_PKlii,comdat
.Lfunc_end115:
	.size	_ZN12tensorrt_llm7kernels32fusedQKNormRopeKernelNTokenHeadsIN3c108BFloat16ENS2_4HalfELi64ELb0ELi8EEEvPviiifPKvS7_S7_PKlii, .Lfunc_end115-_ZN12tensorrt_llm7kernels32fusedQKNormRopeKernelNTokenHeadsIN3c108BFloat16ENS2_4HalfELi64ELb0ELi8EEEvPviiifPKvS7_S7_PKlii
                                        ; -- End function
	.section	.AMDGPU.csdata,"",@progbits
; Kernel info:
; codeLenInByte = 2112
; NumSgprs: 23
; NumVgprs: 26
; ScratchSize: 0
; MemoryBound: 0
; FloatMode: 240
; IeeeMode: 1
; LDSByteSize: 0 bytes/workgroup (compile time only)
; SGPRBlocks: 2
; VGPRBlocks: 3
; NumSGPRsForWavesPerEU: 23
; NumVGPRsForWavesPerEU: 26
; Occupancy: 16
; WaveLimiterHint : 0
; COMPUTE_PGM_RSRC2:SCRATCH_EN: 0
; COMPUTE_PGM_RSRC2:USER_SGPR: 15
; COMPUTE_PGM_RSRC2:TRAP_HANDLER: 0
; COMPUTE_PGM_RSRC2:TGID_X_EN: 1
; COMPUTE_PGM_RSRC2:TGID_Y_EN: 0
; COMPUTE_PGM_RSRC2:TGID_Z_EN: 0
; COMPUTE_PGM_RSRC2:TIDIG_COMP_CNT: 0
	.section	.text._ZN12tensorrt_llm7kernels32fusedQKNormRopeKernelNTokenHeadsIN3c108BFloat16ENS2_4HalfELi128ELb1ELi8EEEvPviiifPKvS7_S7_PKlii,"axG",@progbits,_ZN12tensorrt_llm7kernels32fusedQKNormRopeKernelNTokenHeadsIN3c108BFloat16ENS2_4HalfELi128ELb1ELi8EEEvPviiifPKvS7_S7_PKlii,comdat
	.protected	_ZN12tensorrt_llm7kernels32fusedQKNormRopeKernelNTokenHeadsIN3c108BFloat16ENS2_4HalfELi128ELb1ELi8EEEvPviiifPKvS7_S7_PKlii ; -- Begin function _ZN12tensorrt_llm7kernels32fusedQKNormRopeKernelNTokenHeadsIN3c108BFloat16ENS2_4HalfELi128ELb1ELi8EEEvPviiifPKvS7_S7_PKlii
	.globl	_ZN12tensorrt_llm7kernels32fusedQKNormRopeKernelNTokenHeadsIN3c108BFloat16ENS2_4HalfELi128ELb1ELi8EEEvPviiifPKvS7_S7_PKlii
	.p2align	8
	.type	_ZN12tensorrt_llm7kernels32fusedQKNormRopeKernelNTokenHeadsIN3c108BFloat16ENS2_4HalfELi128ELb1ELi8EEEvPviiifPKvS7_S7_PKlii,@function
_ZN12tensorrt_llm7kernels32fusedQKNormRopeKernelNTokenHeadsIN3c108BFloat16ENS2_4HalfELi128ELb1ELi8EEEvPviiifPKvS7_S7_PKlii: ; @_ZN12tensorrt_llm7kernels32fusedQKNormRopeKernelNTokenHeadsIN3c108BFloat16ENS2_4HalfELi128ELb1ELi8EEEvPviiifPKvS7_S7_PKlii
; %bb.0:
	s_clause 0x1
	s_load_b128 s[16:19], s[0:1], 0x8
	s_load_b64 s[2:3], s[0:1], 0x38
	v_lshrrev_b32_e32 v2, 5, v0
	s_waitcnt lgkmcnt(0)
	s_add_i32 s4, s17, s16
	s_delay_alu instid0(SALU_CYCLE_1) | instskip(NEXT) | instid1(SALU_CYCLE_1)
	s_add_i32 s5, s4, 7
	s_ashr_i32 s6, s5, 31
	s_delay_alu instid0(SALU_CYCLE_1) | instskip(NEXT) | instid1(SALU_CYCLE_1)
	s_lshr_b32 s6, s6, 29
	s_add_i32 s5, s5, s6
	s_delay_alu instid0(SALU_CYCLE_1) | instskip(SKIP_2) | instid1(SALU_CYCLE_1)
	s_ashr_i32 s14, s5, 3
	s_load_b32 s5, s[0:1], 0x4c
	s_abs_i32 s6, s14
	v_cvt_f32_u32_e32 v1, s6
	s_sub_i32 s7, 0, s6
	s_delay_alu instid0(VALU_DEP_1) | instskip(SKIP_4) | instid1(SALU_CYCLE_1)
	v_rcp_iflag_f32_e32 v1, v1
	s_waitcnt_depctr 0xfff
	v_mul_f32_e32 v1, 0x4f7ffffe, v1
	s_waitcnt lgkmcnt(0)
	s_bfe_u32 s5, s5, 0xb0005
	v_mad_u64_u32 v[3:4], null, s15, s5, v[2:3]
	s_delay_alu instid0(VALU_DEP_2) | instskip(NEXT) | instid1(VALU_DEP_1)
	v_cvt_u32_f32_e32 v1, v1
	v_mul_lo_u32 v5, s7, v1
	s_delay_alu instid0(VALU_DEP_1) | instskip(NEXT) | instid1(VALU_DEP_4)
	v_mul_hi_u32 v4, v1, v5
	v_sub_nc_u32_e32 v5, 0, v3
	s_delay_alu instid0(VALU_DEP_1) | instskip(NEXT) | instid1(VALU_DEP_3)
	v_max_i32_e32 v5, v3, v5
	v_add_nc_u32_e32 v1, v1, v4
	s_delay_alu instid0(VALU_DEP_1) | instskip(NEXT) | instid1(VALU_DEP_1)
	v_mul_hi_u32 v1, v5, v1
	v_mul_lo_u32 v4, v1, s6
	s_delay_alu instid0(VALU_DEP_1) | instskip(SKIP_1) | instid1(VALU_DEP_2)
	v_sub_nc_u32_e32 v4, v5, v4
	v_add_nc_u32_e32 v5, 1, v1
	v_subrev_nc_u32_e32 v6, s6, v4
	v_cmp_le_u32_e32 vcc_lo, s6, v4
	s_delay_alu instid0(VALU_DEP_2) | instskip(SKIP_1) | instid1(VALU_DEP_2)
	v_dual_cndmask_b32 v4, v4, v6 :: v_dual_cndmask_b32 v1, v1, v5
	v_xor_b32_e32 v5, s14, v3
	v_cmp_le_u32_e32 vcc_lo, s6, v4
	s_delay_alu instid0(VALU_DEP_3) | instskip(NEXT) | instid1(VALU_DEP_3)
	v_add_nc_u32_e32 v6, 1, v1
	v_ashrrev_i32_e32 v5, 31, v5
	s_delay_alu instid0(VALU_DEP_2) | instskip(NEXT) | instid1(VALU_DEP_1)
	v_cndmask_b32_e32 v1, v1, v6, vcc_lo
	v_xor_b32_e32 v1, v1, v5
	s_delay_alu instid0(VALU_DEP_1) | instskip(NEXT) | instid1(VALU_DEP_1)
	v_sub_nc_u32_e32 v1, v1, v5
	v_cmp_gt_i32_e32 vcc_lo, s2, v1
	s_and_saveexec_b32 s2, vcc_lo
	s_cbranch_execz .LBB116_28
; %bb.1:
	v_mul_lo_u32 v4, v1, s14
	s_load_b64 s[12:13], s[0:1], 0x0
	v_and_b32_e32 v8, 31, v0
	v_lshlrev_b32_e32 v12, 11, v2
	v_lshlrev_b32_e32 v0, 10, v3
	s_lshl_b32 s20, s3, 1
	s_delay_alu instid0(VALU_DEP_3) | instskip(SKIP_2) | instid1(VALU_DEP_1)
	v_lshlrev_b32_e32 v9, 3, v8
	v_sub_nc_u32_e32 v4, v3, v4
	s_mul_i32 s15, s20, s5
	v_lshlrev_b32_e32 v10, 3, v4
	s_delay_alu instid0(VALU_DEP_1) | instskip(SKIP_1) | instid1(VALU_DEP_2)
	v_add_nc_u32_e32 v4, 8, v10
	v_sub_nc_u32_e32 v5, s4, v10
	v_cmp_lt_i32_e32 vcc_lo, s4, v4
	s_delay_alu instid0(VALU_DEP_2) | instskip(NEXT) | instid1(VALU_DEP_1)
	v_cndmask_b32_e32 v11, 8, v5, vcc_lo
	v_cmp_lt_i32_e32 vcc_lo, 0, v11
	s_and_saveexec_b32 s4, vcc_lo
	s_cbranch_execz .LBB116_4
; %bb.2:
	s_add_i32 s2, s18, s17
	s_lshl_b32 s5, s14, 3
	s_add_i32 s2, s2, s16
	s_mov_b32 s6, 0
	s_sub_i32 s2, s2, s5
	s_mov_b32 s5, 0
	v_mul_lo_u32 v3, s2, v1
	s_add_i32 s2, s15, 0
	s_delay_alu instid0(SALU_CYCLE_1) | instskip(NEXT) | instid1(VALU_DEP_2)
	v_add3_u32 v5, s2, v12, v9
	v_lshl_add_u32 v3, v3, 7, v0
	s_delay_alu instid0(VALU_DEP_1)
	v_lshl_or_b32 v3, v8, 2, v3
	.p2align	6
.LBB116_3:                              ; =>This Inner Loop Header: Depth=1
	s_delay_alu instid0(VALU_DEP_1) | instskip(SKIP_1) | instid1(VALU_DEP_1)
	v_ashrrev_i32_e32 v4, 31, v3
	s_add_i32 s6, s6, 1
	v_lshlrev_b64 v[6:7], 1, v[3:4]
	v_add_nc_u32_e32 v3, 0x80, v3
	s_waitcnt lgkmcnt(0)
	s_delay_alu instid0(VALU_DEP_2) | instskip(NEXT) | instid1(VALU_DEP_1)
	v_add_co_u32 v6, s2, s12, v6
	v_add_co_ci_u32_e64 v7, s2, s13, v7, s2
	v_cmp_ge_i32_e64 s2, s6, v11
	global_load_b64 v[6:7], v[6:7], off
	s_or_b32 s5, s2, s5
	s_waitcnt vmcnt(0)
	ds_store_b64 v5, v[6:7]
	v_add_nc_u32_e32 v5, 0x100, v5
	s_and_not1_b32 exec_lo, exec_lo, s5
	s_cbranch_execnz .LBB116_3
.LBB116_4:
	s_or_b32 exec_lo, exec_lo, s4
	s_load_b256 s[4:11], s[0:1], 0x18
	v_mul_lo_u32 v2, v2, s3
	s_add_i32 s0, s20, 15
	s_mov_b32 s20, exec_lo
	s_ashr_i32 s1, s0, 31
	s_delay_alu instid0(SALU_CYCLE_1) | instskip(NEXT) | instid1(SALU_CYCLE_1)
	s_lshr_b32 s1, s1, 28
	s_add_i32 s0, s0, s1
	s_delay_alu instid0(VALU_DEP_1) | instskip(SKIP_1) | instid1(SALU_CYCLE_1)
	v_lshlrev_b32_e32 v13, 1, v2
	s_ashr_i32 s2, s0, 4
	v_cmpx_gt_i32_e64 s2, v8
	s_cbranch_execz .LBB116_7
; %bb.5:
	v_ashrrev_i32_e32 v2, 31, v1
	s_delay_alu instid0(VALU_DEP_1) | instskip(SKIP_1) | instid1(VALU_DEP_1)
	v_lshlrev_b64 v[2:3], 3, v[1:2]
	s_waitcnt lgkmcnt(0)
	v_add_co_u32 v2, s0, s10, v2
	s_delay_alu instid0(VALU_DEP_1)
	v_add_co_ci_u32_e64 v3, s0, s11, v3, s0
	s_ashr_i32 s0, s3, 31
	global_load_b64 v[2:3], v[2:3], off
	s_waitcnt vmcnt(0)
	v_mul_lo_u32 v5, v3, s3
	v_mul_lo_u32 v6, v2, s0
	v_mad_u64_u32 v[3:4], null, v2, s3, 0
	s_delay_alu instid0(VALU_DEP_1) | instskip(SKIP_1) | instid1(VALU_DEP_2)
	v_add3_u32 v4, v4, v6, v5
	v_mov_b32_e32 v5, v8
	v_lshlrev_b64 v[2:3], 1, v[3:4]
	v_lshlrev_b32_e32 v4, 4, v8
	s_delay_alu instid0(VALU_DEP_1) | instskip(NEXT) | instid1(VALU_DEP_1)
	v_add_co_u32 v2, s0, v2, v4
	v_add_co_ci_u32_e64 v3, s0, 0, v3, s0
	v_add3_u32 v4, v13, v4, 0
	s_delay_alu instid0(VALU_DEP_3) | instskip(NEXT) | instid1(VALU_DEP_1)
	v_add_co_u32 v2, s0, s8, v2
	v_add_co_ci_u32_e64 v3, s0, s9, v3, s0
	s_mov_b32 s8, 0
	.p2align	6
.LBB116_6:                              ; =>This Inner Loop Header: Depth=1
	global_load_b128 v[14:17], v[2:3], off
	v_add_nc_u32_e32 v5, 32, v5
	v_add_co_u32 v2, s0, 0x200, v2
	s_delay_alu instid0(VALU_DEP_1) | instskip(NEXT) | instid1(VALU_DEP_3)
	v_add_co_ci_u32_e64 v3, s0, 0, v3, s0
	v_cmp_le_i32_e64 s1, s2, v5
	s_delay_alu instid0(VALU_DEP_1)
	s_or_b32 s8, s1, s8
	s_waitcnt vmcnt(0)
	ds_store_b128 v4, v[14:17]
	v_add_nc_u32_e32 v4, 0x200, v4
	s_and_not1_b32 exec_lo, exec_lo, s8
	s_cbranch_execnz .LBB116_6
.LBB116_7:
	s_or_b32 exec_lo, exec_lo, s20
	s_delay_alu instid0(SALU_CYCLE_1)
	s_and_b32 exec_lo, exec_lo, vcc_lo
	s_cbranch_execz .LBB116_28
; %bb.8:
	s_waitcnt lgkmcnt(0)
	s_clause 0x1
	global_load_b64 v[4:5], v9, s[4:5]
	global_load_b64 v[6:7], v9, s[6:7]
	v_mbcnt_lo_u32_b32 v3, -1, 0
	s_lshr_b32 s0, s3, 31
	s_ashr_i32 s1, s3, 31
	s_add_i32 s0, s3, s0
	s_lshr_b32 s1, s1, 30
	v_xor_b32_e32 v15, 16, v3
	s_and_b32 s5, s0, -2
	s_add_i32 s0, s3, s1
	v_xor_b32_e32 v16, 8, v3
	s_ashr_i32 s0, s0, 2
	v_lshlrev_b32_e32 v2, 2, v8
	v_cmp_le_i32_e32 vcc_lo, s0, v8
	v_cmp_gt_i32_e64 s0, 32, v15
	v_add_nc_u32_e32 v14, s15, v12
	v_xor_b32_e32 v17, 4, v3
	v_xor_b32_e32 v18, 2, v3
	v_add3_u32 v12, 0, v13, v2
	v_cndmask_b32_e64 v8, v3, v15, s0
	v_cmp_gt_i32_e64 s0, 32, v16
	v_add3_u32 v13, v14, v9, 0
	s_add_i32 s2, s18, s17
	s_lshl_b32 s4, s14, 3
	s_add_i32 s2, s2, s16
	v_cndmask_b32_e64 v9, v3, v16, s0
	v_cmp_gt_i32_e64 s0, 32, v17
	s_sub_i32 s1, s2, s4
	v_xor_b32_e32 v19, 1, v3
	v_mul_lo_u32 v1, s1, v1
	v_add_nc_u32_e32 v14, s5, v12
	v_cndmask_b32_e64 v17, v3, v17, s0
	v_cmp_gt_i32_e64 s0, 32, v18
	v_lshlrev_b32_e32 v15, 2, v8
	v_lshlrev_b32_e32 v16, 2, v9
	s_mov_b32 s2, 0
	v_lshlrev_b32_e32 v17, 2, v17
	v_cndmask_b32_e64 v18, v3, v18, s0
	v_cmp_gt_i32_e64 s0, 32, v19
	v_lshl_add_u32 v0, v1, 7, v0
	s_mov_b32 s3, 0
	s_delay_alu instid0(VALU_DEP_3) | instskip(NEXT) | instid1(VALU_DEP_3)
	v_lshlrev_b32_e32 v18, 2, v18
	v_cndmask_b32_e64 v3, v3, v19, s0
	s_delay_alu instid0(VALU_DEP_3) | instskip(NEXT) | instid1(VALU_DEP_2)
	v_or_b32_e32 v8, v0, v2
	v_lshlrev_b32_e32 v19, 2, v3
	s_waitcnt vmcnt(1)
	v_lshrrev_b32_e32 v20, 16, v4
	s_waitcnt vmcnt(0)
	v_lshrrev_b32_e32 v21, 16, v6
	v_lshrrev_b32_e32 v22, 16, v5
	;; [unrolled: 1-line block ×3, first 2 shown]
	s_branch .LBB116_10
.LBB116_9:                              ;   in Loop: Header=BB116_10 Depth=1
	s_or_b32 exec_lo, exec_lo, s1
	v_ashrrev_i32_e32 v9, 31, v8
	v_lshrrev_b32_e32 v2, 16, v26
	v_and_b32_e32 v3, 0xffff0000, v27
	s_add_i32 s3, s3, 1
	v_add_nc_u32_e32 v13, 0x100, v13
	v_lshlrev_b64 v[0:1], 1, v[8:9]
	v_lshrrev_b32_e32 v9, 16, v24
	v_cmp_ge_i32_e64 s0, s3, v11
	v_or_b32_e32 v2, v3, v2
	v_add_nc_u32_e32 v8, 0x80, v8
	v_add_co_u32 v26, s1, s12, v0
	s_delay_alu instid0(VALU_DEP_1)
	v_add_co_ci_u32_e64 v27, s1, s13, v1, s1
	v_and_or_b32 v1, 0xffff0000, v25, v9
	s_or_b32 s2, s0, s2
	global_store_b64 v[26:27], v[1:2], off
	s_and_not1_b32 exec_lo, exec_lo, s2
	s_cbranch_execz .LBB116_28
.LBB116_10:                             ; =>This Inner Loop Header: Depth=1
	ds_load_b64 v[0:1], v13
	s_waitcnt lgkmcnt(0)
	v_lshlrev_b32_e32 v3, 16, v0
	v_and_b32_e32 v2, 0xffff0000, v0
	v_alignbit_b32 v0, v1, v0, 16
	v_and_b32_e32 v25, 0xffff0000, v1
	s_delay_alu instid0(VALU_DEP_2) | instskip(NEXT) | instid1(VALU_DEP_1)
	v_dual_mul_f32 v9, v2, v2 :: v_dual_and_b32 v24, 0xffff0000, v0
	v_fmac_f32_e32 v9, v3, v3
	s_delay_alu instid0(VALU_DEP_1) | instskip(NEXT) | instid1(VALU_DEP_1)
	v_fmac_f32_e32 v9, v24, v24
	v_fmac_f32_e32 v9, v25, v25
	ds_bpermute_b32 v0, v15, v9
	s_waitcnt lgkmcnt(0)
	v_add_f32_e32 v0, v9, v0
	ds_bpermute_b32 v1, v16, v0
	s_waitcnt lgkmcnt(0)
	v_add_f32_e32 v0, v0, v1
	;; [unrolled: 3-line block ×5, first 2 shown]
	s_delay_alu instid0(VALU_DEP_1) | instskip(NEXT) | instid1(VALU_DEP_1)
	v_fma_f32 v0, 0x3c000000, v0, s19
	v_mul_f32_e32 v1, 0x4b800000, v0
	v_cmp_gt_f32_e64 s0, 0x800000, v0
	s_delay_alu instid0(VALU_DEP_1) | instskip(SKIP_1) | instid1(VALU_DEP_2)
	v_cndmask_b32_e64 v0, v0, v1, s0
	v_add_nc_u32_e32 v1, s3, v10
	v_rsq_f32_e32 v0, v0
	s_delay_alu instid0(VALU_DEP_1) | instskip(NEXT) | instid1(VALU_DEP_1)
	v_cmp_gt_i32_e64 s1, s16, v1
	v_cndmask_b32_e64 v26, v21, v20, s1
	v_cndmask_b32_e64 v27, v23, v22, s1
	;; [unrolled: 1-line block ×4, first 2 shown]
	s_waitcnt_depctr 0xfff
	v_mul_f32_e32 v9, 0x45800000, v0
	s_delay_alu instid0(VALU_DEP_1) | instskip(SKIP_3) | instid1(VALU_DEP_3)
	v_cndmask_b32_e64 v0, v0, v9, s0
	v_lshlrev_b32_e32 v9, 16, v26
	v_lshlrev_b32_e32 v26, 16, v27
	;; [unrolled: 1-line block ×3, first 2 shown]
	v_mul_f32_e32 v9, v0, v9
	s_delay_alu instid0(VALU_DEP_3) | instskip(NEXT) | instid1(VALU_DEP_3)
	v_mul_f32_e32 v26, v0, v26
	v_mul_f32_e32 v27, v0, v27
	v_lshlrev_b32_e32 v1, 16, v1
	s_delay_alu instid0(VALU_DEP_1) | instskip(NEXT) | instid1(VALU_DEP_1)
	v_mul_f32_e32 v1, v0, v1
	v_mul_f32_e32 v0, v1, v3
	s_delay_alu instid0(VALU_DEP_4) | instskip(SKIP_2) | instid1(SALU_CYCLE_1)
	v_dual_mul_f32 v1, v9, v2 :: v_dual_mul_f32 v2, v27, v24
	v_mul_f32_e32 v3, v26, v25
	s_and_saveexec_b32 s0, vcc_lo
	s_xor_b32 s0, exec_lo, s0
	s_delay_alu instid0(SALU_CYCLE_1)
	s_and_not1_saveexec_b32 s0, s0
	s_cbranch_execz .LBB116_12
; %bb.11:                               ;   in Loop: Header=BB116_10 Depth=1
	ds_load_u16 v9, v14
	ds_load_u16 v27, v14 offset:2
	ds_load_u16 v26, v12 offset:2
	ds_load_u16 v25, v12
	s_waitcnt lgkmcnt(3)
	v_cvt_f32_f16_e32 v9, v9
	s_waitcnt lgkmcnt(2)
	v_cvt_f32_f16_e32 v24, v27
	;; [unrolled: 2-line block ×3, first 2 shown]
	s_delay_alu instid0(VALU_DEP_2) | instskip(NEXT) | instid1(VALU_DEP_2)
	v_dual_mul_f32 v29, v1, v9 :: v_dual_mul_f32 v30, v3, v24
	v_mul_f32_e32 v3, v3, v28
	s_waitcnt lgkmcnt(0)
	s_delay_alu instid0(VALU_DEP_2) | instskip(NEXT) | instid1(VALU_DEP_3)
	v_fma_mix_f32 v24, v0, v25, -v29 op_sel_hi:[0,1,0]
	v_fma_mix_f32 v26, v2, v26, -v30 op_sel_hi:[0,1,0]
	s_delay_alu instid0(VALU_DEP_3) | instskip(SKIP_1) | instid1(VALU_DEP_1)
	v_fma_mix_f32 v27, v2, v27, v3 op_sel_hi:[0,1,0]
	v_mul_f32_e32 v9, v0, v9
	v_fma_mix_f32 v25, v1, v25, v9 op_sel_hi:[0,1,0]
	v_mov_b32_e32 v0, v24
	s_delay_alu instid0(VALU_DEP_4) | instskip(NEXT) | instid1(VALU_DEP_3)
	v_dual_mov_b32 v2, v26 :: v_dual_mov_b32 v3, v27
	v_mov_b32_e32 v1, v25
.LBB116_12:                             ;   in Loop: Header=BB116_10 Depth=1
	s_or_b32 exec_lo, exec_lo, s0
	s_delay_alu instid0(VALU_DEP_3) | instskip(NEXT) | instid1(VALU_DEP_1)
	v_and_b32_e32 v9, 0x7f800000, v0
                                        ; implicit-def: $vgpr24
	v_cmp_ne_u32_e64 s0, 0x7f800000, v9
	s_delay_alu instid0(VALU_DEP_1) | instskip(NEXT) | instid1(SALU_CYCLE_1)
	s_and_saveexec_b32 s1, s0
	s_xor_b32 s0, exec_lo, s1
; %bb.13:                               ;   in Loop: Header=BB116_10 Depth=1
	v_bfe_u32 v9, v0, 16, 1
	s_delay_alu instid0(VALU_DEP_1)
	v_add3_u32 v24, v0, v9, 0x7fff
; %bb.14:                               ;   in Loop: Header=BB116_10 Depth=1
	s_and_not1_saveexec_b32 s1, s0
; %bb.15:                               ;   in Loop: Header=BB116_10 Depth=1
	v_and_b32_e32 v9, 0xffff, v0
	v_or_b32_e32 v24, 0x10000, v0
	s_delay_alu instid0(VALU_DEP_2) | instskip(NEXT) | instid1(VALU_DEP_1)
	v_cmp_eq_u32_e64 s0, 0, v9
	v_cndmask_b32_e64 v24, v24, v0, s0
; %bb.16:                               ;   in Loop: Header=BB116_10 Depth=1
	s_or_b32 exec_lo, exec_lo, s1
	v_and_b32_e32 v0, 0x7f800000, v1
                                        ; implicit-def: $vgpr25
	s_delay_alu instid0(VALU_DEP_1) | instskip(NEXT) | instid1(VALU_DEP_1)
	v_cmp_ne_u32_e64 s0, 0x7f800000, v0
	s_and_saveexec_b32 s1, s0
	s_delay_alu instid0(SALU_CYCLE_1)
	s_xor_b32 s0, exec_lo, s1
; %bb.17:                               ;   in Loop: Header=BB116_10 Depth=1
	v_bfe_u32 v0, v1, 16, 1
	s_delay_alu instid0(VALU_DEP_1)
	v_add3_u32 v25, v1, v0, 0x7fff
; %bb.18:                               ;   in Loop: Header=BB116_10 Depth=1
	s_and_not1_saveexec_b32 s1, s0
; %bb.19:                               ;   in Loop: Header=BB116_10 Depth=1
	v_and_b32_e32 v0, 0xffff, v1
	v_or_b32_e32 v9, 0x10000, v1
	s_delay_alu instid0(VALU_DEP_2) | instskip(NEXT) | instid1(VALU_DEP_1)
	v_cmp_eq_u32_e64 s0, 0, v0
	v_cndmask_b32_e64 v25, v9, v1, s0
; %bb.20:                               ;   in Loop: Header=BB116_10 Depth=1
	s_or_b32 exec_lo, exec_lo, s1
	v_and_b32_e32 v0, 0x7f800000, v2
                                        ; implicit-def: $vgpr26
	s_delay_alu instid0(VALU_DEP_1) | instskip(NEXT) | instid1(VALU_DEP_1)
	v_cmp_ne_u32_e64 s0, 0x7f800000, v0
	s_and_saveexec_b32 s1, s0
	s_delay_alu instid0(SALU_CYCLE_1)
	s_xor_b32 s0, exec_lo, s1
; %bb.21:                               ;   in Loop: Header=BB116_10 Depth=1
	v_bfe_u32 v0, v2, 16, 1
	s_delay_alu instid0(VALU_DEP_1)
	v_add3_u32 v26, v2, v0, 0x7fff
; %bb.22:                               ;   in Loop: Header=BB116_10 Depth=1
	s_and_not1_saveexec_b32 s1, s0
; %bb.23:                               ;   in Loop: Header=BB116_10 Depth=1
	v_and_b32_e32 v0, 0xffff, v2
	v_or_b32_e32 v1, 0x10000, v2
	s_delay_alu instid0(VALU_DEP_2) | instskip(NEXT) | instid1(VALU_DEP_1)
	v_cmp_eq_u32_e64 s0, 0, v0
	v_cndmask_b32_e64 v26, v1, v2, s0
; %bb.24:                               ;   in Loop: Header=BB116_10 Depth=1
	s_or_b32 exec_lo, exec_lo, s1
	v_and_b32_e32 v0, 0x7f800000, v3
                                        ; implicit-def: $vgpr27
	s_delay_alu instid0(VALU_DEP_1) | instskip(NEXT) | instid1(VALU_DEP_1)
	v_cmp_ne_u32_e64 s0, 0x7f800000, v0
	s_and_saveexec_b32 s1, s0
	s_delay_alu instid0(SALU_CYCLE_1)
	s_xor_b32 s0, exec_lo, s1
; %bb.25:                               ;   in Loop: Header=BB116_10 Depth=1
	v_bfe_u32 v0, v3, 16, 1
	s_delay_alu instid0(VALU_DEP_1)
	v_add3_u32 v27, v3, v0, 0x7fff
                                        ; implicit-def: $vgpr0_vgpr1_vgpr2_vgpr3
; %bb.26:                               ;   in Loop: Header=BB116_10 Depth=1
	s_and_not1_saveexec_b32 s1, s0
	s_cbranch_execz .LBB116_9
; %bb.27:                               ;   in Loop: Header=BB116_10 Depth=1
	v_and_b32_e32 v0, 0xffff, v3
	v_or_b32_e32 v1, 0x10000, v3
	s_delay_alu instid0(VALU_DEP_2) | instskip(NEXT) | instid1(VALU_DEP_1)
	v_cmp_eq_u32_e64 s0, 0, v0
	v_cndmask_b32_e64 v27, v1, v3, s0
	s_branch .LBB116_9
.LBB116_28:
	s_nop 0
	s_sendmsg sendmsg(MSG_DEALLOC_VGPRS)
	s_endpgm
	.section	.rodata,"a",@progbits
	.p2align	6, 0x0
	.amdhsa_kernel _ZN12tensorrt_llm7kernels32fusedQKNormRopeKernelNTokenHeadsIN3c108BFloat16ENS2_4HalfELi128ELb1ELi8EEEvPviiifPKvS7_S7_PKlii
		.amdhsa_group_segment_fixed_size 0
		.amdhsa_private_segment_fixed_size 0
		.amdhsa_kernarg_size 320
		.amdhsa_user_sgpr_count 15
		.amdhsa_user_sgpr_dispatch_ptr 0
		.amdhsa_user_sgpr_queue_ptr 0
		.amdhsa_user_sgpr_kernarg_segment_ptr 1
		.amdhsa_user_sgpr_dispatch_id 0
		.amdhsa_user_sgpr_private_segment_size 0
		.amdhsa_wavefront_size32 1
		.amdhsa_uses_dynamic_stack 0
		.amdhsa_enable_private_segment 0
		.amdhsa_system_sgpr_workgroup_id_x 1
		.amdhsa_system_sgpr_workgroup_id_y 0
		.amdhsa_system_sgpr_workgroup_id_z 0
		.amdhsa_system_sgpr_workgroup_info 0
		.amdhsa_system_vgpr_workitem_id 0
		.amdhsa_next_free_vgpr 31
		.amdhsa_next_free_sgpr 21
		.amdhsa_reserve_vcc 1
		.amdhsa_float_round_mode_32 0
		.amdhsa_float_round_mode_16_64 0
		.amdhsa_float_denorm_mode_32 3
		.amdhsa_float_denorm_mode_16_64 3
		.amdhsa_dx10_clamp 1
		.amdhsa_ieee_mode 1
		.amdhsa_fp16_overflow 0
		.amdhsa_workgroup_processor_mode 1
		.amdhsa_memory_ordered 1
		.amdhsa_forward_progress 0
		.amdhsa_shared_vgpr_count 0
		.amdhsa_exception_fp_ieee_invalid_op 0
		.amdhsa_exception_fp_denorm_src 0
		.amdhsa_exception_fp_ieee_div_zero 0
		.amdhsa_exception_fp_ieee_overflow 0
		.amdhsa_exception_fp_ieee_underflow 0
		.amdhsa_exception_fp_ieee_inexact 0
		.amdhsa_exception_int_div_zero 0
	.end_amdhsa_kernel
	.section	.text._ZN12tensorrt_llm7kernels32fusedQKNormRopeKernelNTokenHeadsIN3c108BFloat16ENS2_4HalfELi128ELb1ELi8EEEvPviiifPKvS7_S7_PKlii,"axG",@progbits,_ZN12tensorrt_llm7kernels32fusedQKNormRopeKernelNTokenHeadsIN3c108BFloat16ENS2_4HalfELi128ELb1ELi8EEEvPviiifPKvS7_S7_PKlii,comdat
.Lfunc_end116:
	.size	_ZN12tensorrt_llm7kernels32fusedQKNormRopeKernelNTokenHeadsIN3c108BFloat16ENS2_4HalfELi128ELb1ELi8EEEvPviiifPKvS7_S7_PKlii, .Lfunc_end116-_ZN12tensorrt_llm7kernels32fusedQKNormRopeKernelNTokenHeadsIN3c108BFloat16ENS2_4HalfELi128ELb1ELi8EEEvPviiifPKvS7_S7_PKlii
                                        ; -- End function
	.section	.AMDGPU.csdata,"",@progbits
; Kernel info:
; codeLenInByte = 2192
; NumSgprs: 23
; NumVgprs: 31
; ScratchSize: 0
; MemoryBound: 0
; FloatMode: 240
; IeeeMode: 1
; LDSByteSize: 0 bytes/workgroup (compile time only)
; SGPRBlocks: 2
; VGPRBlocks: 3
; NumSGPRsForWavesPerEU: 23
; NumVGPRsForWavesPerEU: 31
; Occupancy: 16
; WaveLimiterHint : 0
; COMPUTE_PGM_RSRC2:SCRATCH_EN: 0
; COMPUTE_PGM_RSRC2:USER_SGPR: 15
; COMPUTE_PGM_RSRC2:TRAP_HANDLER: 0
; COMPUTE_PGM_RSRC2:TGID_X_EN: 1
; COMPUTE_PGM_RSRC2:TGID_Y_EN: 0
; COMPUTE_PGM_RSRC2:TGID_Z_EN: 0
; COMPUTE_PGM_RSRC2:TIDIG_COMP_CNT: 0
	.section	.text._ZN12tensorrt_llm7kernels32fusedQKNormRopeKernelNTokenHeadsIN3c108BFloat16ENS2_4HalfELi128ELb0ELi8EEEvPviiifPKvS7_S7_PKlii,"axG",@progbits,_ZN12tensorrt_llm7kernels32fusedQKNormRopeKernelNTokenHeadsIN3c108BFloat16ENS2_4HalfELi128ELb0ELi8EEEvPviiifPKvS7_S7_PKlii,comdat
	.protected	_ZN12tensorrt_llm7kernels32fusedQKNormRopeKernelNTokenHeadsIN3c108BFloat16ENS2_4HalfELi128ELb0ELi8EEEvPviiifPKvS7_S7_PKlii ; -- Begin function _ZN12tensorrt_llm7kernels32fusedQKNormRopeKernelNTokenHeadsIN3c108BFloat16ENS2_4HalfELi128ELb0ELi8EEEvPviiifPKvS7_S7_PKlii
	.globl	_ZN12tensorrt_llm7kernels32fusedQKNormRopeKernelNTokenHeadsIN3c108BFloat16ENS2_4HalfELi128ELb0ELi8EEEvPviiifPKvS7_S7_PKlii
	.p2align	8
	.type	_ZN12tensorrt_llm7kernels32fusedQKNormRopeKernelNTokenHeadsIN3c108BFloat16ENS2_4HalfELi128ELb0ELi8EEEvPviiifPKvS7_S7_PKlii,@function
_ZN12tensorrt_llm7kernels32fusedQKNormRopeKernelNTokenHeadsIN3c108BFloat16ENS2_4HalfELi128ELb0ELi8EEEvPviiifPKvS7_S7_PKlii: ; @_ZN12tensorrt_llm7kernels32fusedQKNormRopeKernelNTokenHeadsIN3c108BFloat16ENS2_4HalfELi128ELb0ELi8EEEvPviiifPKvS7_S7_PKlii
; %bb.0:
	s_clause 0x1
	s_load_b128 s[16:19], s[0:1], 0x8
	s_load_b64 s[2:3], s[0:1], 0x38
	v_lshrrev_b32_e32 v2, 5, v0
	s_waitcnt lgkmcnt(0)
	s_add_i32 s4, s17, s16
	s_delay_alu instid0(SALU_CYCLE_1) | instskip(NEXT) | instid1(SALU_CYCLE_1)
	s_add_i32 s5, s4, 7
	s_ashr_i32 s6, s5, 31
	s_delay_alu instid0(SALU_CYCLE_1) | instskip(NEXT) | instid1(SALU_CYCLE_1)
	s_lshr_b32 s6, s6, 29
	s_add_i32 s5, s5, s6
	s_delay_alu instid0(SALU_CYCLE_1) | instskip(SKIP_2) | instid1(SALU_CYCLE_1)
	s_ashr_i32 s14, s5, 3
	s_load_b32 s5, s[0:1], 0x4c
	s_abs_i32 s6, s14
	v_cvt_f32_u32_e32 v1, s6
	s_sub_i32 s7, 0, s6
	s_delay_alu instid0(VALU_DEP_1) | instskip(SKIP_4) | instid1(SALU_CYCLE_1)
	v_rcp_iflag_f32_e32 v1, v1
	s_waitcnt_depctr 0xfff
	v_mul_f32_e32 v1, 0x4f7ffffe, v1
	s_waitcnt lgkmcnt(0)
	s_bfe_u32 s5, s5, 0xb0005
	v_mad_u64_u32 v[3:4], null, s15, s5, v[2:3]
	s_delay_alu instid0(VALU_DEP_2) | instskip(NEXT) | instid1(VALU_DEP_1)
	v_cvt_u32_f32_e32 v1, v1
	v_mul_lo_u32 v5, s7, v1
	s_delay_alu instid0(VALU_DEP_1) | instskip(NEXT) | instid1(VALU_DEP_4)
	v_mul_hi_u32 v4, v1, v5
	v_sub_nc_u32_e32 v5, 0, v3
	s_delay_alu instid0(VALU_DEP_1) | instskip(NEXT) | instid1(VALU_DEP_3)
	v_max_i32_e32 v5, v3, v5
	v_add_nc_u32_e32 v1, v1, v4
	s_delay_alu instid0(VALU_DEP_1) | instskip(NEXT) | instid1(VALU_DEP_1)
	v_mul_hi_u32 v1, v5, v1
	v_mul_lo_u32 v4, v1, s6
	s_delay_alu instid0(VALU_DEP_1) | instskip(SKIP_1) | instid1(VALU_DEP_2)
	v_sub_nc_u32_e32 v4, v5, v4
	v_add_nc_u32_e32 v5, 1, v1
	v_subrev_nc_u32_e32 v6, s6, v4
	v_cmp_le_u32_e32 vcc_lo, s6, v4
	s_delay_alu instid0(VALU_DEP_2) | instskip(SKIP_1) | instid1(VALU_DEP_2)
	v_dual_cndmask_b32 v4, v4, v6 :: v_dual_cndmask_b32 v1, v1, v5
	v_xor_b32_e32 v5, s14, v3
	v_cmp_le_u32_e32 vcc_lo, s6, v4
	s_delay_alu instid0(VALU_DEP_3) | instskip(NEXT) | instid1(VALU_DEP_3)
	v_add_nc_u32_e32 v6, 1, v1
	v_ashrrev_i32_e32 v5, 31, v5
	s_delay_alu instid0(VALU_DEP_2) | instskip(NEXT) | instid1(VALU_DEP_1)
	v_cndmask_b32_e32 v1, v1, v6, vcc_lo
	v_xor_b32_e32 v1, v1, v5
	s_delay_alu instid0(VALU_DEP_1) | instskip(NEXT) | instid1(VALU_DEP_1)
	v_sub_nc_u32_e32 v1, v1, v5
	v_cmp_gt_i32_e32 vcc_lo, s2, v1
	s_and_saveexec_b32 s2, vcc_lo
	s_cbranch_execz .LBB117_28
; %bb.1:
	v_mul_lo_u32 v4, v1, s14
	s_load_b64 s[12:13], s[0:1], 0x0
	v_and_b32_e32 v8, 31, v0
	v_lshlrev_b32_e32 v12, 11, v2
	v_lshlrev_b32_e32 v9, 10, v3
	s_lshl_b32 s20, s3, 1
	s_delay_alu instid0(VALU_DEP_3) | instskip(SKIP_2) | instid1(VALU_DEP_1)
	v_lshlrev_b32_e32 v0, 3, v8
	v_sub_nc_u32_e32 v4, v3, v4
	s_mul_i32 s15, s20, s5
	v_lshlrev_b32_e32 v10, 3, v4
	s_delay_alu instid0(VALU_DEP_1) | instskip(SKIP_1) | instid1(VALU_DEP_2)
	v_add_nc_u32_e32 v4, 8, v10
	v_sub_nc_u32_e32 v5, s4, v10
	v_cmp_lt_i32_e32 vcc_lo, s4, v4
	s_delay_alu instid0(VALU_DEP_2) | instskip(NEXT) | instid1(VALU_DEP_1)
	v_cndmask_b32_e32 v11, 8, v5, vcc_lo
	v_cmp_lt_i32_e32 vcc_lo, 0, v11
	s_and_saveexec_b32 s4, vcc_lo
	s_cbranch_execz .LBB117_4
; %bb.2:
	s_add_i32 s2, s18, s17
	s_lshl_b32 s5, s14, 3
	s_add_i32 s2, s2, s16
	s_mov_b32 s6, 0
	s_sub_i32 s2, s2, s5
	s_mov_b32 s5, 0
	v_mul_lo_u32 v3, s2, v1
	s_add_i32 s2, s15, 0
	s_delay_alu instid0(SALU_CYCLE_1) | instskip(NEXT) | instid1(VALU_DEP_2)
	v_add3_u32 v5, s2, v12, v0
	v_lshl_add_u32 v3, v3, 7, v9
	s_delay_alu instid0(VALU_DEP_1)
	v_lshl_or_b32 v3, v8, 2, v3
	.p2align	6
.LBB117_3:                              ; =>This Inner Loop Header: Depth=1
	s_delay_alu instid0(VALU_DEP_1) | instskip(SKIP_1) | instid1(VALU_DEP_1)
	v_ashrrev_i32_e32 v4, 31, v3
	s_add_i32 s6, s6, 1
	v_lshlrev_b64 v[6:7], 1, v[3:4]
	v_add_nc_u32_e32 v3, 0x80, v3
	s_waitcnt lgkmcnt(0)
	s_delay_alu instid0(VALU_DEP_2) | instskip(NEXT) | instid1(VALU_DEP_1)
	v_add_co_u32 v6, s2, s12, v6
	v_add_co_ci_u32_e64 v7, s2, s13, v7, s2
	v_cmp_ge_i32_e64 s2, s6, v11
	global_load_b64 v[6:7], v[6:7], off
	s_or_b32 s5, s2, s5
	s_waitcnt vmcnt(0)
	ds_store_b64 v5, v[6:7]
	v_add_nc_u32_e32 v5, 0x100, v5
	s_and_not1_b32 exec_lo, exec_lo, s5
	s_cbranch_execnz .LBB117_3
.LBB117_4:
	s_or_b32 exec_lo, exec_lo, s4
	s_load_b256 s[4:11], s[0:1], 0x18
	s_add_i32 s0, s20, 15
	v_mul_lo_u32 v13, v2, s3
	s_ashr_i32 s1, s0, 31
	s_mov_b32 s20, exec_lo
	s_lshr_b32 s1, s1, 28
	s_delay_alu instid0(SALU_CYCLE_1) | instskip(NEXT) | instid1(SALU_CYCLE_1)
	s_add_i32 s0, s0, s1
	s_ashr_i32 s2, s0, 4
	s_delay_alu instid0(SALU_CYCLE_1)
	v_cmpx_gt_i32_e64 s2, v8
	s_cbranch_execz .LBB117_7
; %bb.5:
	v_ashrrev_i32_e32 v2, 31, v1
	s_delay_alu instid0(VALU_DEP_1) | instskip(SKIP_1) | instid1(VALU_DEP_1)
	v_lshlrev_b64 v[2:3], 3, v[1:2]
	s_waitcnt lgkmcnt(0)
	v_add_co_u32 v2, s0, s10, v2
	s_delay_alu instid0(VALU_DEP_1)
	v_add_co_ci_u32_e64 v3, s0, s11, v3, s0
	s_ashr_i32 s0, s3, 31
	global_load_b64 v[2:3], v[2:3], off
	s_waitcnt vmcnt(0)
	v_mul_lo_u32 v5, v3, s3
	v_mul_lo_u32 v6, v2, s0
	v_mad_u64_u32 v[3:4], null, v2, s3, 0
	s_delay_alu instid0(VALU_DEP_1) | instskip(SKIP_1) | instid1(VALU_DEP_2)
	v_add3_u32 v4, v4, v6, v5
	v_lshlrev_b32_e32 v5, 1, v13
	v_lshlrev_b64 v[2:3], 1, v[3:4]
	v_lshlrev_b32_e32 v4, 4, v8
	s_delay_alu instid0(VALU_DEP_1) | instskip(NEXT) | instid1(VALU_DEP_1)
	v_add_co_u32 v2, s0, v2, v4
	v_add_co_ci_u32_e64 v3, s0, 0, v3, s0
	v_add3_u32 v4, v5, v4, 0
	v_mov_b32_e32 v5, v8
	s_delay_alu instid0(VALU_DEP_4) | instskip(NEXT) | instid1(VALU_DEP_1)
	v_add_co_u32 v2, s0, s8, v2
	v_add_co_ci_u32_e64 v3, s0, s9, v3, s0
	s_mov_b32 s8, 0
	.p2align	6
.LBB117_6:                              ; =>This Inner Loop Header: Depth=1
	global_load_b128 v[14:17], v[2:3], off
	v_add_nc_u32_e32 v5, 32, v5
	v_add_co_u32 v2, s0, 0x200, v2
	s_delay_alu instid0(VALU_DEP_1) | instskip(NEXT) | instid1(VALU_DEP_3)
	v_add_co_ci_u32_e64 v3, s0, 0, v3, s0
	v_cmp_le_i32_e64 s1, s2, v5
	s_delay_alu instid0(VALU_DEP_1)
	s_or_b32 s8, s1, s8
	s_waitcnt vmcnt(0)
	ds_store_b128 v4, v[14:17]
	v_add_nc_u32_e32 v4, 0x200, v4
	s_and_not1_b32 exec_lo, exec_lo, s8
	s_cbranch_execnz .LBB117_6
.LBB117_7:
	s_or_b32 exec_lo, exec_lo, s20
	s_delay_alu instid0(SALU_CYCLE_1)
	s_and_b32 exec_lo, exec_lo, vcc_lo
	s_cbranch_execz .LBB117_28
; %bb.8:
	s_waitcnt lgkmcnt(0)
	s_clause 0x1
	global_load_b64 v[4:5], v0, s[4:5]
	global_load_b64 v[6:7], v0, s[6:7]
	s_abs_i32 s2, s3
	s_lshr_b32 s0, s3, 31
	v_cvt_f32_u32_e32 v2, s2
	s_add_i32 s0, s3, s0
	v_lshl_add_u32 v3, v13, 1, 0
	s_and_b32 s0, s0, -2
	v_mbcnt_lo_u32_b32 v13, -1, 0
	v_rcp_iflag_f32_e32 v2, v2
	s_ashr_i32 s1, s3, 31
	v_add_nc_u32_e32 v30, s15, v12
	s_lshr_b32 s6, s1, 30
	s_lshr_b32 s1, s1, 29
	v_xor_b32_e32 v12, 16, v13
	s_add_i32 s6, s3, s6
	s_add_i32 s1, s3, s1
	s_sub_i32 s7, 0, s2
	s_waitcnt_depctr 0xfff
	v_dual_mul_f32 v2, 0x4f7ffffe, v2 :: v_dual_add_nc_u32 v25, s0, v3
	s_ashr_i32 s0, s6, 2
	s_ashr_i32 s1, s1, 3
	v_xor_b32_e32 v14, 8, v13
	v_cmp_gt_i32_e32 vcc_lo, s0, v8
	v_cvt_u32_f32_e32 v2, v2
	v_xor_b32_e32 v22, s1, v13
	v_cmp_gt_i32_e64 s0, s1, v8
	v_cmp_gt_i32_e64 s1, 32, v12
	v_xor_b32_e32 v19, 4, v13
	v_mul_lo_u32 v15, s7, v2
	v_xor_b32_e32 v20, 2, v13
	s_add_i32 s4, s18, s17
	v_cndmask_b32_e64 v12, v13, v12, s1
	v_cmp_gt_i32_e64 s1, 32, v14
	s_lshl_b32 s5, s14, 3
	s_add_i32 s4, s4, s16
	v_or_b32_e32 v16, 2, v0
	v_mul_hi_u32 v15, v2, v15
	v_cndmask_b32_e64 v14, v13, v14, s1
	v_cmp_gt_i32_e64 s1, 32, v19
	s_sub_i32 s3, s4, s5
	v_or_b32_e32 v17, 4, v0
	v_or_b32_e32 v18, 6, v0
	v_mul_lo_u32 v1, s3, v1
	v_xor_b32_e32 v21, 1, v13
	v_add_nc_u32_e32 v2, v2, v15
	v_cndmask_b32_e64 v15, v13, v19, s1
	v_cmp_gt_i32_e64 s1, 32, v20
	v_lshlrev_b32_e32 v12, 2, v12
	v_add3_u32 v30, v30, v0, 0
	v_mul_hi_u32 v23, v16, v2
	v_mul_hi_u32 v24, v17, v2
	v_cndmask_b32_e64 v19, v13, v20, s1
	v_mul_hi_u32 v20, v0, v2
	v_mul_hi_u32 v2, v18, v2
	v_lshl_add_u32 v1, v1, 7, v9
	v_cmp_gt_i32_e64 s1, 32, v21
	s_mov_b32 s3, 0
	s_mov_b32 s4, 0
	s_delay_alu instid0(VALU_DEP_2)
	v_lshl_or_b32 v8, v8, 2, v1
	v_mul_lo_u32 v9, v20, s2
	v_mul_lo_u32 v20, v23, s2
	;; [unrolled: 1-line block ×3, first 2 shown]
	v_cndmask_b32_e64 v21, v13, v21, s1
	v_cmp_gt_i32_e64 s1, 32, v22
	v_mul_lo_u32 v23, v24, s2
	v_sub_nc_u32_e32 v9, v0, v9
	s_delay_alu instid0(VALU_DEP_3)
	v_cndmask_b32_e64 v22, v13, v22, s1
	v_lshlrev_b32_e32 v13, 2, v14
	v_lshlrev_b32_e32 v14, 2, v15
	;; [unrolled: 1-line block ×3, first 2 shown]
	v_sub_nc_u32_e32 v19, v16, v20
	v_sub_nc_u32_e32 v2, v18, v2
	v_subrev_nc_u32_e32 v18, s2, v9
	v_cmp_le_u32_e64 s1, s2, v9
	v_sub_nc_u32_e32 v17, v17, v23
	v_subrev_nc_u32_e32 v20, s2, v19
	v_lshlrev_b32_e32 v16, 2, v21
	v_subrev_nc_u32_e32 v23, s2, v2
	v_cndmask_b32_e64 v9, v9, v18, s1
	v_cmp_le_u32_e64 s1, s2, v19
	v_subrev_nc_u32_e32 v21, s2, v17
	s_delay_alu instid0(VALU_DEP_2) | instskip(SKIP_2) | instid1(VALU_DEP_2)
	v_cndmask_b32_e64 v18, v19, v20, s1
	v_cmp_le_u32_e64 s1, s2, v17
	v_subrev_nc_u32_e32 v20, s2, v9
	v_cndmask_b32_e64 v19, v17, v21, s1
	v_cmp_le_u32_e64 s1, s2, v2
	v_subrev_nc_u32_e32 v21, s2, v18
	v_lshlrev_b32_e32 v17, 2, v22
	s_delay_alu instid0(VALU_DEP_4) | instskip(NEXT) | instid1(VALU_DEP_4)
	v_subrev_nc_u32_e32 v22, s2, v19
	v_cndmask_b32_e64 v2, v2, v23, s1
	v_cmp_le_u32_e64 s1, s2, v9
	s_delay_alu instid0(VALU_DEP_2) | instskip(NEXT) | instid1(VALU_DEP_2)
	v_subrev_nc_u32_e32 v23, s2, v2
	v_cndmask_b32_e64 v9, v9, v20, s1
	v_cmp_le_u32_e64 s1, s2, v18
	s_delay_alu instid0(VALU_DEP_2) | instskip(NEXT) | instid1(VALU_DEP_2)
	v_and_b32_e32 v9, -2, v9
	v_cndmask_b32_e64 v18, v18, v21, s1
	v_cmp_le_u32_e64 s1, s2, v19
	s_delay_alu instid0(VALU_DEP_2) | instskip(NEXT) | instid1(VALU_DEP_2)
	v_and_b32_e32 v1, -2, v18
	v_cndmask_b32_e64 v19, v19, v22, s1
	v_cmp_le_u32_e64 s1, s2, v2
	v_add_nc_u32_e32 v18, v3, v9
	s_delay_alu instid0(VALU_DEP_4) | instskip(SKIP_1) | instid1(VALU_DEP_4)
	v_add_nc_u32_e32 v20, v3, v1
	v_add_nc_u32_e32 v21, v25, v1
	v_cndmask_b32_e64 v2, v2, v23, s1
	v_and_b32_e32 v23, -2, v19
	v_add_nc_u32_e32 v19, v25, v9
	s_delay_alu instid0(VALU_DEP_3) | instskip(NEXT) | instid1(VALU_DEP_3)
	v_and_b32_e32 v2, -2, v2
	v_add_nc_u32_e32 v22, v3, v23
	v_add_nc_u32_e32 v23, v25, v23
	s_delay_alu instid0(VALU_DEP_3)
	v_add_nc_u32_e32 v24, v3, v2
	v_add_nc_u32_e32 v25, v25, v2
	s_waitcnt vmcnt(1)
	v_lshrrev_b32_e32 v26, 16, v4
	v_lshrrev_b32_e32 v27, 16, v5
	s_waitcnt vmcnt(0)
	v_lshrrev_b32_e32 v28, 16, v6
	v_lshrrev_b32_e32 v29, 16, v7
	s_branch .LBB117_10
.LBB117_9:                              ;   in Loop: Header=BB117_10 Depth=1
	s_or_b32 exec_lo, exec_lo, s2
	v_ashrrev_i32_e32 v9, 31, v8
	v_lshrrev_b32_e32 v2, 16, v33
	v_and_b32_e32 v3, 0xffff0000, v34
	s_add_i32 s4, s4, 1
	v_add_nc_u32_e32 v30, 0x100, v30
	v_lshlrev_b64 v[0:1], 1, v[8:9]
	v_lshrrev_b32_e32 v9, 16, v31
	v_cmp_ge_i32_e64 s1, s4, v11
	v_or_b32_e32 v2, v3, v2
	v_add_nc_u32_e32 v8, 0x80, v8
	v_add_co_u32 v33, s2, s12, v0
	s_delay_alu instid0(VALU_DEP_1)
	v_add_co_ci_u32_e64 v34, s2, s13, v1, s2
	v_and_or_b32 v1, 0xffff0000, v32, v9
	s_or_b32 s3, s1, s3
	global_store_b64 v[33:34], v[1:2], off
	s_and_not1_b32 exec_lo, exec_lo, s3
	s_cbranch_execz .LBB117_28
.LBB117_10:                             ; =>This Inner Loop Header: Depth=1
	ds_load_b64 v[0:1], v30
	s_waitcnt lgkmcnt(0)
	v_and_b32_e32 v3, 0xffff0000, v0
	v_lshlrev_b32_e32 v2, 16, v0
	v_alignbit_b32 v0, v1, v0, 16
	v_and_b32_e32 v31, 0xffff0000, v1
	s_delay_alu instid0(VALU_DEP_2) | instskip(NEXT) | instid1(VALU_DEP_1)
	v_dual_mul_f32 v9, v3, v3 :: v_dual_and_b32 v0, 0xffff0000, v0
	v_fmac_f32_e32 v9, v2, v2
	s_delay_alu instid0(VALU_DEP_1) | instskip(NEXT) | instid1(VALU_DEP_1)
	v_fmac_f32_e32 v9, v0, v0
	v_fmac_f32_e32 v9, v31, v31
	ds_bpermute_b32 v1, v12, v9
	s_waitcnt lgkmcnt(0)
	v_add_f32_e32 v1, v9, v1
	ds_bpermute_b32 v9, v13, v1
	s_waitcnt lgkmcnt(0)
	v_add_f32_e32 v1, v1, v9
	;; [unrolled: 3-line block ×5, first 2 shown]
	s_delay_alu instid0(VALU_DEP_1) | instskip(NEXT) | instid1(VALU_DEP_1)
	v_fma_f32 v1, 0x3c000000, v1, s19
	v_mul_f32_e32 v9, 0x4b800000, v1
	v_cmp_gt_f32_e64 s1, 0x800000, v1
	s_delay_alu instid0(VALU_DEP_1) | instskip(SKIP_1) | instid1(VALU_DEP_2)
	v_cndmask_b32_e64 v1, v1, v9, s1
	v_add_nc_u32_e32 v9, s4, v10
	v_rsq_f32_e32 v1, v1
	s_delay_alu instid0(VALU_DEP_1) | instskip(NEXT) | instid1(VALU_DEP_1)
	v_cmp_gt_i32_e64 s2, s16, v9
	v_cndmask_b32_e64 v9, v6, v4, s2
	v_cndmask_b32_e64 v33, v28, v26, s2
	;; [unrolled: 1-line block ×4, first 2 shown]
	s_waitcnt_depctr 0xfff
	v_mul_f32_e32 v32, 0x45800000, v1
	v_lshlrev_b32_e32 v9, 16, v9
	s_delay_alu instid0(VALU_DEP_2) | instskip(SKIP_2) | instid1(VALU_DEP_3)
	v_cndmask_b32_e64 v1, v1, v32, s1
	v_lshlrev_b32_e32 v32, 16, v33
	v_lshlrev_b32_e32 v33, 16, v34
	v_dual_mul_f32 v9, v1, v9 :: v_dual_lshlrev_b32 v34, 16, v35
	s_delay_alu instid0(VALU_DEP_3) | instskip(NEXT) | instid1(VALU_DEP_3)
	v_mul_f32_e32 v32, v1, v32
	v_mul_f32_e32 v33, v1, v33
	s_delay_alu instid0(VALU_DEP_3) | instskip(NEXT) | instid1(VALU_DEP_3)
	v_mul_f32_e32 v34, v1, v34
	v_dual_mul_f32 v2, v9, v2 :: v_dual_mul_f32 v1, v32, v3
	s_delay_alu instid0(VALU_DEP_2)
	v_dual_mul_f32 v0, v33, v0 :: v_dual_mul_f32 v3, v34, v31
	s_and_saveexec_b32 s1, vcc_lo
	s_cbranch_execz .LBB117_12
; %bb.11:                               ;   in Loop: Header=BB117_10 Depth=1
	; wave barrier
	ds_bpermute_b32 v9, v17, v2
	ds_load_u16 v31, v19
	ds_load_u16 v33, v21
	;; [unrolled: 1-line block ×3, first 2 shown]
	ds_bpermute_b32 v32, v17, v1
	ds_bpermute_b32 v34, v17, v0
	;; [unrolled: 1-line block ×3, first 2 shown]
	ds_load_u16 v37, v25
	ds_load_u16 v38, v18
	;; [unrolled: 1-line block ×5, first 2 shown]
	; wave barrier
	s_waitcnt lgkmcnt(11)
	v_cndmask_b32_e64 v9, v9, -v9, s0
	s_waitcnt lgkmcnt(10)
	v_cvt_f32_f16_e32 v31, v31
	s_waitcnt lgkmcnt(9)
	v_cvt_f32_f16_e32 v33, v33
	;; [unrolled: 2-line block ×3, first 2 shown]
	s_waitcnt lgkmcnt(7)
	v_cndmask_b32_e64 v32, v32, -v32, s0
	s_waitcnt lgkmcnt(6)
	v_cndmask_b32_e64 v34, v34, -v34, s0
	;; [unrolled: 2-line block ×3, first 2 shown]
	s_waitcnt lgkmcnt(4)
	v_cvt_f32_f16_e32 v37, v37
	v_mul_f32_e32 v9, v9, v31
	v_dual_mul_f32 v31, v32, v33 :: v_dual_mul_f32 v32, v34, v35
	s_delay_alu instid0(VALU_DEP_3) | instskip(SKIP_1) | instid1(VALU_DEP_3)
	v_mul_f32_e32 v33, v36, v37
	s_waitcnt lgkmcnt(3)
	v_fma_mix_f32 v2, v2, v38, v9 op_sel_hi:[0,1,0]
	s_waitcnt lgkmcnt(2)
	v_fma_mix_f32 v1, v1, v39, v31 op_sel_hi:[0,1,0]
	s_waitcnt lgkmcnt(1)
	v_fma_mix_f32 v0, v0, v40, v32 op_sel_hi:[0,1,0]
	s_waitcnt lgkmcnt(0)
	v_fma_mix_f32 v3, v3, v41, v33 op_sel_hi:[0,1,0]
.LBB117_12:                             ;   in Loop: Header=BB117_10 Depth=1
	s_or_b32 exec_lo, exec_lo, s1
	v_and_b32_e32 v9, 0x7f800000, v2
                                        ; implicit-def: $vgpr31
	s_delay_alu instid0(VALU_DEP_1) | instskip(NEXT) | instid1(VALU_DEP_1)
	v_cmp_ne_u32_e64 s1, 0x7f800000, v9
	s_and_saveexec_b32 s2, s1
	s_delay_alu instid0(SALU_CYCLE_1)
	s_xor_b32 s1, exec_lo, s2
; %bb.13:                               ;   in Loop: Header=BB117_10 Depth=1
	v_bfe_u32 v9, v2, 16, 1
	s_delay_alu instid0(VALU_DEP_1)
	v_add3_u32 v31, v2, v9, 0x7fff
; %bb.14:                               ;   in Loop: Header=BB117_10 Depth=1
	s_and_not1_saveexec_b32 s2, s1
; %bb.15:                               ;   in Loop: Header=BB117_10 Depth=1
	v_and_b32_e32 v9, 0xffff, v2
	v_or_b32_e32 v31, 0x10000, v2
	s_delay_alu instid0(VALU_DEP_2) | instskip(NEXT) | instid1(VALU_DEP_1)
	v_cmp_eq_u32_e64 s1, 0, v9
	v_cndmask_b32_e64 v31, v31, v2, s1
; %bb.16:                               ;   in Loop: Header=BB117_10 Depth=1
	s_or_b32 exec_lo, exec_lo, s2
	v_and_b32_e32 v2, 0x7f800000, v1
                                        ; implicit-def: $vgpr32
	s_delay_alu instid0(VALU_DEP_1) | instskip(NEXT) | instid1(VALU_DEP_1)
	v_cmp_ne_u32_e64 s1, 0x7f800000, v2
	s_and_saveexec_b32 s2, s1
	s_delay_alu instid0(SALU_CYCLE_1)
	s_xor_b32 s1, exec_lo, s2
; %bb.17:                               ;   in Loop: Header=BB117_10 Depth=1
	v_bfe_u32 v2, v1, 16, 1
	s_delay_alu instid0(VALU_DEP_1)
	v_add3_u32 v32, v1, v2, 0x7fff
; %bb.18:                               ;   in Loop: Header=BB117_10 Depth=1
	s_and_not1_saveexec_b32 s2, s1
; %bb.19:                               ;   in Loop: Header=BB117_10 Depth=1
	v_and_b32_e32 v2, 0xffff, v1
	v_or_b32_e32 v9, 0x10000, v1
	s_delay_alu instid0(VALU_DEP_2) | instskip(NEXT) | instid1(VALU_DEP_1)
	v_cmp_eq_u32_e64 s1, 0, v2
	v_cndmask_b32_e64 v32, v9, v1, s1
; %bb.20:                               ;   in Loop: Header=BB117_10 Depth=1
	s_or_b32 exec_lo, exec_lo, s2
	v_and_b32_e32 v1, 0x7f800000, v0
                                        ; implicit-def: $vgpr33
	s_delay_alu instid0(VALU_DEP_1) | instskip(NEXT) | instid1(VALU_DEP_1)
	v_cmp_ne_u32_e64 s1, 0x7f800000, v1
	s_and_saveexec_b32 s2, s1
	s_delay_alu instid0(SALU_CYCLE_1)
	s_xor_b32 s1, exec_lo, s2
; %bb.21:                               ;   in Loop: Header=BB117_10 Depth=1
	v_bfe_u32 v1, v0, 16, 1
	s_delay_alu instid0(VALU_DEP_1)
	v_add3_u32 v33, v0, v1, 0x7fff
; %bb.22:                               ;   in Loop: Header=BB117_10 Depth=1
	s_and_not1_saveexec_b32 s2, s1
; %bb.23:                               ;   in Loop: Header=BB117_10 Depth=1
	v_and_b32_e32 v1, 0xffff, v0
	v_or_b32_e32 v2, 0x10000, v0
	s_delay_alu instid0(VALU_DEP_2) | instskip(NEXT) | instid1(VALU_DEP_1)
	v_cmp_eq_u32_e64 s1, 0, v1
	v_cndmask_b32_e64 v33, v2, v0, s1
; %bb.24:                               ;   in Loop: Header=BB117_10 Depth=1
	s_or_b32 exec_lo, exec_lo, s2
	v_and_b32_e32 v0, 0x7f800000, v3
                                        ; implicit-def: $vgpr34
	s_delay_alu instid0(VALU_DEP_1) | instskip(NEXT) | instid1(VALU_DEP_1)
	v_cmp_ne_u32_e64 s1, 0x7f800000, v0
	s_and_saveexec_b32 s2, s1
	s_delay_alu instid0(SALU_CYCLE_1)
	s_xor_b32 s1, exec_lo, s2
; %bb.25:                               ;   in Loop: Header=BB117_10 Depth=1
	v_bfe_u32 v0, v3, 16, 1
	s_delay_alu instid0(VALU_DEP_1)
	v_add3_u32 v34, v3, v0, 0x7fff
                                        ; implicit-def: $vgpr0_vgpr1_vgpr2_vgpr3
; %bb.26:                               ;   in Loop: Header=BB117_10 Depth=1
	s_and_not1_saveexec_b32 s2, s1
	s_cbranch_execz .LBB117_9
; %bb.27:                               ;   in Loop: Header=BB117_10 Depth=1
	v_and_b32_e32 v0, 0xffff, v3
	v_or_b32_e32 v1, 0x10000, v3
	s_delay_alu instid0(VALU_DEP_2) | instskip(NEXT) | instid1(VALU_DEP_1)
	v_cmp_eq_u32_e64 s1, 0, v0
	v_cndmask_b32_e64 v34, v1, v3, s1
	s_branch .LBB117_9
.LBB117_28:
	s_nop 0
	s_sendmsg sendmsg(MSG_DEALLOC_VGPRS)
	s_endpgm
	.section	.rodata,"a",@progbits
	.p2align	6, 0x0
	.amdhsa_kernel _ZN12tensorrt_llm7kernels32fusedQKNormRopeKernelNTokenHeadsIN3c108BFloat16ENS2_4HalfELi128ELb0ELi8EEEvPviiifPKvS7_S7_PKlii
		.amdhsa_group_segment_fixed_size 0
		.amdhsa_private_segment_fixed_size 0
		.amdhsa_kernarg_size 320
		.amdhsa_user_sgpr_count 15
		.amdhsa_user_sgpr_dispatch_ptr 0
		.amdhsa_user_sgpr_queue_ptr 0
		.amdhsa_user_sgpr_kernarg_segment_ptr 1
		.amdhsa_user_sgpr_dispatch_id 0
		.amdhsa_user_sgpr_private_segment_size 0
		.amdhsa_wavefront_size32 1
		.amdhsa_uses_dynamic_stack 0
		.amdhsa_enable_private_segment 0
		.amdhsa_system_sgpr_workgroup_id_x 1
		.amdhsa_system_sgpr_workgroup_id_y 0
		.amdhsa_system_sgpr_workgroup_id_z 0
		.amdhsa_system_sgpr_workgroup_info 0
		.amdhsa_system_vgpr_workitem_id 0
		.amdhsa_next_free_vgpr 42
		.amdhsa_next_free_sgpr 21
		.amdhsa_reserve_vcc 1
		.amdhsa_float_round_mode_32 0
		.amdhsa_float_round_mode_16_64 0
		.amdhsa_float_denorm_mode_32 3
		.amdhsa_float_denorm_mode_16_64 3
		.amdhsa_dx10_clamp 1
		.amdhsa_ieee_mode 1
		.amdhsa_fp16_overflow 0
		.amdhsa_workgroup_processor_mode 1
		.amdhsa_memory_ordered 1
		.amdhsa_forward_progress 0
		.amdhsa_shared_vgpr_count 0
		.amdhsa_exception_fp_ieee_invalid_op 0
		.amdhsa_exception_fp_denorm_src 0
		.amdhsa_exception_fp_ieee_div_zero 0
		.amdhsa_exception_fp_ieee_overflow 0
		.amdhsa_exception_fp_ieee_underflow 0
		.amdhsa_exception_fp_ieee_inexact 0
		.amdhsa_exception_int_div_zero 0
	.end_amdhsa_kernel
	.section	.text._ZN12tensorrt_llm7kernels32fusedQKNormRopeKernelNTokenHeadsIN3c108BFloat16ENS2_4HalfELi128ELb0ELi8EEEvPviiifPKvS7_S7_PKlii,"axG",@progbits,_ZN12tensorrt_llm7kernels32fusedQKNormRopeKernelNTokenHeadsIN3c108BFloat16ENS2_4HalfELi128ELb0ELi8EEEvPviiifPKvS7_S7_PKlii,comdat
.Lfunc_end117:
	.size	_ZN12tensorrt_llm7kernels32fusedQKNormRopeKernelNTokenHeadsIN3c108BFloat16ENS2_4HalfELi128ELb0ELi8EEEvPviiifPKvS7_S7_PKlii, .Lfunc_end117-_ZN12tensorrt_llm7kernels32fusedQKNormRopeKernelNTokenHeadsIN3c108BFloat16ENS2_4HalfELi128ELb0ELi8EEEvPviiifPKvS7_S7_PKlii
                                        ; -- End function
	.section	.AMDGPU.csdata,"",@progbits
; Kernel info:
; codeLenInByte = 2712
; NumSgprs: 23
; NumVgprs: 42
; ScratchSize: 0
; MemoryBound: 0
; FloatMode: 240
; IeeeMode: 1
; LDSByteSize: 0 bytes/workgroup (compile time only)
; SGPRBlocks: 2
; VGPRBlocks: 5
; NumSGPRsForWavesPerEU: 23
; NumVGPRsForWavesPerEU: 42
; Occupancy: 16
; WaveLimiterHint : 0
; COMPUTE_PGM_RSRC2:SCRATCH_EN: 0
; COMPUTE_PGM_RSRC2:USER_SGPR: 15
; COMPUTE_PGM_RSRC2:TRAP_HANDLER: 0
; COMPUTE_PGM_RSRC2:TGID_X_EN: 1
; COMPUTE_PGM_RSRC2:TGID_Y_EN: 0
; COMPUTE_PGM_RSRC2:TGID_Z_EN: 0
; COMPUTE_PGM_RSRC2:TIDIG_COMP_CNT: 0
	.section	.text._ZN12tensorrt_llm7kernels32fusedQKNormRopeKernelNTokenHeadsIN3c108BFloat16ENS2_4HalfELi256ELb1ELi8EEEvPviiifPKvS7_S7_PKlii,"axG",@progbits,_ZN12tensorrt_llm7kernels32fusedQKNormRopeKernelNTokenHeadsIN3c108BFloat16ENS2_4HalfELi256ELb1ELi8EEEvPviiifPKvS7_S7_PKlii,comdat
	.protected	_ZN12tensorrt_llm7kernels32fusedQKNormRopeKernelNTokenHeadsIN3c108BFloat16ENS2_4HalfELi256ELb1ELi8EEEvPviiifPKvS7_S7_PKlii ; -- Begin function _ZN12tensorrt_llm7kernels32fusedQKNormRopeKernelNTokenHeadsIN3c108BFloat16ENS2_4HalfELi256ELb1ELi8EEEvPviiifPKvS7_S7_PKlii
	.globl	_ZN12tensorrt_llm7kernels32fusedQKNormRopeKernelNTokenHeadsIN3c108BFloat16ENS2_4HalfELi256ELb1ELi8EEEvPviiifPKvS7_S7_PKlii
	.p2align	8
	.type	_ZN12tensorrt_llm7kernels32fusedQKNormRopeKernelNTokenHeadsIN3c108BFloat16ENS2_4HalfELi256ELb1ELi8EEEvPviiifPKvS7_S7_PKlii,@function
_ZN12tensorrt_llm7kernels32fusedQKNormRopeKernelNTokenHeadsIN3c108BFloat16ENS2_4HalfELi256ELb1ELi8EEEvPviiifPKvS7_S7_PKlii: ; @_ZN12tensorrt_llm7kernels32fusedQKNormRopeKernelNTokenHeadsIN3c108BFloat16ENS2_4HalfELi256ELb1ELi8EEEvPviiifPKvS7_S7_PKlii
; %bb.0:
	s_clause 0x1
	s_load_b128 s[16:19], s[0:1], 0x8
	s_load_b64 s[2:3], s[0:1], 0x38
	v_lshrrev_b32_e32 v2, 5, v0
	s_waitcnt lgkmcnt(0)
	s_add_i32 s4, s17, s16
	s_delay_alu instid0(SALU_CYCLE_1) | instskip(NEXT) | instid1(SALU_CYCLE_1)
	s_add_i32 s5, s4, 7
	s_ashr_i32 s6, s5, 31
	s_delay_alu instid0(SALU_CYCLE_1) | instskip(NEXT) | instid1(SALU_CYCLE_1)
	s_lshr_b32 s6, s6, 29
	s_add_i32 s5, s5, s6
	s_delay_alu instid0(SALU_CYCLE_1) | instskip(SKIP_2) | instid1(SALU_CYCLE_1)
	s_ashr_i32 s14, s5, 3
	s_load_b32 s5, s[0:1], 0x4c
	s_abs_i32 s6, s14
	v_cvt_f32_u32_e32 v1, s6
	s_sub_i32 s7, 0, s6
	s_delay_alu instid0(VALU_DEP_1) | instskip(SKIP_4) | instid1(SALU_CYCLE_1)
	v_rcp_iflag_f32_e32 v1, v1
	s_waitcnt_depctr 0xfff
	v_mul_f32_e32 v1, 0x4f7ffffe, v1
	s_waitcnt lgkmcnt(0)
	s_bfe_u32 s5, s5, 0xb0005
	v_mad_u64_u32 v[3:4], null, s15, s5, v[2:3]
	s_delay_alu instid0(VALU_DEP_2) | instskip(NEXT) | instid1(VALU_DEP_1)
	v_cvt_u32_f32_e32 v1, v1
	v_mul_lo_u32 v5, s7, v1
	s_delay_alu instid0(VALU_DEP_1) | instskip(NEXT) | instid1(VALU_DEP_4)
	v_mul_hi_u32 v4, v1, v5
	v_sub_nc_u32_e32 v5, 0, v3
	s_delay_alu instid0(VALU_DEP_1) | instskip(NEXT) | instid1(VALU_DEP_3)
	v_max_i32_e32 v5, v3, v5
	v_add_nc_u32_e32 v1, v1, v4
	s_delay_alu instid0(VALU_DEP_1) | instskip(NEXT) | instid1(VALU_DEP_1)
	v_mul_hi_u32 v1, v5, v1
	v_mul_lo_u32 v4, v1, s6
	s_delay_alu instid0(VALU_DEP_1) | instskip(SKIP_1) | instid1(VALU_DEP_2)
	v_sub_nc_u32_e32 v4, v5, v4
	v_add_nc_u32_e32 v5, 1, v1
	v_subrev_nc_u32_e32 v6, s6, v4
	v_cmp_le_u32_e32 vcc_lo, s6, v4
	s_delay_alu instid0(VALU_DEP_2) | instskip(SKIP_1) | instid1(VALU_DEP_2)
	v_dual_cndmask_b32 v4, v4, v6 :: v_dual_cndmask_b32 v1, v1, v5
	v_xor_b32_e32 v5, s14, v3
	v_cmp_le_u32_e32 vcc_lo, s6, v4
	s_delay_alu instid0(VALU_DEP_3) | instskip(NEXT) | instid1(VALU_DEP_3)
	v_add_nc_u32_e32 v6, 1, v1
	v_ashrrev_i32_e32 v5, 31, v5
	s_delay_alu instid0(VALU_DEP_2) | instskip(NEXT) | instid1(VALU_DEP_1)
	v_cndmask_b32_e32 v1, v1, v6, vcc_lo
	v_xor_b32_e32 v1, v1, v5
	s_delay_alu instid0(VALU_DEP_1) | instskip(NEXT) | instid1(VALU_DEP_1)
	v_sub_nc_u32_e32 v1, v1, v5
	v_cmp_gt_i32_e32 vcc_lo, s2, v1
	s_and_saveexec_b32 s2, vcc_lo
	s_cbranch_execz .LBB118_44
; %bb.1:
	v_mul_lo_u32 v4, v1, s14
	s_load_b64 s[12:13], s[0:1], 0x0
	v_and_b32_e32 v6, 31, v0
	v_lshlrev_b32_e32 v12, 12, v2
	s_lshl_b32 s20, s3, 1
	s_delay_alu instid0(SALU_CYCLE_1) | instskip(NEXT) | instid1(VALU_DEP_2)
	s_mul_i32 s15, s20, s5
	v_lshlrev_b32_e32 v7, 4, v6
	s_delay_alu instid0(VALU_DEP_4) | instskip(NEXT) | instid1(VALU_DEP_1)
	v_sub_nc_u32_e32 v4, v3, v4
	v_lshlrev_b32_e32 v14, 3, v4
	s_delay_alu instid0(VALU_DEP_1) | instskip(SKIP_1) | instid1(VALU_DEP_2)
	v_add_nc_u32_e32 v4, 8, v14
	v_sub_nc_u32_e32 v5, s4, v14
	v_cmp_lt_i32_e32 vcc_lo, s4, v4
	s_delay_alu instid0(VALU_DEP_2) | instskip(SKIP_1) | instid1(VALU_DEP_2)
	v_cndmask_b32_e32 v15, 8, v5, vcc_lo
	v_lshlrev_b32_e32 v5, 11, v3
	v_cmp_lt_i32_e32 vcc_lo, 0, v15
	s_and_saveexec_b32 s4, vcc_lo
	s_cbranch_execz .LBB118_4
; %bb.2:
	s_add_i32 s2, s18, s17
	s_lshl_b32 s5, s14, 3
	s_add_i32 s2, s2, s16
	s_mov_b32 s6, 0
	s_sub_i32 s2, s2, s5
	s_mov_b32 s5, 0
	v_mul_lo_u32 v3, s2, v1
	s_add_i32 s2, s15, 0
	s_delay_alu instid0(SALU_CYCLE_1) | instskip(NEXT) | instid1(VALU_DEP_2)
	v_add3_u32 v8, s2, v12, v7
	v_lshl_add_u32 v3, v3, 8, v5
	s_delay_alu instid0(VALU_DEP_1)
	v_lshl_or_b32 v3, v6, 3, v3
	.p2align	6
.LBB118_3:                              ; =>This Inner Loop Header: Depth=1
	s_delay_alu instid0(VALU_DEP_1) | instskip(SKIP_1) | instid1(VALU_DEP_1)
	v_ashrrev_i32_e32 v4, 31, v3
	s_add_i32 s6, s6, 1
	v_lshlrev_b64 v[9:10], 1, v[3:4]
	v_add_nc_u32_e32 v3, 0x100, v3
	s_waitcnt lgkmcnt(0)
	s_delay_alu instid0(VALU_DEP_2) | instskip(NEXT) | instid1(VALU_DEP_1)
	v_add_co_u32 v9, s2, s12, v9
	v_add_co_ci_u32_e64 v10, s2, s13, v10, s2
	v_cmp_ge_i32_e64 s2, s6, v15
	global_load_b128 v[16:19], v[9:10], off
	s_or_b32 s5, s2, s5
	s_waitcnt vmcnt(0)
	ds_store_b128 v8, v[16:19]
	v_add_nc_u32_e32 v8, 0x200, v8
	s_and_not1_b32 exec_lo, exec_lo, s5
	s_cbranch_execnz .LBB118_3
.LBB118_4:
	s_or_b32 exec_lo, exec_lo, s4
	s_load_b256 s[4:11], s[0:1], 0x18
	v_mul_lo_u32 v2, v2, s3
	s_add_i32 s0, s20, 15
	s_mov_b32 s20, exec_lo
	s_ashr_i32 s1, s0, 31
	s_delay_alu instid0(SALU_CYCLE_1) | instskip(NEXT) | instid1(SALU_CYCLE_1)
	s_lshr_b32 s1, s1, 28
	s_add_i32 s0, s0, s1
	s_delay_alu instid0(VALU_DEP_1) | instskip(SKIP_1) | instid1(SALU_CYCLE_1)
	v_lshlrev_b32_e32 v4, 1, v2
	s_ashr_i32 s2, s0, 4
	v_cmpx_gt_i32_e64 s2, v6
	s_cbranch_execz .LBB118_7
; %bb.5:
	v_ashrrev_i32_e32 v2, 31, v1
	v_and_b32_e32 v0, 31, v0
	s_delay_alu instid0(VALU_DEP_2) | instskip(NEXT) | instid1(VALU_DEP_2)
	v_lshlrev_b64 v[2:3], 3, v[1:2]
	v_lshlrev_b32_e32 v0, 4, v0
	s_waitcnt lgkmcnt(0)
	s_delay_alu instid0(VALU_DEP_2) | instskip(NEXT) | instid1(VALU_DEP_1)
	v_add_co_u32 v2, s0, s10, v2
	v_add_co_ci_u32_e64 v3, s0, s11, v3, s0
	s_ashr_i32 s0, s3, 31
	global_load_b64 v[2:3], v[2:3], off
	s_waitcnt vmcnt(0)
	v_mul_lo_u32 v3, v3, s3
	v_mul_lo_u32 v10, v2, s0
	v_mad_u64_u32 v[8:9], null, v2, s3, 0
	s_delay_alu instid0(VALU_DEP_1) | instskip(NEXT) | instid1(VALU_DEP_1)
	v_add3_u32 v9, v9, v10, v3
	v_lshlrev_b64 v[2:3], 1, v[8:9]
	v_mov_b32_e32 v8, v6
	s_delay_alu instid0(VALU_DEP_2) | instskip(NEXT) | instid1(VALU_DEP_1)
	v_add_co_u32 v2, s0, v2, v0
	v_add_co_ci_u32_e64 v3, s0, 0, v3, s0
	v_add3_u32 v0, v4, v7, 0
	s_delay_alu instid0(VALU_DEP_3) | instskip(NEXT) | instid1(VALU_DEP_1)
	v_add_co_u32 v2, s0, s8, v2
	v_add_co_ci_u32_e64 v3, s0, s9, v3, s0
	s_mov_b32 s8, 0
	.p2align	6
.LBB118_6:                              ; =>This Inner Loop Header: Depth=1
	global_load_b128 v[16:19], v[2:3], off
	v_add_nc_u32_e32 v8, 32, v8
	v_add_co_u32 v2, s0, 0x200, v2
	s_delay_alu instid0(VALU_DEP_1) | instskip(NEXT) | instid1(VALU_DEP_3)
	v_add_co_ci_u32_e64 v3, s0, 0, v3, s0
	v_cmp_le_i32_e64 s1, s2, v8
	s_delay_alu instid0(VALU_DEP_1)
	s_or_b32 s8, s1, s8
	s_waitcnt vmcnt(0)
	ds_store_b128 v0, v[16:19]
	v_add_nc_u32_e32 v0, 0x200, v0
	s_and_not1_b32 exec_lo, exec_lo, s8
	s_cbranch_execnz .LBB118_6
.LBB118_7:
	s_or_b32 exec_lo, exec_lo, s20
	s_delay_alu instid0(SALU_CYCLE_1)
	s_and_b32 exec_lo, exec_lo, vcc_lo
	s_cbranch_execz .LBB118_44
; %bb.8:
	s_waitcnt lgkmcnt(0)
	s_clause 0x5
	global_load_b32 v16, v7, s[6:7] offset:2
	global_load_b64 v[8:9], v7, s[4:5] offset:8
	global_load_u16 v17, v7, s[4:5]
	global_load_u16 v18, v7, s[6:7]
	global_load_b32 v19, v7, s[4:5] offset:2
	global_load_b64 v[10:11], v7, s[6:7] offset:8
	v_mbcnt_lo_u32_b32 v2, -1, 0
	s_lshr_b32 s0, s3, 31
	s_ashr_i32 s1, s3, 31
	s_add_i32 s0, s3, s0
	s_lshr_b32 s1, s1, 29
	v_add_nc_u32_e32 v3, s15, v12
	v_xor_b32_e32 v12, 16, v2
	v_xor_b32_e32 v13, 8, v2
	v_lshlrev_b32_e32 v0, 3, v6
	v_xor_b32_e32 v22, 4, v2
	v_add3_u32 v21, v3, v7, 0
	v_xor_b32_e32 v23, 2, v2
	s_add_i32 s2, s18, s17
	v_add3_u32 v20, 0, v4, v0
	s_add_i32 s2, s2, s16
	v_xor_b32_e32 v24, 1, v2
	s_clause 0x1
	global_load_d16_hi_b16 v17, v7, s[4:5] offset:6
	global_load_d16_hi_b16 v18, v7, s[6:7] offset:6
	s_and_b32 s5, s0, -2
	s_add_i32 s0, s3, s1
	s_lshl_b32 s4, s14, 3
	s_ashr_i32 s0, s0, 3
	s_sub_i32 s1, s2, s4
	v_cmp_le_i32_e32 vcc_lo, s0, v6
	v_cmp_gt_i32_e64 s0, 32, v12
	v_mul_lo_u32 v1, s1, v1
	s_waitcnt vmcnt(3)
	v_lshrrev_b32_e32 v28, 16, v19
	v_lshrrev_b32_e32 v29, 16, v16
	;; [unrolled: 1-line block ×3, first 2 shown]
	v_cndmask_b32_e64 v3, v2, v12, s0
	v_cmp_gt_i32_e64 s0, 32, v13
	s_waitcnt vmcnt(2)
	v_lshrrev_b32_e32 v31, 16, v10
	v_lshrrev_b32_e32 v32, 16, v9
	v_lshl_add_u32 v1, v1, 8, v5
	v_lshrrev_b32_e32 v35, 16, v11
	v_cndmask_b32_e64 v4, v2, v13, s0
	v_cmp_gt_i32_e64 s0, 32, v22
	s_mov_b32 s2, 0
	v_or_b32_e32 v12, v1, v0
	s_mov_b32 s3, 0
	s_delay_alu instid0(VALU_DEP_2) | instskip(SKIP_2) | instid1(VALU_DEP_3)
	v_cndmask_b32_e64 v6, v2, v22, s0
	v_cmp_gt_i32_e64 s0, 32, v23
	v_add_nc_u32_e32 v22, s5, v20
	v_lshlrev_b32_e32 v25, 2, v6
	s_delay_alu instid0(VALU_DEP_3) | instskip(SKIP_2) | instid1(VALU_DEP_3)
	v_cndmask_b32_e64 v7, v2, v23, s0
	v_cmp_gt_i32_e64 s0, 32, v24
	v_lshlrev_b32_e32 v23, 2, v3
	v_lshlrev_b32_e32 v26, 2, v7
	s_delay_alu instid0(VALU_DEP_3) | instskip(SKIP_1) | instid1(VALU_DEP_2)
	v_cndmask_b32_e64 v2, v2, v24, s0
	v_lshlrev_b32_e32 v24, 2, v4
	v_lshlrev_b32_e32 v27, 2, v2
	s_waitcnt vmcnt(1)
	v_lshrrev_b32_e32 v33, 16, v17
	s_waitcnt vmcnt(0)
	v_lshrrev_b32_e32 v34, 16, v18
	s_branch .LBB118_10
.LBB118_9:                              ;   in Loop: Header=BB118_10 Depth=1
	s_or_b32 exec_lo, exec_lo, s1
	v_ashrrev_i32_e32 v13, 31, v12
	s_delay_alu instid0(VALU_DEP_2)
	v_perm_b32 v5, v6, v5, 0x7060302
	s_add_i32 s3, s3, 1
	v_perm_b32 v4, v4, v3, 0x7060302
	v_perm_b32 v3, v2, v1, 0x7060302
	v_lshlrev_b64 v[6:7], 1, v[12:13]
	v_perm_b32 v2, v0, v39, 0x7060302
	v_cmp_ge_i32_e64 s0, s3, v15
	v_add_nc_u32_e32 v12, 0x100, v12
	v_add_nc_u32_e32 v21, 0x200, v21
	v_add_co_u32 v0, s1, s12, v6
	s_delay_alu instid0(VALU_DEP_1)
	v_add_co_ci_u32_e64 v1, s1, s13, v7, s1
	s_or_b32 s2, s0, s2
	global_store_b128 v[0:1], v[2:5], off
	s_and_not1_b32 exec_lo, exec_lo, s2
	s_cbranch_execz .LBB118_44
.LBB118_10:                             ; =>This Inner Loop Header: Depth=1
	ds_load_b128 v[0:3], v21
	v_add_nc_u32_e32 v37, s3, v14
	s_delay_alu instid0(VALU_DEP_1) | instskip(NEXT) | instid1(VALU_DEP_1)
	v_cmp_gt_i32_e64 s1, s16, v37
	v_cndmask_b32_e64 v38, v34, v33, s1
	v_cndmask_b32_e64 v39, v18, v17, s1
	;; [unrolled: 1-line block ×6, first 2 shown]
	v_lshlrev_b32_e32 v39, 16, v39
	v_lshlrev_b32_e32 v38, 16, v38
	v_lshlrev_b32_e32 v41, 16, v41
	s_waitcnt lgkmcnt(0)
	v_lshlrev_b32_e32 v6, 16, v1
	v_and_b32_e32 v4, 0xffff0000, v0
	v_and_b32_e32 v1, 0xffff0000, v1
	v_lshlrev_b32_e32 v0, 16, v0
	v_lshlrev_b32_e32 v7, 16, v2
	s_delay_alu instid0(VALU_DEP_4) | instskip(SKIP_3) | instid1(VALU_DEP_4)
	v_dual_mul_f32 v5, v4, v4 :: v_dual_and_b32 v2, 0xffff0000, v2
	v_cndmask_b32_e64 v44, v11, v9, s1
	v_lshlrev_b32_e32 v37, 16, v37
	v_lshlrev_b32_e32 v40, 16, v40
	v_dual_fmac_f32 v5, v0, v0 :: v_dual_lshlrev_b32 v42, 16, v42
	s_delay_alu instid0(VALU_DEP_1) | instskip(NEXT) | instid1(VALU_DEP_1)
	v_fmac_f32_e32 v5, v6, v6
	v_fmac_f32_e32 v5, v1, v1
	s_delay_alu instid0(VALU_DEP_1) | instskip(SKIP_2) | instid1(VALU_DEP_3)
	v_fmac_f32_e32 v5, v7, v7
	v_lshlrev_b32_e32 v36, 16, v3
	v_and_b32_e32 v3, 0xffff0000, v3
	v_fmac_f32_e32 v5, v2, v2
	s_delay_alu instid0(VALU_DEP_1) | instskip(NEXT) | instid1(VALU_DEP_1)
	v_fmac_f32_e32 v5, v36, v36
	v_fmac_f32_e32 v5, v3, v3
	ds_bpermute_b32 v13, v23, v5
	s_waitcnt lgkmcnt(0)
	v_add_f32_e32 v5, v5, v13
	ds_bpermute_b32 v13, v24, v5
	s_waitcnt lgkmcnt(0)
	v_add_f32_e32 v5, v5, v13
	;; [unrolled: 3-line block ×5, first 2 shown]
	s_delay_alu instid0(VALU_DEP_1) | instskip(NEXT) | instid1(VALU_DEP_1)
	v_fma_f32 v5, 0x3b800000, v5, s19
	v_mul_f32_e32 v13, 0x4b800000, v5
	v_cmp_gt_f32_e64 s0, 0x800000, v5
	s_delay_alu instid0(VALU_DEP_1) | instskip(SKIP_1) | instid1(VALU_DEP_2)
	v_cndmask_b32_e64 v5, v5, v13, s0
	v_cndmask_b32_e64 v13, v29, v28, s1
	v_rsq_f32_e32 v5, v5
	s_delay_alu instid0(VALU_DEP_1) | instskip(SKIP_2) | instid1(VALU_DEP_1)
	v_lshlrev_b32_e32 v13, 16, v13
	s_waitcnt_depctr 0xfff
	v_mul_f32_e32 v43, 0x45800000, v5
	v_cndmask_b32_e64 v5, v5, v43, s0
	v_lshlrev_b32_e32 v43, 16, v44
	s_delay_alu instid0(VALU_DEP_2)
	v_mul_f32_e32 v39, v5, v39
	v_mul_f32_e32 v38, v5, v38
	;; [unrolled: 1-line block ×7, first 2 shown]
	v_dual_mul_f32 v5, v5, v42 :: v_dual_mul_f32 v40, v38, v1
	v_dual_mul_f32 v0, v39, v0 :: v_dual_mul_f32 v41, v13, v6
	s_delay_alu instid0(VALU_DEP_3) | instskip(SKIP_4) | instid1(SALU_CYCLE_1)
	v_mul_f32_e32 v36, v43, v36
	v_mul_f32_e32 v42, v37, v4
	v_dual_mul_f32 v37, v45, v2 :: v_dual_mul_f32 v38, v44, v7
	v_mul_f32_e32 v13, v5, v3
	s_and_saveexec_b32 s0, vcc_lo
	s_xor_b32 s0, exec_lo, s0
	s_delay_alu instid0(SALU_CYCLE_1)
	s_and_not1_saveexec_b32 s0, s0
	s_cbranch_execz .LBB118_12
; %bb.11:                               ;   in Loop: Header=BB118_10 Depth=1
	ds_load_b64 v[2:3], v20
	ds_load_b64 v[4:5], v22
	s_waitcnt lgkmcnt(1)
	v_cvt_f32_f16_e32 v6, v2
	s_waitcnt lgkmcnt(0)
	v_lshrrev_b32_e32 v7, 16, v4
	v_cvt_f32_f16_e32 v39, v4
	v_lshrrev_b32_e32 v43, 16, v5
	v_cvt_f32_f16_e32 v44, v5
	v_cvt_f32_f16_e32 v45, v3
	v_lshrrev_b32_e32 v1, 16, v3
	v_cvt_f32_f16_e32 v7, v7
	v_mul_f32_e32 v39, v42, v39
	v_mul_f32_e32 v6, v42, v6
	;; [unrolled: 1-line block ×4, first 2 shown]
	v_cvt_f32_f16_e32 v43, v43
	v_cvt_f32_f16_e32 v44, v1
	v_fma_mix_f32 v1, v0, v2, -v39 op_sel_hi:[0,1,0]
	v_mul_f32_e32 v39, v40, v7
	v_fma_mix_f32 v45, v38, v3, -v42 op_sel_hi:[0,1,0]
	v_fma_mix_f32 v37, v38, v5, v37 op_sel_hi:[0,1,0]
	v_mul_f32_e32 v38, v13, v43
	v_mul_f32_e32 v7, v41, v7
	;; [unrolled: 1-line block ×3, first 2 shown]
	v_fma_mix_f32 v41, v41, v2, -v39 op_sel:[0,1,0] op_sel_hi:[0,1,0]
	v_fma_mix_f32 v42, v0, v4, v6 op_sel_hi:[0,1,0]
	v_fma_mix_f32 v39, v36, v3, -v38 op_sel:[0,1,0] op_sel_hi:[0,1,0]
	v_mov_b32_e32 v38, v45
	v_fma_mix_f32 v13, v36, v5, v13 op_sel:[0,1,0] op_sel_hi:[0,1,0]
	s_delay_alu instid0(VALU_DEP_3)
	v_mov_b32_e32 v36, v39
	v_fma_mix_f32 v40, v40, v2, v7 op_sel:[0,1,0] op_sel_hi:[0,1,0]
	v_mov_b32_e32 v0, v1
	v_mov_b32_e32 v1, v2
	;; [unrolled: 1-line block ×8, first 2 shown]
.LBB118_12:                             ;   in Loop: Header=BB118_10 Depth=1
	s_or_b32 exec_lo, exec_lo, s0
	v_and_b32_e32 v1, 0x7f800000, v0
                                        ; implicit-def: $vgpr39
	s_delay_alu instid0(VALU_DEP_1) | instskip(NEXT) | instid1(VALU_DEP_1)
	v_cmp_ne_u32_e64 s0, 0x7f800000, v1
	s_and_saveexec_b32 s1, s0
	s_delay_alu instid0(SALU_CYCLE_1)
	s_xor_b32 s0, exec_lo, s1
; %bb.13:                               ;   in Loop: Header=BB118_10 Depth=1
	v_bfe_u32 v1, v0, 16, 1
	s_delay_alu instid0(VALU_DEP_1)
	v_add3_u32 v39, v0, v1, 0x7fff
                                        ; implicit-def: $vgpr0_vgpr1_vgpr2_vgpr3_vgpr4_vgpr5_vgpr6_vgpr7
; %bb.14:                               ;   in Loop: Header=BB118_10 Depth=1
	s_and_not1_saveexec_b32 s1, s0
; %bb.15:                               ;   in Loop: Header=BB118_10 Depth=1
	v_and_b32_e32 v1, 0xffff, v0
	v_or_b32_e32 v2, 0x10000, v0
	s_delay_alu instid0(VALU_DEP_2) | instskip(NEXT) | instid1(VALU_DEP_1)
	v_cmp_eq_u32_e64 s0, 0, v1
	v_cndmask_b32_e64 v39, v2, v0, s0
; %bb.16:                               ;   in Loop: Header=BB118_10 Depth=1
	s_or_b32 exec_lo, exec_lo, s1
	v_and_b32_e32 v0, 0x7f800000, v42
	s_delay_alu instid0(VALU_DEP_1) | instskip(NEXT) | instid1(VALU_DEP_1)
	v_cmp_ne_u32_e64 s0, 0x7f800000, v0
                                        ; implicit-def: $vgpr0
	s_and_saveexec_b32 s1, s0
	s_delay_alu instid0(SALU_CYCLE_1)
	s_xor_b32 s0, exec_lo, s1
; %bb.17:                               ;   in Loop: Header=BB118_10 Depth=1
	v_bfe_u32 v0, v42, 16, 1
	s_delay_alu instid0(VALU_DEP_1)
	v_add3_u32 v0, v42, v0, 0x7fff
                                        ; implicit-def: $vgpr42
; %bb.18:                               ;   in Loop: Header=BB118_10 Depth=1
	s_and_not1_saveexec_b32 s1, s0
; %bb.19:                               ;   in Loop: Header=BB118_10 Depth=1
	v_and_b32_e32 v0, 0xffff, v42
	v_or_b32_e32 v1, 0x10000, v42
	s_delay_alu instid0(VALU_DEP_2) | instskip(NEXT) | instid1(VALU_DEP_1)
	v_cmp_eq_u32_e64 s0, 0, v0
	v_cndmask_b32_e64 v0, v1, v42, s0
; %bb.20:                               ;   in Loop: Header=BB118_10 Depth=1
	s_or_b32 exec_lo, exec_lo, s1
	v_and_b32_e32 v1, 0x7f800000, v41
	s_delay_alu instid0(VALU_DEP_1) | instskip(NEXT) | instid1(VALU_DEP_1)
	v_cmp_ne_u32_e64 s0, 0x7f800000, v1
                                        ; implicit-def: $vgpr1
	s_and_saveexec_b32 s1, s0
	s_delay_alu instid0(SALU_CYCLE_1)
	s_xor_b32 s0, exec_lo, s1
; %bb.21:                               ;   in Loop: Header=BB118_10 Depth=1
	v_bfe_u32 v1, v41, 16, 1
	s_delay_alu instid0(VALU_DEP_1)
	v_add3_u32 v1, v41, v1, 0x7fff
                                        ; implicit-def: $vgpr41
; %bb.22:                               ;   in Loop: Header=BB118_10 Depth=1
	s_and_not1_saveexec_b32 s1, s0
; %bb.23:                               ;   in Loop: Header=BB118_10 Depth=1
	v_and_b32_e32 v1, 0xffff, v41
	v_or_b32_e32 v2, 0x10000, v41
	s_delay_alu instid0(VALU_DEP_2) | instskip(NEXT) | instid1(VALU_DEP_1)
	v_cmp_eq_u32_e64 s0, 0, v1
	v_cndmask_b32_e64 v1, v2, v41, s0
; %bb.24:                               ;   in Loop: Header=BB118_10 Depth=1
	s_or_b32 exec_lo, exec_lo, s1
	v_and_b32_e32 v2, 0x7f800000, v40
	s_delay_alu instid0(VALU_DEP_1) | instskip(NEXT) | instid1(VALU_DEP_1)
	v_cmp_ne_u32_e64 s0, 0x7f800000, v2
                                        ; implicit-def: $vgpr2
	s_and_saveexec_b32 s1, s0
	s_delay_alu instid0(SALU_CYCLE_1)
	s_xor_b32 s0, exec_lo, s1
; %bb.25:                               ;   in Loop: Header=BB118_10 Depth=1
	v_bfe_u32 v2, v40, 16, 1
	s_delay_alu instid0(VALU_DEP_1)
	v_add3_u32 v2, v40, v2, 0x7fff
                                        ; implicit-def: $vgpr40
; %bb.26:                               ;   in Loop: Header=BB118_10 Depth=1
	s_and_not1_saveexec_b32 s1, s0
; %bb.27:                               ;   in Loop: Header=BB118_10 Depth=1
	v_and_b32_e32 v2, 0xffff, v40
	v_or_b32_e32 v3, 0x10000, v40
	s_delay_alu instid0(VALU_DEP_2) | instskip(NEXT) | instid1(VALU_DEP_1)
	v_cmp_eq_u32_e64 s0, 0, v2
	v_cndmask_b32_e64 v2, v3, v40, s0
; %bb.28:                               ;   in Loop: Header=BB118_10 Depth=1
	s_or_b32 exec_lo, exec_lo, s1
	v_and_b32_e32 v3, 0x7f800000, v38
	s_delay_alu instid0(VALU_DEP_1) | instskip(NEXT) | instid1(VALU_DEP_1)
	v_cmp_ne_u32_e64 s0, 0x7f800000, v3
                                        ; implicit-def: $vgpr3
	s_and_saveexec_b32 s1, s0
	s_delay_alu instid0(SALU_CYCLE_1)
	s_xor_b32 s0, exec_lo, s1
; %bb.29:                               ;   in Loop: Header=BB118_10 Depth=1
	v_bfe_u32 v3, v38, 16, 1
	s_delay_alu instid0(VALU_DEP_1)
	v_add3_u32 v3, v38, v3, 0x7fff
                                        ; implicit-def: $vgpr38
; %bb.30:                               ;   in Loop: Header=BB118_10 Depth=1
	s_and_not1_saveexec_b32 s1, s0
; %bb.31:                               ;   in Loop: Header=BB118_10 Depth=1
	v_and_b32_e32 v3, 0xffff, v38
	v_or_b32_e32 v4, 0x10000, v38
	s_delay_alu instid0(VALU_DEP_2) | instskip(NEXT) | instid1(VALU_DEP_1)
	v_cmp_eq_u32_e64 s0, 0, v3
	v_cndmask_b32_e64 v3, v4, v38, s0
; %bb.32:                               ;   in Loop: Header=BB118_10 Depth=1
	s_or_b32 exec_lo, exec_lo, s1
	v_and_b32_e32 v4, 0x7f800000, v37
	s_delay_alu instid0(VALU_DEP_1) | instskip(NEXT) | instid1(VALU_DEP_1)
	v_cmp_ne_u32_e64 s0, 0x7f800000, v4
                                        ; implicit-def: $vgpr4
	s_and_saveexec_b32 s1, s0
	s_delay_alu instid0(SALU_CYCLE_1)
	s_xor_b32 s0, exec_lo, s1
; %bb.33:                               ;   in Loop: Header=BB118_10 Depth=1
	v_bfe_u32 v4, v37, 16, 1
	s_delay_alu instid0(VALU_DEP_1)
	v_add3_u32 v4, v37, v4, 0x7fff
                                        ; implicit-def: $vgpr37
; %bb.34:                               ;   in Loop: Header=BB118_10 Depth=1
	s_and_not1_saveexec_b32 s1, s0
; %bb.35:                               ;   in Loop: Header=BB118_10 Depth=1
	v_and_b32_e32 v4, 0xffff, v37
	v_or_b32_e32 v5, 0x10000, v37
	s_delay_alu instid0(VALU_DEP_2) | instskip(NEXT) | instid1(VALU_DEP_1)
	v_cmp_eq_u32_e64 s0, 0, v4
	v_cndmask_b32_e64 v4, v5, v37, s0
; %bb.36:                               ;   in Loop: Header=BB118_10 Depth=1
	s_or_b32 exec_lo, exec_lo, s1
	v_and_b32_e32 v5, 0x7f800000, v36
	s_delay_alu instid0(VALU_DEP_1) | instskip(NEXT) | instid1(VALU_DEP_1)
	v_cmp_ne_u32_e64 s0, 0x7f800000, v5
                                        ; implicit-def: $vgpr5
	s_and_saveexec_b32 s1, s0
	s_delay_alu instid0(SALU_CYCLE_1)
	s_xor_b32 s0, exec_lo, s1
; %bb.37:                               ;   in Loop: Header=BB118_10 Depth=1
	v_bfe_u32 v5, v36, 16, 1
	s_delay_alu instid0(VALU_DEP_1)
	v_add3_u32 v5, v36, v5, 0x7fff
                                        ; implicit-def: $vgpr36
; %bb.38:                               ;   in Loop: Header=BB118_10 Depth=1
	s_and_not1_saveexec_b32 s1, s0
; %bb.39:                               ;   in Loop: Header=BB118_10 Depth=1
	v_and_b32_e32 v5, 0xffff, v36
	v_or_b32_e32 v6, 0x10000, v36
	s_delay_alu instid0(VALU_DEP_2) | instskip(NEXT) | instid1(VALU_DEP_1)
	v_cmp_eq_u32_e64 s0, 0, v5
	v_cndmask_b32_e64 v5, v6, v36, s0
; %bb.40:                               ;   in Loop: Header=BB118_10 Depth=1
	s_or_b32 exec_lo, exec_lo, s1
	v_and_b32_e32 v6, 0x7f800000, v13
	s_delay_alu instid0(VALU_DEP_1) | instskip(NEXT) | instid1(VALU_DEP_1)
	v_cmp_ne_u32_e64 s0, 0x7f800000, v6
                                        ; implicit-def: $vgpr6
	s_and_saveexec_b32 s1, s0
	s_delay_alu instid0(SALU_CYCLE_1)
	s_xor_b32 s0, exec_lo, s1
; %bb.41:                               ;   in Loop: Header=BB118_10 Depth=1
	v_bfe_u32 v6, v13, 16, 1
	s_delay_alu instid0(VALU_DEP_1)
	v_add3_u32 v6, v13, v6, 0x7fff
                                        ; implicit-def: $vgpr13
; %bb.42:                               ;   in Loop: Header=BB118_10 Depth=1
	s_and_not1_saveexec_b32 s1, s0
	s_cbranch_execz .LBB118_9
; %bb.43:                               ;   in Loop: Header=BB118_10 Depth=1
	v_and_b32_e32 v6, 0xffff, v13
	v_or_b32_e32 v7, 0x10000, v13
	s_delay_alu instid0(VALU_DEP_2) | instskip(NEXT) | instid1(VALU_DEP_1)
	v_cmp_eq_u32_e64 s0, 0, v6
	v_cndmask_b32_e64 v6, v7, v13, s0
	s_branch .LBB118_9
.LBB118_44:
	s_nop 0
	s_sendmsg sendmsg(MSG_DEALLOC_VGPRS)
	s_endpgm
	.section	.rodata,"a",@progbits
	.p2align	6, 0x0
	.amdhsa_kernel _ZN12tensorrt_llm7kernels32fusedQKNormRopeKernelNTokenHeadsIN3c108BFloat16ENS2_4HalfELi256ELb1ELi8EEEvPviiifPKvS7_S7_PKlii
		.amdhsa_group_segment_fixed_size 0
		.amdhsa_private_segment_fixed_size 0
		.amdhsa_kernarg_size 320
		.amdhsa_user_sgpr_count 15
		.amdhsa_user_sgpr_dispatch_ptr 0
		.amdhsa_user_sgpr_queue_ptr 0
		.amdhsa_user_sgpr_kernarg_segment_ptr 1
		.amdhsa_user_sgpr_dispatch_id 0
		.amdhsa_user_sgpr_private_segment_size 0
		.amdhsa_wavefront_size32 1
		.amdhsa_uses_dynamic_stack 0
		.amdhsa_enable_private_segment 0
		.amdhsa_system_sgpr_workgroup_id_x 1
		.amdhsa_system_sgpr_workgroup_id_y 0
		.amdhsa_system_sgpr_workgroup_id_z 0
		.amdhsa_system_sgpr_workgroup_info 0
		.amdhsa_system_vgpr_workitem_id 0
		.amdhsa_next_free_vgpr 46
		.amdhsa_next_free_sgpr 21
		.amdhsa_reserve_vcc 1
		.amdhsa_float_round_mode_32 0
		.amdhsa_float_round_mode_16_64 0
		.amdhsa_float_denorm_mode_32 3
		.amdhsa_float_denorm_mode_16_64 3
		.amdhsa_dx10_clamp 1
		.amdhsa_ieee_mode 1
		.amdhsa_fp16_overflow 0
		.amdhsa_workgroup_processor_mode 1
		.amdhsa_memory_ordered 1
		.amdhsa_forward_progress 0
		.amdhsa_shared_vgpr_count 0
		.amdhsa_exception_fp_ieee_invalid_op 0
		.amdhsa_exception_fp_denorm_src 0
		.amdhsa_exception_fp_ieee_div_zero 0
		.amdhsa_exception_fp_ieee_overflow 0
		.amdhsa_exception_fp_ieee_underflow 0
		.amdhsa_exception_fp_ieee_inexact 0
		.amdhsa_exception_int_div_zero 0
	.end_amdhsa_kernel
	.section	.text._ZN12tensorrt_llm7kernels32fusedQKNormRopeKernelNTokenHeadsIN3c108BFloat16ENS2_4HalfELi256ELb1ELi8EEEvPviiifPKvS7_S7_PKlii,"axG",@progbits,_ZN12tensorrt_llm7kernels32fusedQKNormRopeKernelNTokenHeadsIN3c108BFloat16ENS2_4HalfELi256ELb1ELi8EEEvPviiifPKvS7_S7_PKlii,comdat
.Lfunc_end118:
	.size	_ZN12tensorrt_llm7kernels32fusedQKNormRopeKernelNTokenHeadsIN3c108BFloat16ENS2_4HalfELi256ELb1ELi8EEEvPviiifPKvS7_S7_PKlii, .Lfunc_end118-_ZN12tensorrt_llm7kernels32fusedQKNormRopeKernelNTokenHeadsIN3c108BFloat16ENS2_4HalfELi256ELb1ELi8EEEvPviiifPKvS7_S7_PKlii
                                        ; -- End function
	.section	.AMDGPU.csdata,"",@progbits
; Kernel info:
; codeLenInByte = 2892
; NumSgprs: 23
; NumVgprs: 46
; ScratchSize: 0
; MemoryBound: 0
; FloatMode: 240
; IeeeMode: 1
; LDSByteSize: 0 bytes/workgroup (compile time only)
; SGPRBlocks: 2
; VGPRBlocks: 5
; NumSGPRsForWavesPerEU: 23
; NumVGPRsForWavesPerEU: 46
; Occupancy: 16
; WaveLimiterHint : 0
; COMPUTE_PGM_RSRC2:SCRATCH_EN: 0
; COMPUTE_PGM_RSRC2:USER_SGPR: 15
; COMPUTE_PGM_RSRC2:TRAP_HANDLER: 0
; COMPUTE_PGM_RSRC2:TGID_X_EN: 1
; COMPUTE_PGM_RSRC2:TGID_Y_EN: 0
; COMPUTE_PGM_RSRC2:TGID_Z_EN: 0
; COMPUTE_PGM_RSRC2:TIDIG_COMP_CNT: 0
	.section	.text._ZN12tensorrt_llm7kernels32fusedQKNormRopeKernelNTokenHeadsIN3c108BFloat16ENS2_4HalfELi256ELb0ELi8EEEvPviiifPKvS7_S7_PKlii,"axG",@progbits,_ZN12tensorrt_llm7kernels32fusedQKNormRopeKernelNTokenHeadsIN3c108BFloat16ENS2_4HalfELi256ELb0ELi8EEEvPviiifPKvS7_S7_PKlii,comdat
	.protected	_ZN12tensorrt_llm7kernels32fusedQKNormRopeKernelNTokenHeadsIN3c108BFloat16ENS2_4HalfELi256ELb0ELi8EEEvPviiifPKvS7_S7_PKlii ; -- Begin function _ZN12tensorrt_llm7kernels32fusedQKNormRopeKernelNTokenHeadsIN3c108BFloat16ENS2_4HalfELi256ELb0ELi8EEEvPviiifPKvS7_S7_PKlii
	.globl	_ZN12tensorrt_llm7kernels32fusedQKNormRopeKernelNTokenHeadsIN3c108BFloat16ENS2_4HalfELi256ELb0ELi8EEEvPviiifPKvS7_S7_PKlii
	.p2align	8
	.type	_ZN12tensorrt_llm7kernels32fusedQKNormRopeKernelNTokenHeadsIN3c108BFloat16ENS2_4HalfELi256ELb0ELi8EEEvPviiifPKvS7_S7_PKlii,@function
_ZN12tensorrt_llm7kernels32fusedQKNormRopeKernelNTokenHeadsIN3c108BFloat16ENS2_4HalfELi256ELb0ELi8EEEvPviiifPKvS7_S7_PKlii: ; @_ZN12tensorrt_llm7kernels32fusedQKNormRopeKernelNTokenHeadsIN3c108BFloat16ENS2_4HalfELi256ELb0ELi8EEEvPviiifPKvS7_S7_PKlii
; %bb.0:
	s_clause 0x1
	s_load_b128 s[16:19], s[0:1], 0x8
	s_load_b64 s[2:3], s[0:1], 0x38
	v_lshrrev_b32_e32 v2, 5, v0
	s_waitcnt lgkmcnt(0)
	s_add_i32 s4, s17, s16
	s_delay_alu instid0(SALU_CYCLE_1) | instskip(NEXT) | instid1(SALU_CYCLE_1)
	s_add_i32 s5, s4, 7
	s_ashr_i32 s6, s5, 31
	s_delay_alu instid0(SALU_CYCLE_1) | instskip(NEXT) | instid1(SALU_CYCLE_1)
	s_lshr_b32 s6, s6, 29
	s_add_i32 s5, s5, s6
	s_delay_alu instid0(SALU_CYCLE_1) | instskip(SKIP_2) | instid1(SALU_CYCLE_1)
	s_ashr_i32 s14, s5, 3
	s_load_b32 s5, s[0:1], 0x4c
	s_abs_i32 s6, s14
	v_cvt_f32_u32_e32 v1, s6
	s_sub_i32 s7, 0, s6
	s_delay_alu instid0(VALU_DEP_1) | instskip(SKIP_4) | instid1(SALU_CYCLE_1)
	v_rcp_iflag_f32_e32 v1, v1
	s_waitcnt_depctr 0xfff
	v_mul_f32_e32 v1, 0x4f7ffffe, v1
	s_waitcnt lgkmcnt(0)
	s_bfe_u32 s5, s5, 0xb0005
	v_mad_u64_u32 v[3:4], null, s15, s5, v[2:3]
	s_delay_alu instid0(VALU_DEP_2) | instskip(NEXT) | instid1(VALU_DEP_1)
	v_cvt_u32_f32_e32 v1, v1
	v_mul_lo_u32 v5, s7, v1
	s_delay_alu instid0(VALU_DEP_1) | instskip(NEXT) | instid1(VALU_DEP_4)
	v_mul_hi_u32 v4, v1, v5
	v_sub_nc_u32_e32 v5, 0, v3
	s_delay_alu instid0(VALU_DEP_1) | instskip(NEXT) | instid1(VALU_DEP_3)
	v_max_i32_e32 v5, v3, v5
	v_add_nc_u32_e32 v1, v1, v4
	s_delay_alu instid0(VALU_DEP_1) | instskip(NEXT) | instid1(VALU_DEP_1)
	v_mul_hi_u32 v1, v5, v1
	v_mul_lo_u32 v4, v1, s6
	s_delay_alu instid0(VALU_DEP_1) | instskip(SKIP_1) | instid1(VALU_DEP_2)
	v_sub_nc_u32_e32 v4, v5, v4
	v_add_nc_u32_e32 v5, 1, v1
	v_subrev_nc_u32_e32 v6, s6, v4
	v_cmp_le_u32_e32 vcc_lo, s6, v4
	s_delay_alu instid0(VALU_DEP_2) | instskip(SKIP_1) | instid1(VALU_DEP_2)
	v_dual_cndmask_b32 v4, v4, v6 :: v_dual_cndmask_b32 v1, v1, v5
	v_xor_b32_e32 v5, s14, v3
	v_cmp_le_u32_e32 vcc_lo, s6, v4
	s_delay_alu instid0(VALU_DEP_3) | instskip(NEXT) | instid1(VALU_DEP_3)
	v_add_nc_u32_e32 v6, 1, v1
	v_ashrrev_i32_e32 v5, 31, v5
	s_delay_alu instid0(VALU_DEP_2) | instskip(NEXT) | instid1(VALU_DEP_1)
	v_cndmask_b32_e32 v1, v1, v6, vcc_lo
	v_xor_b32_e32 v1, v1, v5
	s_delay_alu instid0(VALU_DEP_1) | instskip(NEXT) | instid1(VALU_DEP_1)
	v_sub_nc_u32_e32 v1, v1, v5
	v_cmp_gt_i32_e32 vcc_lo, s2, v1
	s_and_saveexec_b32 s2, vcc_lo
	s_cbranch_execz .LBB119_44
; %bb.1:
	v_mul_lo_u32 v4, v1, s14
	s_load_b64 s[12:13], s[0:1], 0x0
	v_and_b32_e32 v6, 31, v0
	v_lshlrev_b32_e32 v16, 12, v2
	v_lshlrev_b32_e32 v7, 11, v3
	s_lshl_b32 s20, s3, 1
	s_delay_alu instid0(SALU_CYCLE_1) | instskip(NEXT) | instid1(VALU_DEP_4)
	s_mul_i32 s15, s20, s5
	v_sub_nc_u32_e32 v4, v3, v4
	s_delay_alu instid0(VALU_DEP_1) | instskip(NEXT) | instid1(VALU_DEP_1)
	v_lshlrev_b32_e32 v18, 3, v4
	v_add_nc_u32_e32 v4, 8, v18
	v_sub_nc_u32_e32 v5, s4, v18
	s_delay_alu instid0(VALU_DEP_2) | instskip(NEXT) | instid1(VALU_DEP_2)
	v_cmp_lt_i32_e32 vcc_lo, s4, v4
	v_cndmask_b32_e32 v19, 8, v5, vcc_lo
	v_lshlrev_b32_e32 v5, 4, v6
	s_delay_alu instid0(VALU_DEP_2)
	v_cmp_lt_i32_e32 vcc_lo, 0, v19
	s_and_saveexec_b32 s4, vcc_lo
	s_cbranch_execz .LBB119_4
; %bb.2:
	s_add_i32 s2, s18, s17
	s_lshl_b32 s5, s14, 3
	s_add_i32 s2, s2, s16
	s_mov_b32 s6, 0
	s_sub_i32 s2, s2, s5
	s_mov_b32 s5, 0
	v_mul_lo_u32 v3, s2, v1
	s_add_i32 s2, s15, 0
	s_delay_alu instid0(SALU_CYCLE_1) | instskip(NEXT) | instid1(VALU_DEP_2)
	v_add3_u32 v8, s2, v16, v5
	v_lshl_add_u32 v3, v3, 8, v7
	s_delay_alu instid0(VALU_DEP_1)
	v_lshl_or_b32 v3, v6, 3, v3
	.p2align	6
.LBB119_3:                              ; =>This Inner Loop Header: Depth=1
	s_delay_alu instid0(VALU_DEP_1) | instskip(SKIP_1) | instid1(VALU_DEP_1)
	v_ashrrev_i32_e32 v4, 31, v3
	s_add_i32 s6, s6, 1
	v_lshlrev_b64 v[9:10], 1, v[3:4]
	v_add_nc_u32_e32 v3, 0x100, v3
	s_waitcnt lgkmcnt(0)
	s_delay_alu instid0(VALU_DEP_2) | instskip(NEXT) | instid1(VALU_DEP_1)
	v_add_co_u32 v9, s2, s12, v9
	v_add_co_ci_u32_e64 v10, s2, s13, v10, s2
	v_cmp_ge_i32_e64 s2, s6, v19
	global_load_b128 v[9:12], v[9:10], off
	s_or_b32 s5, s2, s5
	s_waitcnt vmcnt(0)
	ds_store_b128 v8, v[9:12]
	v_add_nc_u32_e32 v8, 0x200, v8
	s_and_not1_b32 exec_lo, exec_lo, s5
	s_cbranch_execnz .LBB119_3
.LBB119_4:
	s_or_b32 exec_lo, exec_lo, s4
	s_load_b256 s[4:11], s[0:1], 0x18
	s_add_i32 s0, s20, 15
	v_mul_lo_u32 v4, v2, s3
	s_ashr_i32 s1, s0, 31
	s_mov_b32 s20, exec_lo
	s_lshr_b32 s1, s1, 28
	s_delay_alu instid0(SALU_CYCLE_1) | instskip(NEXT) | instid1(SALU_CYCLE_1)
	s_add_i32 s0, s0, s1
	s_ashr_i32 s2, s0, 4
	s_delay_alu instid0(SALU_CYCLE_1)
	v_cmpx_gt_i32_e64 s2, v6
	s_cbranch_execz .LBB119_7
; %bb.5:
	v_ashrrev_i32_e32 v2, 31, v1
	v_and_b32_e32 v0, 31, v0
	s_delay_alu instid0(VALU_DEP_2) | instskip(NEXT) | instid1(VALU_DEP_2)
	v_lshlrev_b64 v[2:3], 3, v[1:2]
	v_lshlrev_b32_e32 v0, 4, v0
	s_waitcnt lgkmcnt(0)
	s_delay_alu instid0(VALU_DEP_2) | instskip(NEXT) | instid1(VALU_DEP_1)
	v_add_co_u32 v2, s0, s10, v2
	v_add_co_ci_u32_e64 v3, s0, s11, v3, s0
	s_ashr_i32 s0, s3, 31
	global_load_b64 v[2:3], v[2:3], off
	s_waitcnt vmcnt(0)
	v_mul_lo_u32 v3, v3, s3
	v_mul_lo_u32 v10, v2, s0
	v_mad_u64_u32 v[8:9], null, v2, s3, 0
	s_delay_alu instid0(VALU_DEP_1) | instskip(NEXT) | instid1(VALU_DEP_1)
	v_add3_u32 v9, v9, v10, v3
	v_lshlrev_b64 v[2:3], 1, v[8:9]
	v_lshlrev_b32_e32 v8, 1, v4
	s_delay_alu instid0(VALU_DEP_2) | instskip(NEXT) | instid1(VALU_DEP_1)
	v_add_co_u32 v2, s0, v2, v0
	v_add_co_ci_u32_e64 v3, s0, 0, v3, s0
	s_delay_alu instid0(VALU_DEP_3) | instskip(NEXT) | instid1(VALU_DEP_3)
	v_add3_u32 v0, v8, v5, 0
	v_add_co_u32 v2, s0, s8, v2
	s_delay_alu instid0(VALU_DEP_1)
	v_add_co_ci_u32_e64 v3, s0, s9, v3, s0
	v_mov_b32_e32 v8, v6
	s_mov_b32 s8, 0
	.p2align	6
.LBB119_6:                              ; =>This Inner Loop Header: Depth=1
	global_load_b128 v[9:12], v[2:3], off
	v_add_nc_u32_e32 v8, 32, v8
	v_add_co_u32 v2, s0, 0x200, v2
	s_delay_alu instid0(VALU_DEP_1) | instskip(NEXT) | instid1(VALU_DEP_3)
	v_add_co_ci_u32_e64 v3, s0, 0, v3, s0
	v_cmp_le_i32_e64 s1, s2, v8
	s_delay_alu instid0(VALU_DEP_1)
	s_or_b32 s8, s1, s8
	s_waitcnt vmcnt(0)
	ds_store_b128 v0, v[9:12]
	v_add_nc_u32_e32 v0, 0x200, v0
	s_and_not1_b32 exec_lo, exec_lo, s8
	s_cbranch_execnz .LBB119_6
.LBB119_7:
	s_or_b32 exec_lo, exec_lo, s20
	s_delay_alu instid0(SALU_CYCLE_1)
	s_and_b32 exec_lo, exec_lo, vcc_lo
	s_cbranch_execz .LBB119_44
; %bb.8:
	s_waitcnt lgkmcnt(0)
	s_clause 0x1
	global_load_b128 v[8:11], v5, s[4:5]
	global_load_b128 v[12:15], v5, s[6:7]
	v_mbcnt_lo_u32_b32 v2, -1, 0
	s_lshr_b32 s0, s3, 31
	s_ashr_i32 s1, s3, 31
	v_lshl_add_u32 v0, v4, 1, 0
	s_abs_i32 s2, s3
	s_add_i32 s0, s3, s0
	s_lshr_b32 s6, s1, 29
	s_lshr_b32 s1, s1, 28
	v_add_nc_u32_e32 v50, s15, v16
	v_cvt_f32_u32_e32 v16, s2
	v_xor_b32_e32 v20, 16, v2
	s_and_b32 s0, s0, -2
	s_add_i32 s6, s3, s6
	s_add_i32 s1, s3, s1
	v_add_nc_u32_e32 v41, s0, v0
	s_ashr_i32 s0, s6, 3
	s_ashr_i32 s1, s1, 4
	v_rcp_iflag_f32_e32 v16, v16
	v_xor_b32_e32 v21, 8, v2
	v_cmp_gt_i32_e32 vcc_lo, s0, v6
	v_xor_b32_e32 v25, s1, v2
	v_cmp_gt_i32_e64 s0, s1, v6
	v_cmp_gt_i32_e64 s1, 32, v20
	v_xor_b32_e32 v22, 4, v2
	s_sub_i32 s7, 0, s2
	v_xor_b32_e32 v23, 2, v2
	s_add_i32 s4, s18, s17
	v_cndmask_b32_e64 v20, v2, v20, s1
	v_cmp_gt_i32_e64 s1, 32, v21
	s_lshl_b32 s5, s14, 3
	s_add_i32 s4, s4, s16
	v_xor_b32_e32 v24, 1, v2
	s_sub_i32 s3, s4, s5
	v_cndmask_b32_e64 v21, v2, v21, s1
	v_mul_f32_e32 v16, 0x4f7ffffe, v16
	v_cmp_gt_i32_e64 s1, 32, v22
	v_mul_lo_u32 v1, s3, v1
	v_or_b32_e32 v3, 2, v5
	v_lshlrev_b32_e32 v21, 2, v21
	v_cvt_u32_f32_e32 v16, v16
	v_cndmask_b32_e64 v22, v2, v22, s1
	v_cmp_gt_i32_e64 s1, 32, v23
	v_or_b32_e32 v4, 4, v5
	v_or_b32_e32 v17, 6, v5
	v_mul_lo_u32 v30, s7, v16
	v_lshl_add_u32 v1, v1, 8, v7
	v_cndmask_b32_e64 v23, v2, v23, s1
	v_cmp_gt_i32_e64 s1, 32, v24
	v_or_b32_e32 v27, 10, v5
	v_or_b32_e32 v26, 8, v5
	;; [unrolled: 1-line block ×4, first 2 shown]
	v_mul_hi_u32 v30, v16, v30
	v_cndmask_b32_e64 v24, v2, v24, s1
	v_cmp_gt_i32_e64 s1, 32, v25
	v_lshlrev_b32_e32 v20, 2, v20
	v_lshlrev_b32_e32 v22, 2, v22
	;; [unrolled: 1-line block ×4, first 2 shown]
	v_cndmask_b32_e64 v2, v2, v25, s1
	v_add_nc_u32_e32 v7, v16, v30
	v_lshl_or_b32 v16, v6, 3, v1
	v_add3_u32 v50, v50, v5, 0
	s_mov_b32 s3, 0
	v_lshlrev_b32_e32 v25, 2, v2
	v_mul_hi_u32 v1, v5, v7
	v_mul_hi_u32 v2, v3, v7
	v_mul_hi_u32 v6, v4, v7
	v_mul_hi_u32 v30, v17, v7
	v_mul_hi_u32 v32, v27, v7
	v_mul_hi_u32 v31, v26, v7
	v_mul_hi_u32 v33, v28, v7
	v_mul_hi_u32 v7, v29, v7
	v_mul_lo_u32 v1, v1, s2
	v_mul_lo_u32 v2, v2, s2
	;; [unrolled: 1-line block ×8, first 2 shown]
	v_sub_nc_u32_e32 v1, v5, v1
	v_sub_nc_u32_e32 v2, v3, v2
	;; [unrolled: 1-line block ×5, first 2 shown]
	v_subrev_nc_u32_e32 v27, s2, v1
	v_cmp_le_u32_e64 s1, s2, v1
	v_sub_nc_u32_e32 v6, v26, v31
	v_sub_nc_u32_e32 v26, v28, v33
	v_subrev_nc_u32_e32 v28, s2, v2
	v_sub_nc_u32_e32 v7, v29, v7
	v_cndmask_b32_e64 v1, v1, v27, s1
	v_cmp_le_u32_e64 s1, s2, v2
	v_subrev_nc_u32_e32 v29, s2, v3
	v_subrev_nc_u32_e32 v30, s2, v4
	;; [unrolled: 1-line block ×4, first 2 shown]
	v_cndmask_b32_e64 v2, v2, v28, s1
	v_cmp_le_u32_e64 s1, s2, v3
	v_subrev_nc_u32_e32 v33, s2, v26
	v_subrev_nc_u32_e32 v34, s2, v7
	;; [unrolled: 1-line block ×4, first 2 shown]
	v_cndmask_b32_e64 v3, v3, v29, s1
	v_cmp_le_u32_e64 s1, s2, v4
	s_mov_b32 s4, 0
	s_delay_alu instid0(VALU_DEP_2) | instskip(NEXT) | instid1(VALU_DEP_2)
	v_subrev_nc_u32_e32 v29, s2, v3
	v_cndmask_b32_e64 v4, v4, v30, s1
	v_cmp_le_u32_e64 s1, s2, v6
	s_delay_alu instid0(VALU_DEP_2) | instskip(NEXT) | instid1(VALU_DEP_2)
	v_subrev_nc_u32_e32 v30, s2, v4
	v_cndmask_b32_e64 v6, v6, v31, s1
	v_cmp_le_u32_e64 s1, s2, v17
	;; [unrolled: 4-line block ×6, first 2 shown]
	s_delay_alu instid0(VALU_DEP_2) | instskip(NEXT) | instid1(VALU_DEP_2)
	v_and_b32_e32 v1, -2, v1
	v_cndmask_b32_e64 v2, v2, v28, s1
	v_cmp_le_u32_e64 s1, s2, v3
	s_delay_alu instid0(VALU_DEP_3) | instskip(NEXT) | instid1(VALU_DEP_3)
	v_add_nc_u32_e32 v27, v41, v1
	v_and_b32_e32 v2, -2, v2
	s_delay_alu instid0(VALU_DEP_3) | instskip(SKIP_1) | instid1(VALU_DEP_3)
	v_cndmask_b32_e64 v3, v3, v29, s1
	v_cmp_le_u32_e64 s1, s2, v4
	v_add_nc_u32_e32 v28, v0, v2
	s_delay_alu instid0(VALU_DEP_3) | instskip(NEXT) | instid1(VALU_DEP_3)
	v_and_b32_e32 v3, -2, v3
	v_cndmask_b32_e64 v4, v4, v30, s1
	v_cmp_le_u32_e64 s1, s2, v6
	v_add_nc_u32_e32 v29, v41, v2
	s_delay_alu instid0(VALU_DEP_4) | instskip(NEXT) | instid1(VALU_DEP_4)
	v_add_nc_u32_e32 v30, v0, v3
	v_and_b32_e32 v4, -2, v4
	s_delay_alu instid0(VALU_DEP_4) | instskip(SKIP_2) | instid1(VALU_DEP_3)
	v_cndmask_b32_e64 v6, v6, v31, s1
	v_cmp_le_u32_e64 s1, s2, v17
	v_add_nc_u32_e32 v31, v41, v3
	v_and_b32_e32 v6, -2, v6
	s_delay_alu instid0(VALU_DEP_3) | instskip(SKIP_2) | instid1(VALU_DEP_4)
	v_cndmask_b32_e64 v17, v17, v32, s1
	v_cmp_le_u32_e64 s1, s2, v26
	v_add_nc_u32_e32 v32, v0, v4
	v_add_nc_u32_e32 v35, v41, v6
	s_delay_alu instid0(VALU_DEP_4) | instskip(NEXT) | instid1(VALU_DEP_4)
	v_and_b32_e32 v17, -2, v17
	v_cndmask_b32_e64 v26, v26, v33, s1
	v_cmp_le_u32_e64 s1, s2, v7
	v_add_nc_u32_e32 v33, v41, v4
	s_delay_alu instid0(VALU_DEP_4) | instskip(NEXT) | instid1(VALU_DEP_4)
	v_add_nc_u32_e32 v36, v0, v17
	v_and_b32_e32 v39, -2, v26
	s_delay_alu instid0(VALU_DEP_4)
	v_cndmask_b32_e64 v7, v7, v34, s1
	v_add_nc_u32_e32 v26, v0, v1
	v_add_nc_u32_e32 v34, v0, v6
	;; [unrolled: 1-line block ×4, first 2 shown]
	v_and_b32_e32 v7, -2, v7
	v_add_nc_u32_e32 v39, v41, v39
	s_delay_alu instid0(VALU_DEP_2)
	v_add_nc_u32_e32 v40, v0, v7
	v_add_nc_u32_e32 v41, v41, v7
	s_waitcnt vmcnt(1)
	v_lshrrev_b32_e32 v42, 16, v8
	v_lshrrev_b32_e32 v43, 16, v9
	;; [unrolled: 1-line block ×4, first 2 shown]
	s_waitcnt vmcnt(0)
	v_lshrrev_b32_e32 v46, 16, v12
	v_lshrrev_b32_e32 v47, 16, v13
	;; [unrolled: 1-line block ×4, first 2 shown]
	s_branch .LBB119_10
.LBB119_9:                              ;   in Loop: Header=BB119_10 Depth=1
	s_or_b32 exec_lo, exec_lo, s2
	v_ashrrev_i32_e32 v17, 31, v16
	s_add_i32 s4, s4, 1
	v_perm_b32 v3, v58, v57, 0x7060302
	v_cmp_ge_i32_e64 s1, s4, v19
	v_perm_b32 v2, v56, v55, 0x7060302
	v_lshlrev_b64 v[4:5], 1, v[16:17]
	v_perm_b32 v1, v54, v53, 0x7060302
	v_perm_b32 v0, v52, v51, 0x7060302
	v_add_nc_u32_e32 v16, 0x100, v16
	v_add_nc_u32_e32 v50, 0x200, v50
	s_or_b32 s3, s1, s3
	v_add_co_u32 v4, s2, s12, v4
	s_delay_alu instid0(VALU_DEP_1)
	v_add_co_ci_u32_e64 v5, s2, s13, v5, s2
	global_store_b128 v[4:5], v[0:3], off
	s_and_not1_b32 exec_lo, exec_lo, s3
	s_cbranch_execz .LBB119_44
.LBB119_10:                             ; =>This Inner Loop Header: Depth=1
	ds_load_b128 v[0:3], v50
	s_waitcnt lgkmcnt(0)
	v_lshlrev_b32_e32 v7, 16, v1
	v_and_b32_e32 v4, 0xffff0000, v0
	v_and_b32_e32 v1, 0xffff0000, v1
	v_lshlrev_b32_e32 v0, 16, v0
	v_lshlrev_b32_e32 v17, 16, v2
	s_delay_alu instid0(VALU_DEP_4) | instskip(SKIP_2) | instid1(VALU_DEP_3)
	v_dual_mul_f32 v5, v4, v4 :: v_dual_lshlrev_b32 v52, 16, v3
	v_and_b32_e32 v51, 0xffff0000, v2
	v_and_b32_e32 v53, 0xffff0000, v3
	v_fmac_f32_e32 v5, v0, v0
	s_delay_alu instid0(VALU_DEP_1) | instskip(NEXT) | instid1(VALU_DEP_1)
	v_fmac_f32_e32 v5, v7, v7
	v_fmac_f32_e32 v5, v1, v1
	s_delay_alu instid0(VALU_DEP_1) | instskip(NEXT) | instid1(VALU_DEP_1)
	v_fmac_f32_e32 v5, v17, v17
	;; [unrolled: 3-line block ×3, first 2 shown]
	v_fmac_f32_e32 v5, v53, v53
	ds_bpermute_b32 v2, v20, v5
	s_waitcnt lgkmcnt(0)
	v_add_f32_e32 v2, v5, v2
	v_add_nc_u32_e32 v5, s4, v18
	ds_bpermute_b32 v3, v21, v2
	v_cmp_gt_i32_e64 s2, s16, v5
	s_delay_alu instid0(VALU_DEP_1)
	v_cndmask_b32_e64 v59, v49, v45, s2
	v_cndmask_b32_e64 v5, v46, v42, s2
	;; [unrolled: 1-line block ×7, first 2 shown]
	v_lshlrev_b32_e32 v6, 16, v6
	s_delay_alu instid0(VALU_DEP_4) | instskip(NEXT) | instid1(VALU_DEP_3)
	v_lshlrev_b32_e32 v54, 16, v54
	v_lshlrev_b32_e32 v56, 16, v56
	s_waitcnt lgkmcnt(0)
	v_add_f32_e32 v2, v2, v3
	ds_bpermute_b32 v3, v22, v2
	s_waitcnt lgkmcnt(0)
	v_add_f32_e32 v2, v2, v3
	ds_bpermute_b32 v3, v23, v2
	;; [unrolled: 3-line block ×3, first 2 shown]
	s_waitcnt lgkmcnt(0)
	v_add_f32_e32 v2, v2, v3
	s_delay_alu instid0(VALU_DEP_1) | instskip(NEXT) | instid1(VALU_DEP_1)
	v_fma_f32 v2, 0x3b800000, v2, s19
	v_mul_f32_e32 v3, 0x4b800000, v2
	v_cmp_gt_f32_e64 s1, 0x800000, v2
	s_delay_alu instid0(VALU_DEP_1) | instskip(SKIP_1) | instid1(VALU_DEP_2)
	v_cndmask_b32_e64 v2, v2, v3, s1
	v_cndmask_b32_e64 v3, v12, v8, s2
	v_rsq_f32_e32 v2, v2
	s_waitcnt_depctr 0xfff
	v_mul_f32_e32 v58, 0x45800000, v2
	s_delay_alu instid0(VALU_DEP_1) | instskip(SKIP_2) | instid1(VALU_DEP_3)
	v_cndmask_b32_e64 v2, v2, v58, s1
	v_lshlrev_b32_e32 v58, 16, v59
	v_lshlrev_b32_e32 v3, 16, v3
	v_mul_f32_e32 v59, v2, v6
	s_delay_alu instid0(VALU_DEP_3) | instskip(NEXT) | instid1(VALU_DEP_3)
	v_mul_f32_e32 v58, v2, v58
	v_mul_f32_e32 v3, v2, v3
	v_lshlrev_b32_e32 v5, 16, v5
	v_dual_mul_f32 v54, v2, v54 :: v_dual_lshlrev_b32 v57, 16, v57
	v_mul_f32_e32 v56, v2, v56
	s_delay_alu instid0(VALU_DEP_3) | instskip(NEXT) | instid1(VALU_DEP_3)
	v_dual_mul_f32 v6, v3, v0 :: v_dual_mul_f32 v5, v2, v5
	v_mul_f32_e32 v3, v54, v1
	s_delay_alu instid0(VALU_DEP_3) | instskip(NEXT) | instid1(VALU_DEP_3)
	v_mul_f32_e32 v1, v56, v51
	v_dual_mul_f32 v5, v5, v4 :: v_dual_mul_f32 v4, v59, v7
	v_mul_f32_e32 v57, v2, v57
	v_lshlrev_b32_e32 v55, 16, v55
	s_delay_alu instid0(VALU_DEP_2) | instskip(NEXT) | instid1(VALU_DEP_2)
	v_dual_mul_f32 v7, v58, v53 :: v_dual_mul_f32 v0, v57, v52
	v_mul_f32_e32 v55, v2, v55
	s_delay_alu instid0(VALU_DEP_1)
	v_mul_f32_e32 v2, v55, v17
	s_and_saveexec_b32 s1, vcc_lo
	s_cbranch_execz .LBB119_12
; %bb.11:                               ;   in Loop: Header=BB119_10 Depth=1
	; wave barrier
	ds_bpermute_b32 v17, v25, v6
	ds_load_u16 v51, v27
	ds_load_u16 v53, v29
	ds_bpermute_b32 v52, v25, v5
	ds_bpermute_b32 v54, v25, v4
	ds_load_u16 v55, v31
	ds_load_u16 v56, v26
	;; [unrolled: 1-line block ×4, first 2 shown]
	ds_bpermute_b32 v59, v25, v3
	ds_load_u16 v60, v32
	ds_load_u16 v61, v33
	ds_bpermute_b32 v62, v25, v2
	ds_load_u16 v63, v35
	ds_load_u16 v65, v37
	;; [unrolled: 1-line block ×3, first 2 shown]
	ds_bpermute_b32 v64, v25, v1
	ds_bpermute_b32 v66, v25, v0
	;; [unrolled: 1-line block ×3, first 2 shown]
	ds_load_u16 v69, v41
	ds_load_u16 v70, v34
	;; [unrolled: 1-line block ×3, first 2 shown]
	s_waitcnt lgkmcnt(21)
	v_cndmask_b32_e64 v17, v17, -v17, s0
	s_waitcnt lgkmcnt(20)
	v_cvt_f32_f16_e32 v51, v51
	s_waitcnt lgkmcnt(19)
	v_cvt_f32_f16_e32 v53, v53
	s_waitcnt lgkmcnt(18)
	v_cndmask_b32_e64 v52, v52, -v52, s0
	s_waitcnt lgkmcnt(17)
	v_cndmask_b32_e64 v54, v54, -v54, s0
	s_waitcnt lgkmcnt(16)
	v_cvt_f32_f16_e32 v55, v55
	v_mul_f32_e32 v17, v17, v51
	s_delay_alu instid0(VALU_DEP_2)
	v_dual_mul_f32 v51, v52, v53 :: v_dual_mul_f32 v52, v54, v55
	ds_load_u16 v53, v38
	ds_load_u16 v54, v40
	s_waitcnt lgkmcnt(17)
	v_fma_mix_f32 v6, v6, v56, v17 op_sel_hi:[0,1,0]
	s_waitcnt lgkmcnt(16)
	v_fma_mix_f32 v5, v5, v57, v51 op_sel_hi:[0,1,0]
	s_waitcnt lgkmcnt(14)
	v_cndmask_b32_e64 v17, v59, -v59, s0
	v_fma_mix_f32 v4, v4, v58, v52 op_sel_hi:[0,1,0]
	s_waitcnt lgkmcnt(12)
	v_cvt_f32_f16_e32 v51, v61
	s_waitcnt lgkmcnt(11)
	v_cndmask_b32_e64 v52, v62, -v62, s0
	s_waitcnt lgkmcnt(10)
	v_cvt_f32_f16_e32 v55, v63
	s_waitcnt lgkmcnt(7)
	v_cndmask_b32_e64 v56, v64, -v64, s0
	v_cvt_f32_f16_e32 v57, v65
	s_waitcnt lgkmcnt(6)
	v_cndmask_b32_e64 v58, v66, -v66, s0
	;; [unrolled: 3-line block ×3, first 2 shown]
	s_waitcnt lgkmcnt(4)
	v_cvt_f32_f16_e32 v62, v69
	v_mul_f32_e32 v17, v17, v51
	v_mul_f32_e32 v51, v52, v55
	v_dual_mul_f32 v52, v56, v57 :: v_dual_mul_f32 v55, v58, v59
	s_delay_alu instid0(VALU_DEP_4) | instskip(NEXT) | instid1(VALU_DEP_4)
	v_mul_f32_e32 v56, v61, v62
	v_fma_mix_f32 v3, v3, v60, v17 op_sel_hi:[0,1,0]
	s_waitcnt lgkmcnt(3)
	v_fma_mix_f32 v2, v2, v70, v51 op_sel_hi:[0,1,0]
	s_waitcnt lgkmcnt(2)
	;; [unrolled: 2-line block ×4, first 2 shown]
	v_fma_mix_f32 v7, v7, v54, v56 op_sel_hi:[0,1,0]
	; wave barrier
.LBB119_12:                             ;   in Loop: Header=BB119_10 Depth=1
	s_or_b32 exec_lo, exec_lo, s1
	v_and_b32_e32 v17, 0x7f800000, v6
                                        ; implicit-def: $vgpr51
	s_delay_alu instid0(VALU_DEP_1) | instskip(NEXT) | instid1(VALU_DEP_1)
	v_cmp_ne_u32_e64 s1, 0x7f800000, v17
	s_and_saveexec_b32 s2, s1
	s_delay_alu instid0(SALU_CYCLE_1)
	s_xor_b32 s1, exec_lo, s2
; %bb.13:                               ;   in Loop: Header=BB119_10 Depth=1
	v_bfe_u32 v17, v6, 16, 1
	s_delay_alu instid0(VALU_DEP_1)
	v_add3_u32 v51, v6, v17, 0x7fff
; %bb.14:                               ;   in Loop: Header=BB119_10 Depth=1
	s_and_not1_saveexec_b32 s2, s1
; %bb.15:                               ;   in Loop: Header=BB119_10 Depth=1
	v_and_b32_e32 v17, 0xffff, v6
	v_or_b32_e32 v51, 0x10000, v6
	s_delay_alu instid0(VALU_DEP_2) | instskip(NEXT) | instid1(VALU_DEP_1)
	v_cmp_eq_u32_e64 s1, 0, v17
	v_cndmask_b32_e64 v51, v51, v6, s1
; %bb.16:                               ;   in Loop: Header=BB119_10 Depth=1
	s_or_b32 exec_lo, exec_lo, s2
	v_and_b32_e32 v6, 0x7f800000, v5
                                        ; implicit-def: $vgpr52
	s_delay_alu instid0(VALU_DEP_1) | instskip(NEXT) | instid1(VALU_DEP_1)
	v_cmp_ne_u32_e64 s1, 0x7f800000, v6
	s_and_saveexec_b32 s2, s1
	s_delay_alu instid0(SALU_CYCLE_1)
	s_xor_b32 s1, exec_lo, s2
; %bb.17:                               ;   in Loop: Header=BB119_10 Depth=1
	v_bfe_u32 v6, v5, 16, 1
	s_delay_alu instid0(VALU_DEP_1)
	v_add3_u32 v52, v5, v6, 0x7fff
; %bb.18:                               ;   in Loop: Header=BB119_10 Depth=1
	s_and_not1_saveexec_b32 s2, s1
; %bb.19:                               ;   in Loop: Header=BB119_10 Depth=1
	v_and_b32_e32 v6, 0xffff, v5
	v_or_b32_e32 v17, 0x10000, v5
	s_delay_alu instid0(VALU_DEP_2) | instskip(NEXT) | instid1(VALU_DEP_1)
	v_cmp_eq_u32_e64 s1, 0, v6
	v_cndmask_b32_e64 v52, v17, v5, s1
; %bb.20:                               ;   in Loop: Header=BB119_10 Depth=1
	s_or_b32 exec_lo, exec_lo, s2
	v_and_b32_e32 v5, 0x7f800000, v4
                                        ; implicit-def: $vgpr53
	s_delay_alu instid0(VALU_DEP_1) | instskip(NEXT) | instid1(VALU_DEP_1)
	v_cmp_ne_u32_e64 s1, 0x7f800000, v5
	s_and_saveexec_b32 s2, s1
	s_delay_alu instid0(SALU_CYCLE_1)
	s_xor_b32 s1, exec_lo, s2
; %bb.21:                               ;   in Loop: Header=BB119_10 Depth=1
	v_bfe_u32 v5, v4, 16, 1
	s_delay_alu instid0(VALU_DEP_1)
	v_add3_u32 v53, v4, v5, 0x7fff
; %bb.22:                               ;   in Loop: Header=BB119_10 Depth=1
	s_and_not1_saveexec_b32 s2, s1
; %bb.23:                               ;   in Loop: Header=BB119_10 Depth=1
	v_and_b32_e32 v5, 0xffff, v4
	v_or_b32_e32 v6, 0x10000, v4
	s_delay_alu instid0(VALU_DEP_2) | instskip(NEXT) | instid1(VALU_DEP_1)
	v_cmp_eq_u32_e64 s1, 0, v5
	v_cndmask_b32_e64 v53, v6, v4, s1
; %bb.24:                               ;   in Loop: Header=BB119_10 Depth=1
	s_or_b32 exec_lo, exec_lo, s2
	v_and_b32_e32 v4, 0x7f800000, v3
                                        ; implicit-def: $vgpr54
	s_delay_alu instid0(VALU_DEP_1) | instskip(NEXT) | instid1(VALU_DEP_1)
	v_cmp_ne_u32_e64 s1, 0x7f800000, v4
	s_and_saveexec_b32 s2, s1
	s_delay_alu instid0(SALU_CYCLE_1)
	s_xor_b32 s1, exec_lo, s2
; %bb.25:                               ;   in Loop: Header=BB119_10 Depth=1
	v_bfe_u32 v4, v3, 16, 1
	s_delay_alu instid0(VALU_DEP_1)
	v_add3_u32 v54, v3, v4, 0x7fff
; %bb.26:                               ;   in Loop: Header=BB119_10 Depth=1
	s_and_not1_saveexec_b32 s2, s1
; %bb.27:                               ;   in Loop: Header=BB119_10 Depth=1
	v_and_b32_e32 v4, 0xffff, v3
	v_or_b32_e32 v5, 0x10000, v3
	s_delay_alu instid0(VALU_DEP_2) | instskip(NEXT) | instid1(VALU_DEP_1)
	v_cmp_eq_u32_e64 s1, 0, v4
	v_cndmask_b32_e64 v54, v5, v3, s1
; %bb.28:                               ;   in Loop: Header=BB119_10 Depth=1
	s_or_b32 exec_lo, exec_lo, s2
	v_and_b32_e32 v3, 0x7f800000, v2
                                        ; implicit-def: $vgpr55
	s_delay_alu instid0(VALU_DEP_1) | instskip(NEXT) | instid1(VALU_DEP_1)
	v_cmp_ne_u32_e64 s1, 0x7f800000, v3
	s_and_saveexec_b32 s2, s1
	s_delay_alu instid0(SALU_CYCLE_1)
	s_xor_b32 s1, exec_lo, s2
; %bb.29:                               ;   in Loop: Header=BB119_10 Depth=1
	v_bfe_u32 v3, v2, 16, 1
	s_delay_alu instid0(VALU_DEP_1)
	v_add3_u32 v55, v2, v3, 0x7fff
; %bb.30:                               ;   in Loop: Header=BB119_10 Depth=1
	s_and_not1_saveexec_b32 s2, s1
; %bb.31:                               ;   in Loop: Header=BB119_10 Depth=1
	v_and_b32_e32 v3, 0xffff, v2
	v_or_b32_e32 v4, 0x10000, v2
	s_delay_alu instid0(VALU_DEP_2) | instskip(NEXT) | instid1(VALU_DEP_1)
	v_cmp_eq_u32_e64 s1, 0, v3
	v_cndmask_b32_e64 v55, v4, v2, s1
; %bb.32:                               ;   in Loop: Header=BB119_10 Depth=1
	s_or_b32 exec_lo, exec_lo, s2
	v_and_b32_e32 v2, 0x7f800000, v1
                                        ; implicit-def: $vgpr56
	s_delay_alu instid0(VALU_DEP_1) | instskip(NEXT) | instid1(VALU_DEP_1)
	v_cmp_ne_u32_e64 s1, 0x7f800000, v2
	s_and_saveexec_b32 s2, s1
	s_delay_alu instid0(SALU_CYCLE_1)
	s_xor_b32 s1, exec_lo, s2
; %bb.33:                               ;   in Loop: Header=BB119_10 Depth=1
	v_bfe_u32 v2, v1, 16, 1
	s_delay_alu instid0(VALU_DEP_1)
	v_add3_u32 v56, v1, v2, 0x7fff
; %bb.34:                               ;   in Loop: Header=BB119_10 Depth=1
	s_and_not1_saveexec_b32 s2, s1
; %bb.35:                               ;   in Loop: Header=BB119_10 Depth=1
	v_and_b32_e32 v2, 0xffff, v1
	v_or_b32_e32 v3, 0x10000, v1
	s_delay_alu instid0(VALU_DEP_2) | instskip(NEXT) | instid1(VALU_DEP_1)
	v_cmp_eq_u32_e64 s1, 0, v2
	v_cndmask_b32_e64 v56, v3, v1, s1
; %bb.36:                               ;   in Loop: Header=BB119_10 Depth=1
	s_or_b32 exec_lo, exec_lo, s2
	v_and_b32_e32 v1, 0x7f800000, v0
                                        ; implicit-def: $vgpr57
	s_delay_alu instid0(VALU_DEP_1) | instskip(NEXT) | instid1(VALU_DEP_1)
	v_cmp_ne_u32_e64 s1, 0x7f800000, v1
	s_and_saveexec_b32 s2, s1
	s_delay_alu instid0(SALU_CYCLE_1)
	s_xor_b32 s1, exec_lo, s2
; %bb.37:                               ;   in Loop: Header=BB119_10 Depth=1
	v_bfe_u32 v1, v0, 16, 1
	s_delay_alu instid0(VALU_DEP_1)
	v_add3_u32 v57, v0, v1, 0x7fff
; %bb.38:                               ;   in Loop: Header=BB119_10 Depth=1
	s_and_not1_saveexec_b32 s2, s1
; %bb.39:                               ;   in Loop: Header=BB119_10 Depth=1
	v_and_b32_e32 v1, 0xffff, v0
	v_or_b32_e32 v2, 0x10000, v0
	s_delay_alu instid0(VALU_DEP_2) | instskip(NEXT) | instid1(VALU_DEP_1)
	v_cmp_eq_u32_e64 s1, 0, v1
	v_cndmask_b32_e64 v57, v2, v0, s1
; %bb.40:                               ;   in Loop: Header=BB119_10 Depth=1
	s_or_b32 exec_lo, exec_lo, s2
	v_and_b32_e32 v0, 0x7f800000, v7
                                        ; implicit-def: $vgpr58
	s_delay_alu instid0(VALU_DEP_1) | instskip(NEXT) | instid1(VALU_DEP_1)
	v_cmp_ne_u32_e64 s1, 0x7f800000, v0
	s_and_saveexec_b32 s2, s1
	s_delay_alu instid0(SALU_CYCLE_1)
	s_xor_b32 s1, exec_lo, s2
; %bb.41:                               ;   in Loop: Header=BB119_10 Depth=1
	v_bfe_u32 v0, v7, 16, 1
	s_delay_alu instid0(VALU_DEP_1)
	v_add3_u32 v58, v7, v0, 0x7fff
                                        ; implicit-def: $vgpr0_vgpr1_vgpr2_vgpr3_vgpr4_vgpr5_vgpr6_vgpr7
; %bb.42:                               ;   in Loop: Header=BB119_10 Depth=1
	s_and_not1_saveexec_b32 s2, s1
	s_cbranch_execz .LBB119_9
; %bb.43:                               ;   in Loop: Header=BB119_10 Depth=1
	v_and_b32_e32 v0, 0xffff, v7
	v_or_b32_e32 v1, 0x10000, v7
	s_delay_alu instid0(VALU_DEP_2) | instskip(NEXT) | instid1(VALU_DEP_1)
	v_cmp_eq_u32_e64 s1, 0, v0
	v_cndmask_b32_e64 v58, v1, v7, s1
	s_branch .LBB119_9
.LBB119_44:
	s_nop 0
	s_sendmsg sendmsg(MSG_DEALLOC_VGPRS)
	s_endpgm
	.section	.rodata,"a",@progbits
	.p2align	6, 0x0
	.amdhsa_kernel _ZN12tensorrt_llm7kernels32fusedQKNormRopeKernelNTokenHeadsIN3c108BFloat16ENS2_4HalfELi256ELb0ELi8EEEvPviiifPKvS7_S7_PKlii
		.amdhsa_group_segment_fixed_size 0
		.amdhsa_private_segment_fixed_size 0
		.amdhsa_kernarg_size 320
		.amdhsa_user_sgpr_count 15
		.amdhsa_user_sgpr_dispatch_ptr 0
		.amdhsa_user_sgpr_queue_ptr 0
		.amdhsa_user_sgpr_kernarg_segment_ptr 1
		.amdhsa_user_sgpr_dispatch_id 0
		.amdhsa_user_sgpr_private_segment_size 0
		.amdhsa_wavefront_size32 1
		.amdhsa_uses_dynamic_stack 0
		.amdhsa_enable_private_segment 0
		.amdhsa_system_sgpr_workgroup_id_x 1
		.amdhsa_system_sgpr_workgroup_id_y 0
		.amdhsa_system_sgpr_workgroup_id_z 0
		.amdhsa_system_sgpr_workgroup_info 0
		.amdhsa_system_vgpr_workitem_id 0
		.amdhsa_next_free_vgpr 72
		.amdhsa_next_free_sgpr 21
		.amdhsa_reserve_vcc 1
		.amdhsa_float_round_mode_32 0
		.amdhsa_float_round_mode_16_64 0
		.amdhsa_float_denorm_mode_32 3
		.amdhsa_float_denorm_mode_16_64 3
		.amdhsa_dx10_clamp 1
		.amdhsa_ieee_mode 1
		.amdhsa_fp16_overflow 0
		.amdhsa_workgroup_processor_mode 1
		.amdhsa_memory_ordered 1
		.amdhsa_forward_progress 0
		.amdhsa_shared_vgpr_count 0
		.amdhsa_exception_fp_ieee_invalid_op 0
		.amdhsa_exception_fp_denorm_src 0
		.amdhsa_exception_fp_ieee_div_zero 0
		.amdhsa_exception_fp_ieee_overflow 0
		.amdhsa_exception_fp_ieee_underflow 0
		.amdhsa_exception_fp_ieee_inexact 0
		.amdhsa_exception_int_div_zero 0
	.end_amdhsa_kernel
	.section	.text._ZN12tensorrt_llm7kernels32fusedQKNormRopeKernelNTokenHeadsIN3c108BFloat16ENS2_4HalfELi256ELb0ELi8EEEvPviiifPKvS7_S7_PKlii,"axG",@progbits,_ZN12tensorrt_llm7kernels32fusedQKNormRopeKernelNTokenHeadsIN3c108BFloat16ENS2_4HalfELi256ELb0ELi8EEEvPviiifPKvS7_S7_PKlii,comdat
.Lfunc_end119:
	.size	_ZN12tensorrt_llm7kernels32fusedQKNormRopeKernelNTokenHeadsIN3c108BFloat16ENS2_4HalfELi256ELb0ELi8EEEvPviiifPKvS7_S7_PKlii, .Lfunc_end119-_ZN12tensorrt_llm7kernels32fusedQKNormRopeKernelNTokenHeadsIN3c108BFloat16ENS2_4HalfELi256ELb0ELi8EEEvPviiifPKvS7_S7_PKlii
                                        ; -- End function
	.section	.AMDGPU.csdata,"",@progbits
; Kernel info:
; codeLenInByte = 3856
; NumSgprs: 23
; NumVgprs: 72
; ScratchSize: 0
; MemoryBound: 0
; FloatMode: 240
; IeeeMode: 1
; LDSByteSize: 0 bytes/workgroup (compile time only)
; SGPRBlocks: 2
; VGPRBlocks: 8
; NumSGPRsForWavesPerEU: 23
; NumVGPRsForWavesPerEU: 72
; Occupancy: 16
; WaveLimiterHint : 0
; COMPUTE_PGM_RSRC2:SCRATCH_EN: 0
; COMPUTE_PGM_RSRC2:USER_SGPR: 15
; COMPUTE_PGM_RSRC2:TRAP_HANDLER: 0
; COMPUTE_PGM_RSRC2:TGID_X_EN: 1
; COMPUTE_PGM_RSRC2:TGID_Y_EN: 0
; COMPUTE_PGM_RSRC2:TGID_Z_EN: 0
; COMPUTE_PGM_RSRC2:TIDIG_COMP_CNT: 0
	.section	.text._ZN12tensorrt_llm7kernels21fusedQKNormRopeKernelIN3c108BFloat16ES3_Li64ELb1EEEvPviiifPKvS6_S6_PKlii,"axG",@progbits,_ZN12tensorrt_llm7kernels21fusedQKNormRopeKernelIN3c108BFloat16ES3_Li64ELb1EEEvPviiifPKvS6_S6_PKlii,comdat
	.protected	_ZN12tensorrt_llm7kernels21fusedQKNormRopeKernelIN3c108BFloat16ES3_Li64ELb1EEEvPviiifPKvS6_S6_PKlii ; -- Begin function _ZN12tensorrt_llm7kernels21fusedQKNormRopeKernelIN3c108BFloat16ES3_Li64ELb1EEEvPviiifPKvS6_S6_PKlii
	.globl	_ZN12tensorrt_llm7kernels21fusedQKNormRopeKernelIN3c108BFloat16ES3_Li64ELb1EEEvPviiifPKvS6_S6_PKlii
	.p2align	8
	.type	_ZN12tensorrt_llm7kernels21fusedQKNormRopeKernelIN3c108BFloat16ES3_Li64ELb1EEEvPviiifPKvS6_S6_PKlii,@function
_ZN12tensorrt_llm7kernels21fusedQKNormRopeKernelIN3c108BFloat16ES3_Li64ELb1EEEvPviiifPKvS6_S6_PKlii: ; @_ZN12tensorrt_llm7kernels21fusedQKNormRopeKernelIN3c108BFloat16ES3_Li64ELb1EEEvPviiifPKvS6_S6_PKlii
; %bb.0:
	s_clause 0x2
	s_load_b128 s[8:11], s[0:1], 0x8
	s_load_b64 s[12:13], s[0:1], 0x38
	s_load_b32 s4, s[0:1], 0x4c
	v_lshrrev_b32_e32 v3, 5, v0
	s_waitcnt lgkmcnt(0)
	s_add_i32 s2, s9, s8
	s_bfe_u32 s4, s4, 0xb0005
	s_abs_i32 s3, s2
	s_delay_alu instid0(SALU_CYCLE_1) | instskip(SKIP_1) | instid1(VALU_DEP_1)
	v_cvt_f32_u32_e32 v1, s3
	s_sub_i32 s5, 0, s3
	v_rcp_iflag_f32_e32 v1, v1
	s_waitcnt_depctr 0xfff
	v_mul_f32_e32 v1, 0x4f7ffffe, v1
	s_delay_alu instid0(VALU_DEP_1) | instskip(NEXT) | instid1(VALU_DEP_1)
	v_cvt_u32_f32_e32 v4, v1
	v_mul_lo_u32 v5, s5, v4
	v_mad_u64_u32 v[1:2], null, s15, s4, v[3:4]
	s_delay_alu instid0(VALU_DEP_2) | instskip(NEXT) | instid1(VALU_DEP_2)
	v_mul_hi_u32 v2, v4, v5
	v_sub_nc_u32_e32 v3, 0, v1
	s_delay_alu instid0(VALU_DEP_1) | instskip(NEXT) | instid1(VALU_DEP_3)
	v_max_i32_e32 v3, v1, v3
	v_add_nc_u32_e32 v2, v4, v2
	s_delay_alu instid0(VALU_DEP_1) | instskip(NEXT) | instid1(VALU_DEP_1)
	v_mul_hi_u32 v2, v3, v2
	v_mul_lo_u32 v4, v2, s3
	s_delay_alu instid0(VALU_DEP_1) | instskip(NEXT) | instid1(VALU_DEP_1)
	v_sub_nc_u32_e32 v3, v3, v4
	v_subrev_nc_u32_e32 v5, s3, v3
	v_cmp_le_u32_e32 vcc_lo, s3, v3
	s_delay_alu instid0(VALU_DEP_2) | instskip(NEXT) | instid1(VALU_DEP_1)
	v_dual_cndmask_b32 v3, v3, v5 :: v_dual_add_nc_u32 v4, 1, v2
	v_cndmask_b32_e32 v2, v2, v4, vcc_lo
	v_xor_b32_e32 v4, s2, v1
	s_delay_alu instid0(VALU_DEP_3) | instskip(NEXT) | instid1(VALU_DEP_3)
	v_cmp_le_u32_e32 vcc_lo, s3, v3
	v_add_nc_u32_e32 v5, 1, v2
	s_delay_alu instid0(VALU_DEP_3) | instskip(SKIP_1) | instid1(VALU_DEP_2)
	v_ashrrev_i32_e32 v4, 31, v4
	s_mov_b32 s3, exec_lo
	v_cndmask_b32_e32 v2, v2, v5, vcc_lo
	s_delay_alu instid0(VALU_DEP_1) | instskip(NEXT) | instid1(VALU_DEP_1)
	v_xor_b32_e32 v2, v2, v4
	v_sub_nc_u32_e32 v2, v2, v4
	s_delay_alu instid0(VALU_DEP_1)
	v_cmpx_gt_i32_e64 s12, v2
	s_cbranch_execz .LBB120_14
; %bb.1:
	v_mul_lo_u32 v3, v2, s2
	s_add_i32 s2, s2, s10
	v_and_b32_e32 v7, 31, v0
	v_mul_lo_u32 v4, v2, s2
	s_load_b64 s[2:3], s[0:1], 0x0
	s_delay_alu instid0(VALU_DEP_2) | instskip(NEXT) | instid1(VALU_DEP_4)
	v_lshlrev_b32_e32 v6, 1, v7
	v_sub_nc_u32_e32 v1, v1, v3
	s_delay_alu instid0(VALU_DEP_1) | instskip(SKIP_1) | instid1(VALU_DEP_1)
	v_cmp_gt_i32_e32 vcc_lo, s8, v1
	v_cndmask_b32_e64 v3, s8, 0, vcc_lo
	v_sub_nc_u32_e32 v0, v1, v3
	s_delay_alu instid0(VALU_DEP_1) | instskip(NEXT) | instid1(VALU_DEP_1)
	v_add3_u32 v0, v4, v3, v0
	v_lshl_or_b32 v0, v0, 6, v6
	s_delay_alu instid0(VALU_DEP_1) | instskip(NEXT) | instid1(VALU_DEP_1)
	v_ashrrev_i32_e32 v1, 31, v0
	v_lshlrev_b64 v[0:1], 1, v[0:1]
	s_waitcnt lgkmcnt(0)
	s_delay_alu instid0(VALU_DEP_1) | instskip(NEXT) | instid1(VALU_DEP_1)
	v_add_co_u32 v0, s2, s2, v0
	v_add_co_ci_u32_e64 v1, s2, s3, v1, s2
	s_load_b256 s[0:7], s[0:1], 0x18
	global_load_b32 v5, v[0:1], off
	s_waitcnt lgkmcnt(0)
	v_dual_mov_b32 v3, s0 :: v_dual_mov_b32 v4, s1
	v_lshlrev_b32_e32 v8, 2, v7
	s_lshr_b32 s0, s13, 31
	s_mov_b32 s1, exec_lo
	s_add_i32 s0, s13, s0
	v_cndmask_b32_e32 v4, s3, v4, vcc_lo
	s_ashr_i32 s0, s0, 1
	s_waitcnt vmcnt(0)
	v_lshlrev_b32_e32 v9, 16, v5
	v_cndmask_b32_e32 v3, s2, v3, vcc_lo
	v_and_b32_e32 v5, 0xffff0000, v5
	s_delay_alu instid0(VALU_DEP_3) | instskip(NEXT) | instid1(VALU_DEP_3)
	v_mul_f32_e32 v10, v9, v9
	v_add_co_u32 v3, vcc_lo, v3, v8
	v_add_co_ci_u32_e32 v4, vcc_lo, 0, v4, vcc_lo
	global_load_b32 v3, v[3:4], off
	v_mbcnt_lo_u32_b32 v4, -1, 0
	s_delay_alu instid0(VALU_DEP_1) | instskip(SKIP_1) | instid1(VALU_DEP_2)
	v_xor_b32_e32 v8, 16, v4
	v_xor_b32_e32 v11, 8, v4
	v_cmp_gt_i32_e32 vcc_lo, 32, v8
	v_cndmask_b32_e32 v8, v4, v8, vcc_lo
	s_delay_alu instid0(VALU_DEP_3) | instskip(NEXT) | instid1(VALU_DEP_2)
	v_cmp_gt_i32_e32 vcc_lo, 32, v11
	v_dual_cndmask_b32 v11, v4, v11 :: v_dual_lshlrev_b32 v8, 2, v8
	s_delay_alu instid0(VALU_DEP_1)
	v_dual_fmac_f32 v10, v5, v5 :: v_dual_lshlrev_b32 v11, 2, v11
	ds_bpermute_b32 v8, v8, v10
	s_waitcnt lgkmcnt(0)
	v_add_f32_e32 v8, v10, v8
	ds_bpermute_b32 v10, v11, v8
	v_xor_b32_e32 v11, 4, v4
	s_delay_alu instid0(VALU_DEP_1) | instskip(SKIP_2) | instid1(VALU_DEP_1)
	v_cmp_gt_i32_e32 vcc_lo, 32, v11
	v_cndmask_b32_e32 v11, v4, v11, vcc_lo
	s_waitcnt lgkmcnt(0)
	v_dual_add_f32 v8, v8, v10 :: v_dual_lshlrev_b32 v11, 2, v11
	ds_bpermute_b32 v10, v11, v8
	v_xor_b32_e32 v11, 2, v4
	s_delay_alu instid0(VALU_DEP_1) | instskip(SKIP_2) | instid1(VALU_DEP_1)
	v_cmp_gt_i32_e32 vcc_lo, 32, v11
	v_cndmask_b32_e32 v11, v4, v11, vcc_lo
	s_waitcnt lgkmcnt(0)
	v_dual_add_f32 v8, v8, v10 :: v_dual_lshlrev_b32 v11, 2, v11
	ds_bpermute_b32 v10, v11, v8
	v_xor_b32_e32 v11, 1, v4
	s_delay_alu instid0(VALU_DEP_1) | instskip(SKIP_1) | instid1(VALU_DEP_1)
	v_cmp_gt_i32_e32 vcc_lo, 32, v11
	v_cndmask_b32_e32 v4, v4, v11, vcc_lo
	v_lshlrev_b32_e32 v4, 2, v4
	s_waitcnt lgkmcnt(0)
	v_add_f32_e32 v8, v8, v10
	v_mov_b32_e32 v10, s11
	ds_bpermute_b32 v4, v4, v8
	s_waitcnt lgkmcnt(0)
	v_add_f32_e32 v4, v8, v4
	s_delay_alu instid0(VALU_DEP_1) | instskip(NEXT) | instid1(VALU_DEP_1)
	v_fmamk_f32 v4, v4, 0x3c800000, v10
	v_mul_f32_e32 v8, 0x4b800000, v4
	v_cmp_gt_f32_e32 vcc_lo, 0x800000, v4
	s_delay_alu instid0(VALU_DEP_2) | instskip(NEXT) | instid1(VALU_DEP_1)
	v_cndmask_b32_e32 v4, v4, v8, vcc_lo
	v_rsq_f32_e32 v4, v4
	s_waitcnt_depctr 0xfff
	v_mul_f32_e32 v8, 0x45800000, v4
	s_delay_alu instid0(VALU_DEP_1) | instskip(SKIP_2) | instid1(VALU_DEP_1)
	v_cndmask_b32_e32 v4, v4, v8, vcc_lo
	s_waitcnt vmcnt(0)
	v_and_b32_e32 v10, 0xffff0000, v3
	v_dual_mul_f32 v8, v4, v10 :: v_dual_lshlrev_b32 v3, 16, v3
	s_delay_alu instid0(VALU_DEP_1) | instskip(NEXT) | instid1(VALU_DEP_2)
	v_mul_f32_e32 v3, v4, v3
	v_mul_f32_e32 v5, v8, v5
	s_delay_alu instid0(VALU_DEP_2)
	v_mul_f32_e32 v4, v3, v9
	v_cmpx_le_i32_e64 s0, v7
	s_xor_b32 s1, exec_lo, s1
; %bb.2:
                                        ; implicit-def: $vgpr2
                                        ; implicit-def: $vgpr6
; %bb.3:
	s_delay_alu instid0(SALU_CYCLE_1)
	s_and_not1_saveexec_b32 s2, s1
	s_cbranch_execz .LBB120_5
; %bb.4:
	v_ashrrev_i32_e32 v3, 31, v2
	s_ashr_i32 s1, s13, 31
	s_delay_alu instid0(VALU_DEP_1) | instskip(NEXT) | instid1(VALU_DEP_1)
	v_lshlrev_b64 v[2:3], 3, v[2:3]
	v_add_co_u32 v2, vcc_lo, s6, v2
	s_delay_alu instid0(VALU_DEP_2)
	v_add_co_ci_u32_e32 v3, vcc_lo, s7, v3, vcc_lo
	global_load_b64 v[2:3], v[2:3], off
	s_waitcnt vmcnt(0)
	v_mul_lo_u32 v3, v3, s13
	v_mul_lo_u32 v9, v2, s1
	v_mad_u64_u32 v[7:8], null, v2, s13, 0
	s_mov_b32 s1, 0
	s_delay_alu instid0(SALU_CYCLE_1) | instskip(NEXT) | instid1(VALU_DEP_1)
	s_lshl_b64 s[0:1], s[0:1], 1
	v_add3_u32 v8, v8, v9, v3
	s_delay_alu instid0(VALU_DEP_1) | instskip(NEXT) | instid1(VALU_DEP_1)
	v_lshlrev_b64 v[2:3], 1, v[7:8]
	v_add_co_u32 v2, vcc_lo, s4, v2
	s_delay_alu instid0(VALU_DEP_2) | instskip(NEXT) | instid1(VALU_DEP_2)
	v_add_co_ci_u32_e32 v3, vcc_lo, s5, v3, vcc_lo
	v_add_co_u32 v2, vcc_lo, v2, v6
	s_delay_alu instid0(VALU_DEP_2) | instskip(NEXT) | instid1(VALU_DEP_2)
	v_add_co_ci_u32_e32 v3, vcc_lo, 0, v3, vcc_lo
	v_add_co_u32 v6, vcc_lo, v2, s0
	s_delay_alu instid0(VALU_DEP_2)
	v_add_co_ci_u32_e32 v7, vcc_lo, s1, v3, vcc_lo
	s_clause 0x1
	global_load_u16 v6, v[6:7], off
	global_load_u16 v2, v[2:3], off
	s_waitcnt vmcnt(1)
	v_lshlrev_b32_e32 v6, 16, v6
	s_waitcnt vmcnt(0)
	v_lshlrev_b32_e32 v2, 16, v2
	s_delay_alu instid0(VALU_DEP_1) | instskip(NEXT) | instid1(VALU_DEP_1)
	v_mul_f32_e32 v3, v5, v2
	v_fmac_f32_e32 v3, v4, v6
	v_mul_f32_e32 v7, v5, v6
	s_delay_alu instid0(VALU_DEP_1) | instskip(NEXT) | instid1(VALU_DEP_1)
	v_fma_f32 v2, v4, v2, -v7
	v_dual_mov_b32 v5, v3 :: v_dual_mov_b32 v4, v2
.LBB120_5:
	s_or_b32 exec_lo, exec_lo, s2
	s_delay_alu instid0(VALU_DEP_1) | instskip(NEXT) | instid1(VALU_DEP_1)
	v_and_b32_e32 v2, 0x7f800000, v4
	v_cmp_ne_u32_e32 vcc_lo, 0x7f800000, v2
                                        ; implicit-def: $vgpr2
	s_and_saveexec_b32 s0, vcc_lo
	s_delay_alu instid0(SALU_CYCLE_1)
	s_xor_b32 s0, exec_lo, s0
; %bb.6:
	v_bfe_u32 v2, v4, 16, 1
	s_delay_alu instid0(VALU_DEP_1)
	v_add3_u32 v2, v4, v2, 0x7fff
; %bb.7:
	s_and_not1_saveexec_b32 s0, s0
; %bb.8:
	v_and_b32_e32 v2, 0xffff, v4
	v_or_b32_e32 v3, 0x10000, v4
	s_delay_alu instid0(VALU_DEP_2) | instskip(NEXT) | instid1(VALU_DEP_2)
	v_cmp_eq_u32_e32 vcc_lo, 0, v2
	v_cndmask_b32_e32 v2, v3, v4, vcc_lo
; %bb.9:
	s_or_b32 exec_lo, exec_lo, s0
	v_and_b32_e32 v3, 0x7f800000, v5
	s_delay_alu instid0(VALU_DEP_1) | instskip(SKIP_1) | instid1(SALU_CYCLE_1)
	v_cmp_ne_u32_e32 vcc_lo, 0x7f800000, v3
                                        ; implicit-def: $vgpr3
	s_and_saveexec_b32 s0, vcc_lo
	s_xor_b32 s0, exec_lo, s0
; %bb.10:
	v_bfe_u32 v3, v5, 16, 1
	s_delay_alu instid0(VALU_DEP_1)
	v_add3_u32 v3, v5, v3, 0x7fff
                                        ; implicit-def: $vgpr4_vgpr5
; %bb.11:
	s_and_not1_saveexec_b32 s0, s0
; %bb.12:
	v_and_b32_e32 v3, 0xffff, v5
	v_or_b32_e32 v4, 0x10000, v5
	s_delay_alu instid0(VALU_DEP_2) | instskip(NEXT) | instid1(VALU_DEP_2)
	v_cmp_eq_u32_e32 vcc_lo, 0, v3
	v_cndmask_b32_e32 v3, v4, v5, vcc_lo
; %bb.13:
	s_or_b32 exec_lo, exec_lo, s0
	v_lshrrev_b32_e32 v2, 16, v2
	s_delay_alu instid0(VALU_DEP_1)
	v_and_or_b32 v2, 0xffff0000, v3, v2
	global_store_b32 v[0:1], v2, off
.LBB120_14:
	s_nop 0
	s_sendmsg sendmsg(MSG_DEALLOC_VGPRS)
	s_endpgm
	.section	.rodata,"a",@progbits
	.p2align	6, 0x0
	.amdhsa_kernel _ZN12tensorrt_llm7kernels21fusedQKNormRopeKernelIN3c108BFloat16ES3_Li64ELb1EEEvPviiifPKvS6_S6_PKlii
		.amdhsa_group_segment_fixed_size 0
		.amdhsa_private_segment_fixed_size 0
		.amdhsa_kernarg_size 320
		.amdhsa_user_sgpr_count 15
		.amdhsa_user_sgpr_dispatch_ptr 0
		.amdhsa_user_sgpr_queue_ptr 0
		.amdhsa_user_sgpr_kernarg_segment_ptr 1
		.amdhsa_user_sgpr_dispatch_id 0
		.amdhsa_user_sgpr_private_segment_size 0
		.amdhsa_wavefront_size32 1
		.amdhsa_uses_dynamic_stack 0
		.amdhsa_enable_private_segment 0
		.amdhsa_system_sgpr_workgroup_id_x 1
		.amdhsa_system_sgpr_workgroup_id_y 0
		.amdhsa_system_sgpr_workgroup_id_z 0
		.amdhsa_system_sgpr_workgroup_info 0
		.amdhsa_system_vgpr_workitem_id 0
		.amdhsa_next_free_vgpr 12
		.amdhsa_next_free_sgpr 16
		.amdhsa_reserve_vcc 1
		.amdhsa_float_round_mode_32 0
		.amdhsa_float_round_mode_16_64 0
		.amdhsa_float_denorm_mode_32 3
		.amdhsa_float_denorm_mode_16_64 3
		.amdhsa_dx10_clamp 1
		.amdhsa_ieee_mode 1
		.amdhsa_fp16_overflow 0
		.amdhsa_workgroup_processor_mode 1
		.amdhsa_memory_ordered 1
		.amdhsa_forward_progress 0
		.amdhsa_shared_vgpr_count 0
		.amdhsa_exception_fp_ieee_invalid_op 0
		.amdhsa_exception_fp_denorm_src 0
		.amdhsa_exception_fp_ieee_div_zero 0
		.amdhsa_exception_fp_ieee_overflow 0
		.amdhsa_exception_fp_ieee_underflow 0
		.amdhsa_exception_fp_ieee_inexact 0
		.amdhsa_exception_int_div_zero 0
	.end_amdhsa_kernel
	.section	.text._ZN12tensorrt_llm7kernels21fusedQKNormRopeKernelIN3c108BFloat16ES3_Li64ELb1EEEvPviiifPKvS6_S6_PKlii,"axG",@progbits,_ZN12tensorrt_llm7kernels21fusedQKNormRopeKernelIN3c108BFloat16ES3_Li64ELb1EEEvPviiifPKvS6_S6_PKlii,comdat
.Lfunc_end120:
	.size	_ZN12tensorrt_llm7kernels21fusedQKNormRopeKernelIN3c108BFloat16ES3_Li64ELb1EEEvPviiifPKvS6_S6_PKlii, .Lfunc_end120-_ZN12tensorrt_llm7kernels21fusedQKNormRopeKernelIN3c108BFloat16ES3_Li64ELb1EEEvPviiifPKvS6_S6_PKlii
                                        ; -- End function
	.section	.AMDGPU.csdata,"",@progbits
; Kernel info:
; codeLenInByte = 1240
; NumSgprs: 18
; NumVgprs: 12
; ScratchSize: 0
; MemoryBound: 0
; FloatMode: 240
; IeeeMode: 1
; LDSByteSize: 0 bytes/workgroup (compile time only)
; SGPRBlocks: 2
; VGPRBlocks: 1
; NumSGPRsForWavesPerEU: 18
; NumVGPRsForWavesPerEU: 12
; Occupancy: 16
; WaveLimiterHint : 1
; COMPUTE_PGM_RSRC2:SCRATCH_EN: 0
; COMPUTE_PGM_RSRC2:USER_SGPR: 15
; COMPUTE_PGM_RSRC2:TRAP_HANDLER: 0
; COMPUTE_PGM_RSRC2:TGID_X_EN: 1
; COMPUTE_PGM_RSRC2:TGID_Y_EN: 0
; COMPUTE_PGM_RSRC2:TGID_Z_EN: 0
; COMPUTE_PGM_RSRC2:TIDIG_COMP_CNT: 0
	.section	.text._ZN12tensorrt_llm7kernels21fusedQKNormRopeKernelIN3c108BFloat16ES3_Li64ELb0EEEvPviiifPKvS6_S6_PKlii,"axG",@progbits,_ZN12tensorrt_llm7kernels21fusedQKNormRopeKernelIN3c108BFloat16ES3_Li64ELb0EEEvPviiifPKvS6_S6_PKlii,comdat
	.protected	_ZN12tensorrt_llm7kernels21fusedQKNormRopeKernelIN3c108BFloat16ES3_Li64ELb0EEEvPviiifPKvS6_S6_PKlii ; -- Begin function _ZN12tensorrt_llm7kernels21fusedQKNormRopeKernelIN3c108BFloat16ES3_Li64ELb0EEEvPviiifPKvS6_S6_PKlii
	.globl	_ZN12tensorrt_llm7kernels21fusedQKNormRopeKernelIN3c108BFloat16ES3_Li64ELb0EEEvPviiifPKvS6_S6_PKlii
	.p2align	8
	.type	_ZN12tensorrt_llm7kernels21fusedQKNormRopeKernelIN3c108BFloat16ES3_Li64ELb0EEEvPviiifPKvS6_S6_PKlii,@function
_ZN12tensorrt_llm7kernels21fusedQKNormRopeKernelIN3c108BFloat16ES3_Li64ELb0EEEvPviiifPKvS6_S6_PKlii: ; @_ZN12tensorrt_llm7kernels21fusedQKNormRopeKernelIN3c108BFloat16ES3_Li64ELb0EEEvPviiifPKvS6_S6_PKlii
; %bb.0:
	s_clause 0x2
	s_load_b128 s[8:11], s[0:1], 0x8
	s_load_b64 s[12:13], s[0:1], 0x38
	s_load_b32 s4, s[0:1], 0x4c
	v_lshrrev_b32_e32 v3, 5, v0
	s_waitcnt lgkmcnt(0)
	s_add_i32 s2, s9, s8
	s_bfe_u32 s4, s4, 0xb0005
	s_abs_i32 s3, s2
	s_delay_alu instid0(SALU_CYCLE_1) | instskip(SKIP_1) | instid1(VALU_DEP_1)
	v_cvt_f32_u32_e32 v1, s3
	s_sub_i32 s5, 0, s3
	v_rcp_iflag_f32_e32 v1, v1
	s_waitcnt_depctr 0xfff
	v_mul_f32_e32 v1, 0x4f7ffffe, v1
	s_delay_alu instid0(VALU_DEP_1) | instskip(NEXT) | instid1(VALU_DEP_1)
	v_cvt_u32_f32_e32 v4, v1
	v_mul_lo_u32 v5, s5, v4
	v_mad_u64_u32 v[1:2], null, s15, s4, v[3:4]
	s_delay_alu instid0(VALU_DEP_2) | instskip(NEXT) | instid1(VALU_DEP_2)
	v_mul_hi_u32 v2, v4, v5
	v_sub_nc_u32_e32 v3, 0, v1
	s_delay_alu instid0(VALU_DEP_1) | instskip(NEXT) | instid1(VALU_DEP_3)
	v_max_i32_e32 v3, v1, v3
	v_add_nc_u32_e32 v2, v4, v2
	s_delay_alu instid0(VALU_DEP_1) | instskip(NEXT) | instid1(VALU_DEP_1)
	v_mul_hi_u32 v2, v3, v2
	v_mul_lo_u32 v4, v2, s3
	s_delay_alu instid0(VALU_DEP_1) | instskip(NEXT) | instid1(VALU_DEP_1)
	v_sub_nc_u32_e32 v3, v3, v4
	v_subrev_nc_u32_e32 v5, s3, v3
	v_cmp_le_u32_e32 vcc_lo, s3, v3
	s_delay_alu instid0(VALU_DEP_2) | instskip(NEXT) | instid1(VALU_DEP_1)
	v_dual_cndmask_b32 v3, v3, v5 :: v_dual_add_nc_u32 v4, 1, v2
	v_cndmask_b32_e32 v2, v2, v4, vcc_lo
	v_xor_b32_e32 v4, s2, v1
	s_delay_alu instid0(VALU_DEP_3) | instskip(NEXT) | instid1(VALU_DEP_3)
	v_cmp_le_u32_e32 vcc_lo, s3, v3
	v_add_nc_u32_e32 v5, 1, v2
	s_delay_alu instid0(VALU_DEP_3) | instskip(SKIP_1) | instid1(VALU_DEP_2)
	v_ashrrev_i32_e32 v4, 31, v4
	s_mov_b32 s3, exec_lo
	v_cndmask_b32_e32 v2, v2, v5, vcc_lo
	s_delay_alu instid0(VALU_DEP_1) | instskip(NEXT) | instid1(VALU_DEP_1)
	v_xor_b32_e32 v2, v2, v4
	v_sub_nc_u32_e32 v4, v2, v4
	s_delay_alu instid0(VALU_DEP_1)
	v_cmpx_gt_i32_e64 s12, v4
	s_cbranch_execz .LBB121_12
; %bb.1:
	v_mul_lo_u32 v2, v4, s2
	s_add_i32 s2, s2, s10
	v_and_b32_e32 v6, 31, v0
	v_mul_lo_u32 v3, v4, s2
	s_load_b64 s[2:3], s[0:1], 0x0
	v_mbcnt_lo_u32_b32 v7, -1, 0
	s_delay_alu instid0(VALU_DEP_4) | instskip(NEXT) | instid1(VALU_DEP_2)
	v_sub_nc_u32_e32 v1, v1, v2
	v_xor_b32_e32 v11, 8, v7
	s_delay_alu instid0(VALU_DEP_2) | instskip(SKIP_1) | instid1(VALU_DEP_1)
	v_cmp_gt_i32_e32 vcc_lo, s8, v1
	v_cndmask_b32_e64 v2, s8, 0, vcc_lo
	v_sub_nc_u32_e32 v0, v1, v2
	v_lshlrev_b32_e32 v1, 1, v6
	s_delay_alu instid0(VALU_DEP_2) | instskip(NEXT) | instid1(VALU_DEP_1)
	v_add3_u32 v0, v3, v2, v0
	v_lshl_or_b32 v0, v0, 6, v1
	s_delay_alu instid0(VALU_DEP_1) | instskip(NEXT) | instid1(VALU_DEP_1)
	v_ashrrev_i32_e32 v1, 31, v0
	v_lshlrev_b64 v[0:1], 1, v[0:1]
	s_waitcnt lgkmcnt(0)
	s_delay_alu instid0(VALU_DEP_1) | instskip(NEXT) | instid1(VALU_DEP_1)
	v_add_co_u32 v0, s2, s2, v0
	v_add_co_ci_u32_e64 v1, s2, s3, v1, s2
	s_load_b256 s[0:7], s[0:1], 0x18
	global_load_b32 v5, v[0:1], off
	s_waitcnt lgkmcnt(0)
	v_dual_mov_b32 v2, s0 :: v_dual_mov_b32 v3, s1
	v_lshlrev_b32_e32 v8, 2, v6
	s_lshr_b32 s0, s13, 31
	s_delay_alu instid0(VALU_DEP_2) | instskip(NEXT) | instid1(VALU_DEP_3)
	v_cndmask_b32_e32 v2, s2, v2, vcc_lo
	v_cndmask_b32_e32 v3, s3, v3, vcc_lo
	s_add_i32 s0, s13, s0
	s_mov_b32 s2, exec_lo
	s_ashr_i32 s0, s0, 1
	s_waitcnt vmcnt(0)
	v_lshlrev_b32_e32 v9, 16, v5
	v_add_co_u32 v2, vcc_lo, v2, v8
	v_add_co_ci_u32_e32 v3, vcc_lo, 0, v3, vcc_lo
	v_and_b32_e32 v5, 0xffff0000, v5
	s_delay_alu instid0(VALU_DEP_4) | instskip(SKIP_3) | instid1(VALU_DEP_2)
	v_mul_f32_e32 v10, v9, v9
	global_load_b32 v2, v[2:3], off
	v_xor_b32_e32 v3, 16, v7
	v_fmac_f32_e32 v10, v5, v5
	v_cmp_gt_i32_e32 vcc_lo, 32, v3
	v_cndmask_b32_e32 v3, v7, v3, vcc_lo
	v_cmp_gt_i32_e32 vcc_lo, 32, v11
	s_delay_alu instid0(VALU_DEP_2)
	v_lshlrev_b32_e32 v3, 2, v3
	v_cndmask_b32_e32 v11, v7, v11, vcc_lo
	ds_bpermute_b32 v3, v3, v10
	v_lshlrev_b32_e32 v11, 2, v11
	s_waitcnt lgkmcnt(0)
	v_add_f32_e32 v3, v10, v3
	ds_bpermute_b32 v10, v11, v3
	v_xor_b32_e32 v11, 4, v7
	s_delay_alu instid0(VALU_DEP_1) | instskip(SKIP_1) | instid1(VALU_DEP_1)
	v_cmp_gt_i32_e32 vcc_lo, 32, v11
	v_cndmask_b32_e32 v11, v7, v11, vcc_lo
	v_lshlrev_b32_e32 v11, 2, v11
	s_waitcnt lgkmcnt(0)
	v_add_f32_e32 v3, v3, v10
	ds_bpermute_b32 v10, v11, v3
	v_xor_b32_e32 v11, 2, v7
	s_delay_alu instid0(VALU_DEP_1) | instskip(SKIP_1) | instid1(VALU_DEP_1)
	v_cmp_gt_i32_e32 vcc_lo, 32, v11
	v_cndmask_b32_e32 v11, v7, v11, vcc_lo
	;; [unrolled: 8-line block ×3, first 2 shown]
	v_lshlrev_b32_e32 v11, 2, v11
	s_waitcnt lgkmcnt(0)
	v_add_f32_e32 v3, v3, v10
	ds_bpermute_b32 v10, v11, v3
	v_mov_b32_e32 v11, s11
	s_waitcnt lgkmcnt(0)
	v_add_f32_e32 v3, v3, v10
	s_delay_alu instid0(VALU_DEP_1) | instskip(NEXT) | instid1(VALU_DEP_1)
	v_fmamk_f32 v3, v3, 0x3c800000, v11
	v_mul_f32_e32 v10, 0x4b800000, v3
	v_cmp_gt_f32_e32 vcc_lo, 0x800000, v3
	s_delay_alu instid0(VALU_DEP_2) | instskip(NEXT) | instid1(VALU_DEP_1)
	v_cndmask_b32_e32 v3, v3, v10, vcc_lo
	v_rsq_f32_e32 v3, v3
	s_waitcnt vmcnt(0)
	s_waitcnt_depctr 0xfff
	v_dual_mul_f32 v10, 0x45800000, v3 :: v_dual_lshlrev_b32 v11, 16, v2
	s_delay_alu instid0(VALU_DEP_1) | instskip(SKIP_1) | instid1(VALU_DEP_2)
	v_cndmask_b32_e32 v3, v3, v10, vcc_lo
	v_and_b32_e32 v2, 0xffff0000, v2
	v_mul_f32_e32 v10, v3, v11
	s_delay_alu instid0(VALU_DEP_1) | instskip(NEXT) | instid1(VALU_DEP_1)
	v_dual_mul_f32 v3, v3, v2 :: v_dual_mul_f32 v2, v10, v9
	v_mul_f32_e32 v3, v3, v5
	v_cmpx_gt_i32_e64 s0, v6
	s_cbranch_execz .LBB121_3
; %bb.2:
	v_ashrrev_i32_e32 v5, 31, v4
	s_abs_i32 s3, s13
	s_delay_alu instid0(SALU_CYCLE_1) | instskip(SKIP_1) | instid1(VALU_DEP_2)
	v_cvt_f32_u32_e32 v9, s3
	s_sub_i32 s1, 0, s3
	v_lshlrev_b64 v[4:5], 3, v[4:5]
	s_delay_alu instid0(VALU_DEP_2) | instskip(NEXT) | instid1(VALU_DEP_1)
	v_rcp_iflag_f32_e32 v9, v9
	v_add_co_u32 v4, vcc_lo, s6, v4
	s_delay_alu instid0(VALU_DEP_2) | instskip(SKIP_4) | instid1(VALU_DEP_1)
	v_add_co_ci_u32_e32 v5, vcc_lo, s7, v5, vcc_lo
	s_waitcnt_depctr 0xfff
	v_mul_f32_e32 v9, 0x4f7ffffe, v9
	global_load_b64 v[4:5], v[4:5], off
	; wave barrier
	v_cvt_u32_f32_e32 v9, v9
	v_mul_lo_u32 v10, s1, v9
	s_ashr_i32 s1, s13, 31
	s_delay_alu instid0(VALU_DEP_1) | instskip(NEXT) | instid1(VALU_DEP_1)
	v_mul_hi_u32 v10, v9, v10
	v_add_nc_u32_e32 v9, v9, v10
	v_or_b32_e32 v10, 2, v8
	s_delay_alu instid0(VALU_DEP_2) | instskip(NEXT) | instid1(VALU_DEP_2)
	v_mul_hi_u32 v11, v8, v9
	v_mul_hi_u32 v9, v10, v9
	s_delay_alu instid0(VALU_DEP_2) | instskip(NEXT) | instid1(VALU_DEP_2)
	v_mul_lo_u32 v11, v11, s3
	v_mul_lo_u32 v9, v9, s3
	s_delay_alu instid0(VALU_DEP_2) | instskip(NEXT) | instid1(VALU_DEP_2)
	v_sub_nc_u32_e32 v11, v8, v11
	v_sub_nc_u32_e32 v10, v10, v9
	s_delay_alu instid0(VALU_DEP_2) | instskip(SKIP_1) | instid1(VALU_DEP_3)
	v_subrev_nc_u32_e32 v12, s3, v11
	v_cmp_le_u32_e32 vcc_lo, s3, v11
	v_subrev_nc_u32_e32 v13, s3, v10
	s_waitcnt vmcnt(0)
	v_mul_lo_u32 v5, v5, s13
	v_mul_lo_u32 v14, v4, s1
	v_mad_u64_u32 v[8:9], null, v4, s13, 0
	v_cndmask_b32_e32 v4, v11, v12, vcc_lo
	v_cmp_le_u32_e32 vcc_lo, s3, v10
	s_mov_b32 s1, 0
	s_delay_alu instid0(SALU_CYCLE_1) | instskip(NEXT) | instid1(VALU_DEP_2)
	s_lshl_b64 s[6:7], s[0:1], 1
	v_subrev_nc_u32_e32 v11, s3, v4
	v_cndmask_b32_e32 v10, v10, v13, vcc_lo
	v_add3_u32 v9, v9, v14, v5
	v_cmp_le_u32_e32 vcc_lo, s3, v4
	s_lshr_b32 s0, s0, 1
	s_delay_alu instid0(VALU_DEP_3) | instskip(SKIP_3) | instid1(VALU_DEP_4)
	v_subrev_nc_u32_e32 v12, s3, v10
	v_cndmask_b32_e32 v11, v4, v11, vcc_lo
	v_lshlrev_b64 v[4:5], 1, v[8:9]
	v_cmp_le_u32_e32 vcc_lo, s3, v10
	v_cndmask_b32_e32 v8, v10, v12, vcc_lo
	s_delay_alu instid0(VALU_DEP_3) | instskip(NEXT) | instid1(VALU_DEP_4)
	v_add_co_u32 v12, vcc_lo, s4, v4
	v_add_co_ci_u32_e32 v13, vcc_lo, s5, v5, vcc_lo
	v_and_b32_e32 v9, -2, v11
	s_delay_alu instid0(VALU_DEP_3) | instskip(NEXT) | instid1(VALU_DEP_3)
	v_add_co_u32 v10, vcc_lo, v12, s6
	v_add_co_ci_u32_e32 v11, vcc_lo, s7, v13, vcc_lo
	s_delay_alu instid0(VALU_DEP_3) | instskip(SKIP_4) | instid1(VALU_DEP_4)
	v_add_co_u32 v4, vcc_lo, v12, v9
	v_and_b32_e32 v14, -2, v8
	v_add_co_ci_u32_e32 v5, vcc_lo, 0, v13, vcc_lo
	v_add_co_u32 v8, vcc_lo, v10, v9
	v_add_co_ci_u32_e32 v9, vcc_lo, 0, v11, vcc_lo
	v_add_co_u32 v10, vcc_lo, v10, v14
	;; [unrolled: 2-line block ×3, first 2 shown]
	v_add_co_ci_u32_e32 v13, vcc_lo, 0, v13, vcc_lo
	s_clause 0x3
	global_load_u16 v8, v[8:9], off
	global_load_u16 v9, v[10:11], off
	;; [unrolled: 1-line block ×4, first 2 shown]
	v_xor_b32_e32 v10, s0, v7
	; wave barrier
	s_delay_alu instid0(VALU_DEP_1) | instskip(SKIP_2) | instid1(VALU_DEP_2)
	v_cmp_gt_i32_e32 vcc_lo, 32, v10
	v_cndmask_b32_e32 v7, v7, v10, vcc_lo
	v_cmp_gt_u32_e32 vcc_lo, s0, v6
	v_lshlrev_b32_e32 v7, 2, v7
	ds_bpermute_b32 v10, v7, v2
	s_waitcnt lgkmcnt(0)
	v_cndmask_b32_e64 v6, v10, -v10, vcc_lo
	s_waitcnt vmcnt(2)
	v_lshlrev_b32_e32 v9, 16, v9
	v_lshlrev_b32_e32 v8, 16, v8
	s_waitcnt vmcnt(0)
	v_lshlrev_b32_e32 v11, 16, v5
	v_lshlrev_b32_e32 v10, 16, v4
	s_delay_alu instid0(VALU_DEP_3) | instskip(NEXT) | instid1(VALU_DEP_1)
	v_mul_f32_e32 v4, v6, v8
	v_fmac_f32_e32 v4, v2, v10
	ds_bpermute_b32 v7, v7, v3
	s_waitcnt lgkmcnt(0)
	v_cndmask_b32_e64 v7, v7, -v7, vcc_lo
	s_delay_alu instid0(VALU_DEP_1) | instskip(NEXT) | instid1(VALU_DEP_1)
	v_mul_f32_e32 v5, v7, v9
	v_fmac_f32_e32 v5, v3, v11
	s_delay_alu instid0(VALU_DEP_1)
	v_dual_mov_b32 v2, v4 :: v_dual_mov_b32 v3, v5
.LBB121_3:
	s_or_b32 exec_lo, exec_lo, s2
	s_delay_alu instid0(VALU_DEP_1) | instskip(NEXT) | instid1(VALU_DEP_1)
	v_and_b32_e32 v4, 0x7f800000, v2
	v_cmp_ne_u32_e32 vcc_lo, 0x7f800000, v4
                                        ; implicit-def: $vgpr4
	s_and_saveexec_b32 s0, vcc_lo
	s_delay_alu instid0(SALU_CYCLE_1)
	s_xor_b32 s0, exec_lo, s0
; %bb.4:
	v_bfe_u32 v4, v2, 16, 1
	s_delay_alu instid0(VALU_DEP_1)
	v_add3_u32 v4, v2, v4, 0x7fff
; %bb.5:
	s_and_not1_saveexec_b32 s0, s0
; %bb.6:
	v_and_b32_e32 v4, 0xffff, v2
	v_or_b32_e32 v5, 0x10000, v2
	s_delay_alu instid0(VALU_DEP_2) | instskip(NEXT) | instid1(VALU_DEP_2)
	v_cmp_eq_u32_e32 vcc_lo, 0, v4
	v_cndmask_b32_e32 v4, v5, v2, vcc_lo
; %bb.7:
	s_or_b32 exec_lo, exec_lo, s0
	v_and_b32_e32 v2, 0x7f800000, v3
	s_mov_b32 s0, exec_lo
                                        ; implicit-def: $vgpr5
	s_delay_alu instid0(VALU_DEP_1)
	v_cmpx_ne_u32_e32 0x7f800000, v2
	s_xor_b32 s0, exec_lo, s0
; %bb.8:
	v_bfe_u32 v2, v3, 16, 1
	s_delay_alu instid0(VALU_DEP_1)
	v_add3_u32 v5, v3, v2, 0x7fff
                                        ; implicit-def: $vgpr2_vgpr3
; %bb.9:
	s_and_not1_saveexec_b32 s0, s0
; %bb.10:
	v_and_b32_e32 v2, 0xffff, v3
	v_or_b32_e32 v5, 0x10000, v3
	s_delay_alu instid0(VALU_DEP_2) | instskip(NEXT) | instid1(VALU_DEP_2)
	v_cmp_eq_u32_e32 vcc_lo, 0, v2
	v_cndmask_b32_e32 v5, v5, v3, vcc_lo
; %bb.11:
	s_or_b32 exec_lo, exec_lo, s0
	v_lshrrev_b32_e32 v2, 16, v4
	s_delay_alu instid0(VALU_DEP_1)
	v_and_or_b32 v2, 0xffff0000, v5, v2
	global_store_b32 v[0:1], v2, off
.LBB121_12:
	s_nop 0
	s_sendmsg sendmsg(MSG_DEALLOC_VGPRS)
	s_endpgm
	.section	.rodata,"a",@progbits
	.p2align	6, 0x0
	.amdhsa_kernel _ZN12tensorrt_llm7kernels21fusedQKNormRopeKernelIN3c108BFloat16ES3_Li64ELb0EEEvPviiifPKvS6_S6_PKlii
		.amdhsa_group_segment_fixed_size 0
		.amdhsa_private_segment_fixed_size 0
		.amdhsa_kernarg_size 320
		.amdhsa_user_sgpr_count 15
		.amdhsa_user_sgpr_dispatch_ptr 0
		.amdhsa_user_sgpr_queue_ptr 0
		.amdhsa_user_sgpr_kernarg_segment_ptr 1
		.amdhsa_user_sgpr_dispatch_id 0
		.amdhsa_user_sgpr_private_segment_size 0
		.amdhsa_wavefront_size32 1
		.amdhsa_uses_dynamic_stack 0
		.amdhsa_enable_private_segment 0
		.amdhsa_system_sgpr_workgroup_id_x 1
		.amdhsa_system_sgpr_workgroup_id_y 0
		.amdhsa_system_sgpr_workgroup_id_z 0
		.amdhsa_system_sgpr_workgroup_info 0
		.amdhsa_system_vgpr_workitem_id 0
		.amdhsa_next_free_vgpr 15
		.amdhsa_next_free_sgpr 16
		.amdhsa_reserve_vcc 1
		.amdhsa_float_round_mode_32 0
		.amdhsa_float_round_mode_16_64 0
		.amdhsa_float_denorm_mode_32 3
		.amdhsa_float_denorm_mode_16_64 3
		.amdhsa_dx10_clamp 1
		.amdhsa_ieee_mode 1
		.amdhsa_fp16_overflow 0
		.amdhsa_workgroup_processor_mode 1
		.amdhsa_memory_ordered 1
		.amdhsa_forward_progress 0
		.amdhsa_shared_vgpr_count 0
		.amdhsa_exception_fp_ieee_invalid_op 0
		.amdhsa_exception_fp_denorm_src 0
		.amdhsa_exception_fp_ieee_div_zero 0
		.amdhsa_exception_fp_ieee_overflow 0
		.amdhsa_exception_fp_ieee_underflow 0
		.amdhsa_exception_fp_ieee_inexact 0
		.amdhsa_exception_int_div_zero 0
	.end_amdhsa_kernel
	.section	.text._ZN12tensorrt_llm7kernels21fusedQKNormRopeKernelIN3c108BFloat16ES3_Li64ELb0EEEvPviiifPKvS6_S6_PKlii,"axG",@progbits,_ZN12tensorrt_llm7kernels21fusedQKNormRopeKernelIN3c108BFloat16ES3_Li64ELb0EEEvPviiifPKvS6_S6_PKlii,comdat
.Lfunc_end121:
	.size	_ZN12tensorrt_llm7kernels21fusedQKNormRopeKernelIN3c108BFloat16ES3_Li64ELb0EEEvPviiifPKvS6_S6_PKlii, .Lfunc_end121-_ZN12tensorrt_llm7kernels21fusedQKNormRopeKernelIN3c108BFloat16ES3_Li64ELb0EEEvPviiifPKvS6_S6_PKlii
                                        ; -- End function
	.section	.AMDGPU.csdata,"",@progbits
; Kernel info:
; codeLenInByte = 1524
; NumSgprs: 18
; NumVgprs: 15
; ScratchSize: 0
; MemoryBound: 0
; FloatMode: 240
; IeeeMode: 1
; LDSByteSize: 0 bytes/workgroup (compile time only)
; SGPRBlocks: 2
; VGPRBlocks: 1
; NumSGPRsForWavesPerEU: 18
; NumVGPRsForWavesPerEU: 15
; Occupancy: 16
; WaveLimiterHint : 1
; COMPUTE_PGM_RSRC2:SCRATCH_EN: 0
; COMPUTE_PGM_RSRC2:USER_SGPR: 15
; COMPUTE_PGM_RSRC2:TRAP_HANDLER: 0
; COMPUTE_PGM_RSRC2:TGID_X_EN: 1
; COMPUTE_PGM_RSRC2:TGID_Y_EN: 0
; COMPUTE_PGM_RSRC2:TGID_Z_EN: 0
; COMPUTE_PGM_RSRC2:TIDIG_COMP_CNT: 0
	.section	.text._ZN12tensorrt_llm7kernels21fusedQKNormRopeKernelIN3c108BFloat16ES3_Li128ELb1EEEvPviiifPKvS6_S6_PKlii,"axG",@progbits,_ZN12tensorrt_llm7kernels21fusedQKNormRopeKernelIN3c108BFloat16ES3_Li128ELb1EEEvPviiifPKvS6_S6_PKlii,comdat
	.protected	_ZN12tensorrt_llm7kernels21fusedQKNormRopeKernelIN3c108BFloat16ES3_Li128ELb1EEEvPviiifPKvS6_S6_PKlii ; -- Begin function _ZN12tensorrt_llm7kernels21fusedQKNormRopeKernelIN3c108BFloat16ES3_Li128ELb1EEEvPviiifPKvS6_S6_PKlii
	.globl	_ZN12tensorrt_llm7kernels21fusedQKNormRopeKernelIN3c108BFloat16ES3_Li128ELb1EEEvPviiifPKvS6_S6_PKlii
	.p2align	8
	.type	_ZN12tensorrt_llm7kernels21fusedQKNormRopeKernelIN3c108BFloat16ES3_Li128ELb1EEEvPviiifPKvS6_S6_PKlii,@function
_ZN12tensorrt_llm7kernels21fusedQKNormRopeKernelIN3c108BFloat16ES3_Li128ELb1EEEvPviiifPKvS6_S6_PKlii: ; @_ZN12tensorrt_llm7kernels21fusedQKNormRopeKernelIN3c108BFloat16ES3_Li128ELb1EEEvPviiifPKvS6_S6_PKlii
; %bb.0:
	s_clause 0x2
	s_load_b128 s[8:11], s[0:1], 0x8
	s_load_b64 s[12:13], s[0:1], 0x38
	s_load_b32 s4, s[0:1], 0x4c
	v_lshrrev_b32_e32 v3, 5, v0
	s_waitcnt lgkmcnt(0)
	s_add_i32 s2, s9, s8
	s_bfe_u32 s4, s4, 0xb0005
	s_abs_i32 s3, s2
	s_delay_alu instid0(SALU_CYCLE_1) | instskip(SKIP_1) | instid1(VALU_DEP_1)
	v_cvt_f32_u32_e32 v1, s3
	s_sub_i32 s5, 0, s3
	v_rcp_iflag_f32_e32 v1, v1
	s_waitcnt_depctr 0xfff
	v_mul_f32_e32 v1, 0x4f7ffffe, v1
	s_delay_alu instid0(VALU_DEP_1) | instskip(NEXT) | instid1(VALU_DEP_1)
	v_cvt_u32_f32_e32 v4, v1
	v_mul_lo_u32 v5, s5, v4
	v_mad_u64_u32 v[1:2], null, s15, s4, v[3:4]
	s_delay_alu instid0(VALU_DEP_2) | instskip(NEXT) | instid1(VALU_DEP_2)
	v_mul_hi_u32 v2, v4, v5
	v_sub_nc_u32_e32 v3, 0, v1
	s_delay_alu instid0(VALU_DEP_1) | instskip(NEXT) | instid1(VALU_DEP_3)
	v_max_i32_e32 v3, v1, v3
	v_add_nc_u32_e32 v2, v4, v2
	s_delay_alu instid0(VALU_DEP_1) | instskip(NEXT) | instid1(VALU_DEP_1)
	v_mul_hi_u32 v2, v3, v2
	v_mul_lo_u32 v4, v2, s3
	s_delay_alu instid0(VALU_DEP_1) | instskip(NEXT) | instid1(VALU_DEP_1)
	v_sub_nc_u32_e32 v3, v3, v4
	v_subrev_nc_u32_e32 v5, s3, v3
	v_cmp_le_u32_e32 vcc_lo, s3, v3
	s_delay_alu instid0(VALU_DEP_2) | instskip(NEXT) | instid1(VALU_DEP_1)
	v_dual_cndmask_b32 v3, v3, v5 :: v_dual_add_nc_u32 v4, 1, v2
	v_cndmask_b32_e32 v2, v2, v4, vcc_lo
	v_xor_b32_e32 v4, s2, v1
	s_delay_alu instid0(VALU_DEP_3) | instskip(NEXT) | instid1(VALU_DEP_3)
	v_cmp_le_u32_e32 vcc_lo, s3, v3
	v_add_nc_u32_e32 v5, 1, v2
	s_delay_alu instid0(VALU_DEP_3) | instskip(SKIP_1) | instid1(VALU_DEP_2)
	v_ashrrev_i32_e32 v4, 31, v4
	s_mov_b32 s3, exec_lo
	v_cndmask_b32_e32 v2, v2, v5, vcc_lo
	s_delay_alu instid0(VALU_DEP_1) | instskip(NEXT) | instid1(VALU_DEP_1)
	v_xor_b32_e32 v2, v2, v4
	v_sub_nc_u32_e32 v6, v2, v4
	s_delay_alu instid0(VALU_DEP_1)
	v_cmpx_gt_i32_e64 s12, v6
	s_cbranch_execz .LBB122_22
; %bb.1:
	v_mul_lo_u32 v2, v6, s2
	s_add_i32 s2, s2, s10
	v_and_b32_e32 v7, 31, v0
	v_mul_lo_u32 v3, v6, s2
	s_load_b64 s[2:3], s[0:1], 0x0
	v_mbcnt_lo_u32_b32 v10, -1, 0
	s_delay_alu instid0(VALU_DEP_3) | instskip(SKIP_1) | instid1(VALU_DEP_3)
	v_lshlrev_b32_e32 v8, 2, v7
	v_sub_nc_u32_e32 v1, v1, v2
	v_xor_b32_e32 v13, 16, v10
	s_delay_alu instid0(VALU_DEP_2) | instskip(SKIP_1) | instid1(VALU_DEP_1)
	v_cmp_gt_i32_e32 vcc_lo, s8, v1
	v_cndmask_b32_e64 v2, s8, 0, vcc_lo
	v_sub_nc_u32_e32 v0, v1, v2
	s_delay_alu instid0(VALU_DEP_1) | instskip(NEXT) | instid1(VALU_DEP_1)
	v_add3_u32 v0, v3, v2, v0
	v_lshl_or_b32 v0, v0, 7, v8
	s_delay_alu instid0(VALU_DEP_1) | instskip(NEXT) | instid1(VALU_DEP_1)
	v_ashrrev_i32_e32 v1, 31, v0
	v_lshlrev_b64 v[0:1], 1, v[0:1]
	s_waitcnt lgkmcnt(0)
	s_delay_alu instid0(VALU_DEP_1) | instskip(NEXT) | instid1(VALU_DEP_1)
	v_add_co_u32 v4, s2, s2, v0
	v_add_co_ci_u32_e64 v5, s2, s3, v1, s2
	s_load_b256 s[0:7], s[0:1], 0x18
	global_load_b64 v[0:1], v[4:5], off
	s_waitcnt lgkmcnt(0)
	v_dual_mov_b32 v3, s1 :: v_dual_mov_b32 v2, s0
	v_lshlrev_b32_e32 v9, 3, v7
	s_ashr_i32 s1, s13, 31
	s_delay_alu instid0(VALU_DEP_2) | instskip(NEXT) | instid1(VALU_DEP_3)
	v_cndmask_b32_e32 v3, s3, v3, vcc_lo
	v_cndmask_b32_e32 v2, s2, v2, vcc_lo
	s_lshr_b32 s0, s1, 30
	s_delay_alu instid0(SALU_CYCLE_1) | instskip(NEXT) | instid1(VALU_DEP_1)
	s_add_i32 s0, s13, s0
	v_add_co_u32 v2, vcc_lo, v2, v9
	s_ashr_i32 s0, s0, 2
	s_waitcnt vmcnt(0)
	v_alignbit_b32 v11, v1, v0, 16
	v_and_b32_e32 v14, 0xffff0000, v1
	s_delay_alu instid0(VALU_DEP_2)
	v_and_b32_e32 v11, 0xffff0000, v11
	v_and_b32_e32 v9, 0xffff0000, v0
	v_lshlrev_b32_e32 v0, 16, v0
	v_add_co_ci_u32_e32 v3, vcc_lo, 0, v3, vcc_lo
	v_cmp_gt_i32_e32 vcc_lo, 32, v13
	global_load_b64 v[2:3], v[2:3], off
	v_mul_f32_e32 v12, v9, v9
	s_delay_alu instid0(VALU_DEP_1) | instskip(NEXT) | instid1(VALU_DEP_1)
	v_dual_cndmask_b32 v13, v10, v13 :: v_dual_fmac_f32 v12, v0, v0
	v_dual_fmac_f32 v12, v11, v11 :: v_dual_lshlrev_b32 v1, 2, v13
	v_xor_b32_e32 v13, 8, v10
	s_delay_alu instid0(VALU_DEP_2) | instskip(NEXT) | instid1(VALU_DEP_2)
	v_fmac_f32_e32 v12, v14, v14
	v_cmp_gt_i32_e32 vcc_lo, 32, v13
	ds_bpermute_b32 v1, v1, v12
	v_cndmask_b32_e32 v13, v10, v13, vcc_lo
	s_delay_alu instid0(VALU_DEP_1) | instskip(SKIP_4) | instid1(VALU_DEP_1)
	v_lshlrev_b32_e32 v13, 2, v13
	s_waitcnt lgkmcnt(0)
	v_add_f32_e32 v1, v12, v1
	ds_bpermute_b32 v12, v13, v1
	v_xor_b32_e32 v13, 4, v10
	v_cmp_gt_i32_e32 vcc_lo, 32, v13
	v_cndmask_b32_e32 v13, v10, v13, vcc_lo
	s_delay_alu instid0(VALU_DEP_1) | instskip(SKIP_4) | instid1(VALU_DEP_1)
	v_lshlrev_b32_e32 v13, 2, v13
	s_waitcnt lgkmcnt(0)
	v_add_f32_e32 v1, v1, v12
	ds_bpermute_b32 v12, v13, v1
	v_xor_b32_e32 v13, 2, v10
	v_cmp_gt_i32_e32 vcc_lo, 32, v13
	;; [unrolled: 8-line block ×3, first 2 shown]
	v_cndmask_b32_e32 v10, v10, v13, vcc_lo
	s_waitcnt lgkmcnt(0)
	s_delay_alu instid0(VALU_DEP_1) | instskip(SKIP_4) | instid1(VALU_DEP_1)
	v_dual_add_f32 v1, v1, v12 :: v_dual_lshlrev_b32 v10, 2, v10
	v_mov_b32_e32 v12, s11
	ds_bpermute_b32 v10, v10, v1
	s_waitcnt lgkmcnt(0)
	v_add_f32_e32 v1, v1, v10
	v_fmamk_f32 v1, v1, 0x3c000000, v12
	s_delay_alu instid0(VALU_DEP_1) | instskip(SKIP_1) | instid1(VALU_DEP_2)
	v_mul_f32_e32 v10, 0x4b800000, v1
	v_cmp_gt_f32_e32 vcc_lo, 0x800000, v1
	v_cndmask_b32_e32 v1, v1, v10, vcc_lo
	s_delay_alu instid0(VALU_DEP_1) | instskip(SKIP_2) | instid1(VALU_DEP_1)
	v_rsq_f32_e32 v1, v1
	s_waitcnt_depctr 0xfff
	v_mul_f32_e32 v10, 0x45800000, v1
	v_cndmask_b32_e32 v1, v1, v10, vcc_lo
	v_cmp_le_i32_e32 vcc_lo, s0, v7
	s_waitcnt vmcnt(0)
	v_and_b32_e32 v12, 0xffff0000, v2
	v_lshlrev_b32_e32 v2, 16, v2
	v_and_b32_e32 v10, 0xffff0000, v3
	s_delay_alu instid0(VALU_DEP_3) | instskip(NEXT) | instid1(VALU_DEP_3)
	v_dual_mul_f32 v12, v1, v12 :: v_dual_lshlrev_b32 v3, 16, v3
	v_mul_f32_e32 v2, v1, v2
	s_delay_alu instid0(VALU_DEP_3) | instskip(NEXT) | instid1(VALU_DEP_3)
	v_mul_f32_e32 v10, v1, v10
	v_mul_f32_e32 v13, v1, v3
	s_delay_alu instid0(VALU_DEP_3) | instskip(NEXT) | instid1(VALU_DEP_2)
	v_dual_mul_f32 v1, v12, v9 :: v_dual_mul_f32 v0, v2, v0
	v_dual_mul_f32 v3, v10, v14 :: v_dual_mul_f32 v2, v13, v11
	s_and_saveexec_b32 s0, vcc_lo
	s_delay_alu instid0(SALU_CYCLE_1)
	s_xor_b32 s0, exec_lo, s0
; %bb.2:
                                        ; implicit-def: $vgpr6
                                        ; implicit-def: $vgpr8
; %bb.3:
	s_delay_alu instid0(SALU_CYCLE_1)
	s_and_not1_saveexec_b32 s0, s0
	s_cbranch_execz .LBB122_5
; %bb.4:
	v_ashrrev_i32_e32 v7, 31, v6
	s_delay_alu instid0(VALU_DEP_1) | instskip(NEXT) | instid1(VALU_DEP_1)
	v_lshlrev_b64 v[6:7], 3, v[6:7]
	v_add_co_u32 v6, vcc_lo, s6, v6
	s_delay_alu instid0(VALU_DEP_2)
	v_add_co_ci_u32_e32 v7, vcc_lo, s7, v7, vcc_lo
	global_load_b64 v[6:7], v[6:7], off
	s_waitcnt vmcnt(0)
	v_mul_lo_u32 v7, v7, s13
	v_mul_lo_u32 v11, v6, s1
	v_mad_u64_u32 v[9:10], null, v6, s13, 0
	s_lshr_b32 s1, s13, 31
	s_delay_alu instid0(SALU_CYCLE_1) | instskip(NEXT) | instid1(SALU_CYCLE_1)
	s_add_i32 s1, s13, s1
	s_ashr_i32 s2, s1, 1
	s_delay_alu instid0(VALU_DEP_1) | instskip(SKIP_1) | instid1(SALU_CYCLE_1)
	v_add3_u32 v10, v10, v11, v7
	s_ashr_i32 s3, s2, 31
	s_lshl_b64 s[2:3], s[2:3], 1
	s_delay_alu instid0(VALU_DEP_1) | instskip(NEXT) | instid1(VALU_DEP_1)
	v_lshlrev_b64 v[6:7], 1, v[9:10]
	v_add_co_u32 v6, vcc_lo, s4, v6
	s_delay_alu instid0(VALU_DEP_2) | instskip(NEXT) | instid1(VALU_DEP_2)
	v_add_co_ci_u32_e32 v7, vcc_lo, s5, v7, vcc_lo
	v_add_co_u32 v6, vcc_lo, v6, v8
	s_delay_alu instid0(VALU_DEP_2) | instskip(NEXT) | instid1(VALU_DEP_2)
	v_add_co_ci_u32_e32 v7, vcc_lo, 0, v7, vcc_lo
	v_add_co_u32 v8, vcc_lo, v6, s2
	s_delay_alu instid0(VALU_DEP_2)
	v_add_co_ci_u32_e32 v9, vcc_lo, s3, v7, vcc_lo
	s_clause 0x1
	global_load_b32 v6, v[6:7], off
	global_load_b32 v7, v[8:9], off
	s_waitcnt vmcnt(0)
	v_and_b32_e32 v11, 0xffff0000, v7
	v_lshlrev_b32_e32 v8, 16, v6
	s_delay_alu instid0(VALU_DEP_2) | instskip(NEXT) | instid1(VALU_DEP_2)
	v_dual_mul_f32 v13, v3, v11 :: v_dual_and_b32 v12, 0xffff0000, v6
	v_dual_mul_f32 v7, v1, v8 :: v_dual_lshlrev_b32 v10, 16, v7
	s_delay_alu instid0(VALU_DEP_2) | instskip(NEXT) | instid1(VALU_DEP_2)
	v_mul_f32_e32 v9, v3, v12
	v_fmac_f32_e32 v7, v0, v10
	s_delay_alu instid0(VALU_DEP_2) | instskip(SKIP_1) | instid1(VALU_DEP_1)
	v_fmac_f32_e32 v9, v2, v11
	v_mul_f32_e32 v1, v1, v10
	v_fma_f32 v6, v0, v8, -v1
	v_fma_f32 v8, v2, v12, -v13
	s_delay_alu instid0(VALU_DEP_2) | instskip(NEXT) | instid1(VALU_DEP_2)
	v_mov_b32_e32 v0, v6
	v_dual_mov_b32 v2, v8 :: v_dual_mov_b32 v1, v7
	v_mov_b32_e32 v3, v9
.LBB122_5:
	s_or_b32 exec_lo, exec_lo, s0
	s_delay_alu instid0(VALU_DEP_3) | instskip(NEXT) | instid1(VALU_DEP_1)
	v_and_b32_e32 v6, 0x7f800000, v0
	v_cmp_ne_u32_e32 vcc_lo, 0x7f800000, v6
                                        ; implicit-def: $vgpr6
	s_and_saveexec_b32 s0, vcc_lo
	s_delay_alu instid0(SALU_CYCLE_1)
	s_xor_b32 s0, exec_lo, s0
; %bb.6:
	v_bfe_u32 v6, v0, 16, 1
	s_delay_alu instid0(VALU_DEP_1)
	v_add3_u32 v6, v0, v6, 0x7fff
; %bb.7:
	s_and_not1_saveexec_b32 s0, s0
; %bb.8:
	v_and_b32_e32 v6, 0xffff, v0
	v_or_b32_e32 v7, 0x10000, v0
	s_delay_alu instid0(VALU_DEP_2) | instskip(NEXT) | instid1(VALU_DEP_2)
	v_cmp_eq_u32_e32 vcc_lo, 0, v6
	v_cndmask_b32_e32 v6, v7, v0, vcc_lo
; %bb.9:
	s_or_b32 exec_lo, exec_lo, s0
	v_and_b32_e32 v0, 0x7f800000, v1
	s_mov_b32 s0, exec_lo
                                        ; implicit-def: $vgpr7
	s_delay_alu instid0(VALU_DEP_1)
	v_cmpx_ne_u32_e32 0x7f800000, v0
	s_xor_b32 s0, exec_lo, s0
; %bb.10:
	v_bfe_u32 v0, v1, 16, 1
	s_delay_alu instid0(VALU_DEP_1)
	v_add3_u32 v7, v1, v0, 0x7fff
; %bb.11:
	s_and_not1_saveexec_b32 s0, s0
; %bb.12:
	v_and_b32_e32 v0, 0xffff, v1
	v_or_b32_e32 v7, 0x10000, v1
	s_delay_alu instid0(VALU_DEP_2) | instskip(NEXT) | instid1(VALU_DEP_2)
	v_cmp_eq_u32_e32 vcc_lo, 0, v0
	v_cndmask_b32_e32 v7, v7, v1, vcc_lo
; %bb.13:
	s_or_b32 exec_lo, exec_lo, s0
	v_and_b32_e32 v0, 0x7f800000, v2
	s_mov_b32 s0, exec_lo
                                        ; implicit-def: $vgpr8
	s_delay_alu instid0(VALU_DEP_1)
	v_cmpx_ne_u32_e32 0x7f800000, v0
	s_xor_b32 s0, exec_lo, s0
; %bb.14:
	v_bfe_u32 v0, v2, 16, 1
	s_delay_alu instid0(VALU_DEP_1)
	v_add3_u32 v8, v2, v0, 0x7fff
; %bb.15:
	s_and_not1_saveexec_b32 s0, s0
; %bb.16:
	v_and_b32_e32 v0, 0xffff, v2
	v_or_b32_e32 v1, 0x10000, v2
	s_delay_alu instid0(VALU_DEP_2) | instskip(NEXT) | instid1(VALU_DEP_2)
	v_cmp_eq_u32_e32 vcc_lo, 0, v0
	v_cndmask_b32_e32 v8, v1, v2, vcc_lo
; %bb.17:
	s_or_b32 exec_lo, exec_lo, s0
	v_and_b32_e32 v0, 0x7f800000, v3
	s_mov_b32 s0, exec_lo
                                        ; implicit-def: $vgpr9
	s_delay_alu instid0(VALU_DEP_1)
	v_cmpx_ne_u32_e32 0x7f800000, v0
	s_xor_b32 s0, exec_lo, s0
; %bb.18:
	v_bfe_u32 v0, v3, 16, 1
	s_delay_alu instid0(VALU_DEP_1)
	v_add3_u32 v9, v3, v0, 0x7fff
                                        ; implicit-def: $vgpr0_vgpr1_vgpr2_vgpr3
; %bb.19:
	s_and_not1_saveexec_b32 s0, s0
; %bb.20:
	v_and_b32_e32 v0, 0xffff, v3
	v_or_b32_e32 v1, 0x10000, v3
	s_delay_alu instid0(VALU_DEP_2) | instskip(NEXT) | instid1(VALU_DEP_2)
	v_cmp_eq_u32_e32 vcc_lo, 0, v0
	v_cndmask_b32_e32 v9, v1, v3, vcc_lo
; %bb.21:
	s_or_b32 exec_lo, exec_lo, s0
	v_lshrrev_b32_e32 v0, 16, v8
	s_delay_alu instid0(VALU_DEP_2) | instskip(SKIP_1) | instid1(VALU_DEP_2)
	v_and_b32_e32 v1, 0xffff0000, v9
	v_lshrrev_b32_e32 v2, 16, v6
	v_or_b32_e32 v1, v1, v0
	s_delay_alu instid0(VALU_DEP_2)
	v_and_or_b32 v0, 0xffff0000, v7, v2
	global_store_b64 v[4:5], v[0:1], off
.LBB122_22:
	s_nop 0
	s_sendmsg sendmsg(MSG_DEALLOC_VGPRS)
	s_endpgm
	.section	.rodata,"a",@progbits
	.p2align	6, 0x0
	.amdhsa_kernel _ZN12tensorrt_llm7kernels21fusedQKNormRopeKernelIN3c108BFloat16ES3_Li128ELb1EEEvPviiifPKvS6_S6_PKlii
		.amdhsa_group_segment_fixed_size 0
		.amdhsa_private_segment_fixed_size 0
		.amdhsa_kernarg_size 320
		.amdhsa_user_sgpr_count 15
		.amdhsa_user_sgpr_dispatch_ptr 0
		.amdhsa_user_sgpr_queue_ptr 0
		.amdhsa_user_sgpr_kernarg_segment_ptr 1
		.amdhsa_user_sgpr_dispatch_id 0
		.amdhsa_user_sgpr_private_segment_size 0
		.amdhsa_wavefront_size32 1
		.amdhsa_uses_dynamic_stack 0
		.amdhsa_enable_private_segment 0
		.amdhsa_system_sgpr_workgroup_id_x 1
		.amdhsa_system_sgpr_workgroup_id_y 0
		.amdhsa_system_sgpr_workgroup_id_z 0
		.amdhsa_system_sgpr_workgroup_info 0
		.amdhsa_system_vgpr_workitem_id 0
		.amdhsa_next_free_vgpr 15
		.amdhsa_next_free_sgpr 16
		.amdhsa_reserve_vcc 1
		.amdhsa_float_round_mode_32 0
		.amdhsa_float_round_mode_16_64 0
		.amdhsa_float_denorm_mode_32 3
		.amdhsa_float_denorm_mode_16_64 3
		.amdhsa_dx10_clamp 1
		.amdhsa_ieee_mode 1
		.amdhsa_fp16_overflow 0
		.amdhsa_workgroup_processor_mode 1
		.amdhsa_memory_ordered 1
		.amdhsa_forward_progress 0
		.amdhsa_shared_vgpr_count 0
		.amdhsa_exception_fp_ieee_invalid_op 0
		.amdhsa_exception_fp_denorm_src 0
		.amdhsa_exception_fp_ieee_div_zero 0
		.amdhsa_exception_fp_ieee_overflow 0
		.amdhsa_exception_fp_ieee_underflow 0
		.amdhsa_exception_fp_ieee_inexact 0
		.amdhsa_exception_int_div_zero 0
	.end_amdhsa_kernel
	.section	.text._ZN12tensorrt_llm7kernels21fusedQKNormRopeKernelIN3c108BFloat16ES3_Li128ELb1EEEvPviiifPKvS6_S6_PKlii,"axG",@progbits,_ZN12tensorrt_llm7kernels21fusedQKNormRopeKernelIN3c108BFloat16ES3_Li128ELb1EEEvPviiifPKvS6_S6_PKlii,comdat
.Lfunc_end122:
	.size	_ZN12tensorrt_llm7kernels21fusedQKNormRopeKernelIN3c108BFloat16ES3_Li128ELb1EEEvPviiifPKvS6_S6_PKlii, .Lfunc_end122-_ZN12tensorrt_llm7kernels21fusedQKNormRopeKernelIN3c108BFloat16ES3_Li128ELb1EEEvPviiifPKvS6_S6_PKlii
                                        ; -- End function
	.section	.AMDGPU.csdata,"",@progbits
; Kernel info:
; codeLenInByte = 1568
; NumSgprs: 18
; NumVgprs: 15
; ScratchSize: 0
; MemoryBound: 0
; FloatMode: 240
; IeeeMode: 1
; LDSByteSize: 0 bytes/workgroup (compile time only)
; SGPRBlocks: 2
; VGPRBlocks: 1
; NumSGPRsForWavesPerEU: 18
; NumVGPRsForWavesPerEU: 15
; Occupancy: 16
; WaveLimiterHint : 1
; COMPUTE_PGM_RSRC2:SCRATCH_EN: 0
; COMPUTE_PGM_RSRC2:USER_SGPR: 15
; COMPUTE_PGM_RSRC2:TRAP_HANDLER: 0
; COMPUTE_PGM_RSRC2:TGID_X_EN: 1
; COMPUTE_PGM_RSRC2:TGID_Y_EN: 0
; COMPUTE_PGM_RSRC2:TGID_Z_EN: 0
; COMPUTE_PGM_RSRC2:TIDIG_COMP_CNT: 0
	.section	.text._ZN12tensorrt_llm7kernels21fusedQKNormRopeKernelIN3c108BFloat16ES3_Li128ELb0EEEvPviiifPKvS6_S6_PKlii,"axG",@progbits,_ZN12tensorrt_llm7kernels21fusedQKNormRopeKernelIN3c108BFloat16ES3_Li128ELb0EEEvPviiifPKvS6_S6_PKlii,comdat
	.protected	_ZN12tensorrt_llm7kernels21fusedQKNormRopeKernelIN3c108BFloat16ES3_Li128ELb0EEEvPviiifPKvS6_S6_PKlii ; -- Begin function _ZN12tensorrt_llm7kernels21fusedQKNormRopeKernelIN3c108BFloat16ES3_Li128ELb0EEEvPviiifPKvS6_S6_PKlii
	.globl	_ZN12tensorrt_llm7kernels21fusedQKNormRopeKernelIN3c108BFloat16ES3_Li128ELb0EEEvPviiifPKvS6_S6_PKlii
	.p2align	8
	.type	_ZN12tensorrt_llm7kernels21fusedQKNormRopeKernelIN3c108BFloat16ES3_Li128ELb0EEEvPviiifPKvS6_S6_PKlii,@function
_ZN12tensorrt_llm7kernels21fusedQKNormRopeKernelIN3c108BFloat16ES3_Li128ELb0EEEvPviiifPKvS6_S6_PKlii: ; @_ZN12tensorrt_llm7kernels21fusedQKNormRopeKernelIN3c108BFloat16ES3_Li128ELb0EEEvPviiifPKvS6_S6_PKlii
; %bb.0:
	s_clause 0x2
	s_load_b128 s[8:11], s[0:1], 0x8
	s_load_b64 s[12:13], s[0:1], 0x38
	s_load_b32 s4, s[0:1], 0x4c
	v_lshrrev_b32_e32 v3, 5, v0
	s_waitcnt lgkmcnt(0)
	s_add_i32 s2, s9, s8
	s_bfe_u32 s4, s4, 0xb0005
	s_abs_i32 s3, s2
	s_delay_alu instid0(SALU_CYCLE_1) | instskip(SKIP_1) | instid1(VALU_DEP_1)
	v_cvt_f32_u32_e32 v1, s3
	s_sub_i32 s5, 0, s3
	v_rcp_iflag_f32_e32 v1, v1
	s_waitcnt_depctr 0xfff
	v_mul_f32_e32 v1, 0x4f7ffffe, v1
	s_delay_alu instid0(VALU_DEP_1) | instskip(NEXT) | instid1(VALU_DEP_1)
	v_cvt_u32_f32_e32 v4, v1
	v_mul_lo_u32 v5, s5, v4
	v_mad_u64_u32 v[1:2], null, s15, s4, v[3:4]
	s_delay_alu instid0(VALU_DEP_2) | instskip(NEXT) | instid1(VALU_DEP_2)
	v_mul_hi_u32 v2, v4, v5
	v_sub_nc_u32_e32 v3, 0, v1
	s_delay_alu instid0(VALU_DEP_1) | instskip(NEXT) | instid1(VALU_DEP_3)
	v_max_i32_e32 v3, v1, v3
	v_add_nc_u32_e32 v2, v4, v2
	s_delay_alu instid0(VALU_DEP_1) | instskip(NEXT) | instid1(VALU_DEP_1)
	v_mul_hi_u32 v2, v3, v2
	v_mul_lo_u32 v4, v2, s3
	s_delay_alu instid0(VALU_DEP_1) | instskip(NEXT) | instid1(VALU_DEP_1)
	v_sub_nc_u32_e32 v3, v3, v4
	v_subrev_nc_u32_e32 v5, s3, v3
	v_cmp_le_u32_e32 vcc_lo, s3, v3
	s_delay_alu instid0(VALU_DEP_2) | instskip(NEXT) | instid1(VALU_DEP_1)
	v_dual_cndmask_b32 v3, v3, v5 :: v_dual_add_nc_u32 v4, 1, v2
	v_cndmask_b32_e32 v2, v2, v4, vcc_lo
	v_xor_b32_e32 v4, s2, v1
	s_delay_alu instid0(VALU_DEP_3) | instskip(NEXT) | instid1(VALU_DEP_3)
	v_cmp_le_u32_e32 vcc_lo, s3, v3
	v_add_nc_u32_e32 v5, 1, v2
	s_delay_alu instid0(VALU_DEP_3) | instskip(SKIP_1) | instid1(VALU_DEP_2)
	v_ashrrev_i32_e32 v4, 31, v4
	s_mov_b32 s3, exec_lo
	v_cndmask_b32_e32 v2, v2, v5, vcc_lo
	s_delay_alu instid0(VALU_DEP_1) | instskip(NEXT) | instid1(VALU_DEP_1)
	v_xor_b32_e32 v2, v2, v4
	v_sub_nc_u32_e32 v6, v2, v4
	s_delay_alu instid0(VALU_DEP_1)
	v_cmpx_gt_i32_e64 s12, v6
	s_cbranch_execz .LBB123_20
; %bb.1:
	v_mul_lo_u32 v2, v6, s2
	s_add_i32 s2, s2, s10
	v_and_b32_e32 v8, 31, v0
	v_mul_lo_u32 v3, v6, s2
	s_load_b64 s[2:3], s[0:1], 0x0
	v_mbcnt_lo_u32_b32 v9, -1, 0
	s_delay_alu instid0(VALU_DEP_4) | instskip(NEXT) | instid1(VALU_DEP_2)
	v_sub_nc_u32_e32 v1, v1, v2
	v_xor_b32_e32 v13, 16, v9
	s_delay_alu instid0(VALU_DEP_2) | instskip(SKIP_1) | instid1(VALU_DEP_1)
	v_cmp_gt_i32_e32 vcc_lo, s8, v1
	v_cndmask_b32_e64 v2, s8, 0, vcc_lo
	v_sub_nc_u32_e32 v0, v1, v2
	v_lshlrev_b32_e32 v1, 2, v8
	s_delay_alu instid0(VALU_DEP_2) | instskip(NEXT) | instid1(VALU_DEP_1)
	v_add3_u32 v0, v3, v2, v0
	v_lshl_or_b32 v0, v0, 7, v1
	s_delay_alu instid0(VALU_DEP_1) | instskip(NEXT) | instid1(VALU_DEP_1)
	v_ashrrev_i32_e32 v1, 31, v0
	v_lshlrev_b64 v[0:1], 1, v[0:1]
	s_waitcnt lgkmcnt(0)
	s_delay_alu instid0(VALU_DEP_1) | instskip(NEXT) | instid1(VALU_DEP_1)
	v_add_co_u32 v4, s2, s2, v0
	v_add_co_ci_u32_e64 v5, s2, s3, v1, s2
	s_load_b256 s[0:7], s[0:1], 0x18
	global_load_b64 v[0:1], v[4:5], off
	s_waitcnt lgkmcnt(0)
	v_dual_mov_b32 v2, s0 :: v_dual_mov_b32 v3, s1
	v_lshlrev_b32_e32 v10, 3, v8
	s_ashr_i32 s1, s13, 31
	s_delay_alu instid0(VALU_DEP_2) | instskip(NEXT) | instid1(VALU_DEP_3)
	v_cndmask_b32_e32 v2, s2, v2, vcc_lo
	v_cndmask_b32_e32 v3, s3, v3, vcc_lo
	s_lshr_b32 s0, s1, 30
	s_delay_alu instid0(SALU_CYCLE_1) | instskip(NEXT) | instid1(SALU_CYCLE_1)
	s_add_i32 s0, s13, s0
	s_ashr_i32 s0, s0, 2
	s_waitcnt vmcnt(0)
	v_lshlrev_b32_e32 v11, 16, v0
	v_add_co_u32 v2, vcc_lo, v2, v10
	v_add_co_ci_u32_e32 v3, vcc_lo, 0, v3, vcc_lo
	v_and_b32_e32 v7, 0xffff0000, v0
	v_alignbit_b32 v0, v1, v0, 16
	v_cmp_gt_i32_e32 vcc_lo, 32, v13
	global_load_b64 v[2:3], v[2:3], off
	v_mul_f32_e32 v12, v7, v7
	v_and_b32_e32 v14, 0xffff0000, v0
	v_cndmask_b32_e32 v0, v9, v13, vcc_lo
	v_and_b32_e32 v13, 0xffff0000, v1
	v_xor_b32_e32 v1, 8, v9
	v_fmac_f32_e32 v12, v11, v11
	s_delay_alu instid0(VALU_DEP_4) | instskip(NEXT) | instid1(VALU_DEP_3)
	v_lshlrev_b32_e32 v0, 2, v0
	v_cmp_gt_i32_e32 vcc_lo, 32, v1
	s_delay_alu instid0(VALU_DEP_3) | instskip(NEXT) | instid1(VALU_DEP_1)
	v_dual_cndmask_b32 v1, v9, v1 :: v_dual_fmac_f32 v12, v14, v14
	v_lshlrev_b32_e32 v1, 2, v1
	s_delay_alu instid0(VALU_DEP_2)
	v_fmac_f32_e32 v12, v13, v13
	ds_bpermute_b32 v0, v0, v12
	s_waitcnt lgkmcnt(0)
	v_add_f32_e32 v0, v12, v0
	v_xor_b32_e32 v12, 4, v9
	ds_bpermute_b32 v1, v1, v0
	v_cmp_gt_i32_e32 vcc_lo, 32, v12
	v_cndmask_b32_e32 v12, v9, v12, vcc_lo
	s_delay_alu instid0(VALU_DEP_1) | instskip(SKIP_4) | instid1(VALU_DEP_1)
	v_lshlrev_b32_e32 v12, 2, v12
	s_waitcnt lgkmcnt(0)
	v_add_f32_e32 v0, v0, v1
	ds_bpermute_b32 v1, v12, v0
	v_xor_b32_e32 v12, 2, v9
	v_cmp_gt_i32_e32 vcc_lo, 32, v12
	v_cndmask_b32_e32 v12, v9, v12, vcc_lo
	s_delay_alu instid0(VALU_DEP_1) | instskip(SKIP_4) | instid1(VALU_DEP_1)
	v_lshlrev_b32_e32 v12, 2, v12
	s_waitcnt lgkmcnt(0)
	v_add_f32_e32 v0, v0, v1
	ds_bpermute_b32 v1, v12, v0
	v_xor_b32_e32 v12, 1, v9
	v_cmp_gt_i32_e32 vcc_lo, 32, v12
	v_cndmask_b32_e32 v12, v9, v12, vcc_lo
	s_delay_alu instid0(VALU_DEP_1)
	v_lshlrev_b32_e32 v12, 2, v12
	s_waitcnt lgkmcnt(0)
	v_add_f32_e32 v0, v0, v1
	ds_bpermute_b32 v1, v12, v0
	v_mov_b32_e32 v12, s11
	s_waitcnt lgkmcnt(0)
	v_add_f32_e32 v0, v0, v1
	s_delay_alu instid0(VALU_DEP_1) | instskip(NEXT) | instid1(VALU_DEP_1)
	v_fmamk_f32 v0, v0, 0x3c000000, v12
	v_mul_f32_e32 v1, 0x4b800000, v0
	v_cmp_gt_f32_e32 vcc_lo, 0x800000, v0
	s_delay_alu instid0(VALU_DEP_2) | instskip(NEXT) | instid1(VALU_DEP_1)
	v_cndmask_b32_e32 v0, v0, v1, vcc_lo
	v_rsq_f32_e32 v0, v0
	s_waitcnt_depctr 0xfff
	v_mul_f32_e32 v1, 0x45800000, v0
	s_delay_alu instid0(VALU_DEP_1)
	v_cndmask_b32_e32 v0, v0, v1, vcc_lo
	v_cmp_gt_i32_e32 vcc_lo, s0, v8
	s_waitcnt vmcnt(0)
	v_lshlrev_b32_e32 v12, 16, v2
	v_and_b32_e32 v1, 0xffff0000, v2
	v_lshlrev_b32_e32 v2, 16, v3
	s_delay_alu instid0(VALU_DEP_3) | instskip(NEXT) | instid1(VALU_DEP_3)
	v_dual_mul_f32 v12, v0, v12 :: v_dual_and_b32 v3, 0xffff0000, v3
	v_mul_f32_e32 v1, v0, v1
	s_delay_alu instid0(VALU_DEP_3) | instskip(NEXT) | instid1(VALU_DEP_3)
	v_mul_f32_e32 v2, v0, v2
	v_mul_f32_e32 v3, v0, v3
	s_delay_alu instid0(VALU_DEP_4) | instskip(NEXT) | instid1(VALU_DEP_3)
	v_mul_f32_e32 v0, v12, v11
	v_dual_mul_f32 v1, v1, v7 :: v_dual_mul_f32 v2, v2, v14
	s_delay_alu instid0(VALU_DEP_3)
	v_mul_f32_e32 v3, v3, v13
	s_and_saveexec_b32 s0, vcc_lo
	s_cbranch_execz .LBB123_3
; %bb.2:
	v_ashrrev_i32_e32 v7, 31, v6
	v_or_b32_e32 v13, 4, v10
	v_or_b32_e32 v14, 6, v10
	s_delay_alu instid0(VALU_DEP_3) | instskip(NEXT) | instid1(VALU_DEP_1)
	v_lshlrev_b64 v[6:7], 3, v[6:7]
	v_add_co_u32 v6, vcc_lo, s6, v6
	s_delay_alu instid0(VALU_DEP_2) | instskip(SKIP_1) | instid1(SALU_CYCLE_1)
	v_add_co_ci_u32_e32 v7, vcc_lo, s7, v7, vcc_lo
	s_abs_i32 s6, s13
	v_cvt_f32_u32_e32 v11, s6
	global_load_b64 v[6:7], v[6:7], off
	s_sub_i32 s2, 0, s6
	; wave barrier
	v_rcp_iflag_f32_e32 v11, v11
	s_waitcnt_depctr 0xfff
	v_mul_f32_e32 v11, 0x4f7ffffe, v11
	s_delay_alu instid0(VALU_DEP_1) | instskip(NEXT) | instid1(VALU_DEP_1)
	v_cvt_u32_f32_e32 v11, v11
	v_mul_lo_u32 v12, s2, v11
	s_lshr_b32 s2, s13, 31
	s_delay_alu instid0(SALU_CYCLE_1) | instskip(NEXT) | instid1(SALU_CYCLE_1)
	s_add_i32 s2, s13, s2
	s_ashr_i32 s2, s2, 1
	s_delay_alu instid0(SALU_CYCLE_1) | instskip(NEXT) | instid1(VALU_DEP_1)
	s_ashr_i32 s3, s2, 31
	v_mul_hi_u32 v12, v11, v12
	s_lshl_b64 s[2:3], s[2:3], 1
	s_delay_alu instid0(VALU_DEP_1) | instskip(SKIP_1) | instid1(VALU_DEP_2)
	v_add_nc_u32_e32 v11, v11, v12
	v_or_b32_e32 v12, 2, v10
	v_mul_hi_u32 v15, v10, v11
	s_delay_alu instid0(VALU_DEP_2) | instskip(SKIP_2) | instid1(VALU_DEP_4)
	v_mul_hi_u32 v16, v12, v11
	v_mul_hi_u32 v17, v13, v11
	;; [unrolled: 1-line block ×3, first 2 shown]
	v_mul_lo_u32 v15, v15, s6
	s_delay_alu instid0(VALU_DEP_4) | instskip(NEXT) | instid1(VALU_DEP_4)
	v_mul_lo_u32 v16, v16, s6
	v_mul_lo_u32 v17, v17, s6
	s_delay_alu instid0(VALU_DEP_4) | instskip(NEXT) | instid1(VALU_DEP_4)
	v_mul_lo_u32 v11, v11, s6
	v_sub_nc_u32_e32 v10, v10, v15
	s_delay_alu instid0(VALU_DEP_4) | instskip(NEXT) | instid1(VALU_DEP_4)
	v_sub_nc_u32_e32 v12, v12, v16
	v_sub_nc_u32_e32 v13, v13, v17
	s_delay_alu instid0(VALU_DEP_4) | instskip(NEXT) | instid1(VALU_DEP_4)
	v_sub_nc_u32_e32 v11, v14, v11
	v_subrev_nc_u32_e32 v14, s6, v10
	v_cmp_le_u32_e32 vcc_lo, s6, v10
	v_subrev_nc_u32_e32 v15, s6, v12
	v_subrev_nc_u32_e32 v16, s6, v13
	;; [unrolled: 1-line block ×3, first 2 shown]
	v_cndmask_b32_e32 v14, v10, v14, vcc_lo
	v_cmp_le_u32_e32 vcc_lo, s6, v12
	v_cndmask_b32_e32 v12, v12, v15, vcc_lo
	v_cmp_le_u32_e32 vcc_lo, s6, v13
	;; [unrolled: 2-line block ×4, first 2 shown]
	v_subrev_nc_u32_e32 v17, s6, v12
	s_waitcnt vmcnt(0)
	v_mul_lo_u32 v16, v6, s1
	v_mad_u64_u32 v[10:11], null, v6, s13, 0
	v_subrev_nc_u32_e32 v6, s6, v14
	v_mul_lo_u32 v7, v7, s13
	s_lshr_b32 s1, s1, 29
	s_delay_alu instid0(SALU_CYCLE_1) | instskip(NEXT) | instid1(VALU_DEP_2)
	s_add_i32 s1, s13, s1
	v_cndmask_b32_e32 v14, v14, v6, vcc_lo
	v_cmp_le_u32_e32 vcc_lo, s6, v12
	v_subrev_nc_u32_e32 v18, s6, v13
	s_ashr_i32 s1, s1, 3
	s_delay_alu instid0(VALU_DEP_4)
	v_add3_u32 v11, v11, v16, v7
	v_and_b32_e32 v16, -2, v14
	v_cndmask_b32_e32 v12, v12, v17, vcc_lo
	v_cmp_le_u32_e32 vcc_lo, s6, v13
	v_subrev_nc_u32_e32 v19, s6, v15
	v_lshlrev_b64 v[6:7], 1, v[10:11]
	v_cndmask_b32_e32 v13, v13, v18, vcc_lo
	v_cmp_le_u32_e32 vcc_lo, s6, v15
	v_and_b32_e32 v18, -2, v12
	s_delay_alu instid0(VALU_DEP_3) | instskip(SKIP_3) | instid1(VALU_DEP_3)
	v_and_b32_e32 v20, -2, v13
	v_cndmask_b32_e32 v10, v15, v19, vcc_lo
	v_add_co_u32 v14, vcc_lo, s4, v6
	v_add_co_ci_u32_e32 v15, vcc_lo, s5, v7, vcc_lo
	v_and_b32_e32 v22, -2, v10
	s_delay_alu instid0(VALU_DEP_3) | instskip(NEXT) | instid1(VALU_DEP_3)
	v_add_co_u32 v23, vcc_lo, v14, s2
	v_add_co_ci_u32_e32 v24, vcc_lo, s3, v15, vcc_lo
	v_add_co_u32 v6, vcc_lo, v14, v16
	v_add_co_ci_u32_e32 v7, vcc_lo, 0, v15, vcc_lo
	;; [unrolled: 2-line block ×9, first 2 shown]
	s_clause 0x7
	global_load_u16 v6, v[6:7], off
	global_load_u16 v7, v[16:17], off
	;; [unrolled: 1-line block ×8, first 2 shown]
	v_xor_b32_e32 v15, s1, v9
	; wave barrier
	s_delay_alu instid0(VALU_DEP_1) | instskip(SKIP_2) | instid1(VALU_DEP_2)
	v_cmp_gt_i32_e32 vcc_lo, 32, v15
	v_cndmask_b32_e32 v9, v9, v15, vcc_lo
	v_cmp_gt_i32_e32 vcc_lo, s1, v8
	v_lshlrev_b32_e32 v9, 2, v9
	ds_bpermute_b32 v15, v9, v0
	ds_bpermute_b32 v17, v9, v1
	;; [unrolled: 1-line block ×4, first 2 shown]
	s_waitcnt lgkmcnt(3)
	v_cndmask_b32_e64 v8, v15, -v15, vcc_lo
	s_waitcnt lgkmcnt(2)
	v_cndmask_b32_e64 v15, v17, -v17, vcc_lo
	;; [unrolled: 2-line block ×4, first 2 shown]
	s_waitcnt vmcnt(7)
	v_lshlrev_b32_e32 v18, 16, v6
	s_waitcnt vmcnt(5)
	v_lshlrev_b32_e32 v10, 16, v10
	v_lshlrev_b32_e32 v6, 16, v7
	s_waitcnt vmcnt(4)
	v_lshlrev_b32_e32 v7, 16, v11
	s_waitcnt vmcnt(0)
	s_delay_alu instid0(VALU_DEP_1) | instskip(NEXT) | instid1(VALU_DEP_1)
	v_dual_mul_f32 v7, v15, v7 :: v_dual_lshlrev_b32 v14, 16, v14
	v_fmac_f32_e32 v7, v1, v10
	v_dual_mul_f32 v6, v8, v6 :: v_dual_lshlrev_b32 v11, 16, v12
	v_lshlrev_b32_e32 v12, 16, v13
	s_delay_alu instid0(VALU_DEP_2) | instskip(NEXT) | instid1(VALU_DEP_1)
	v_dual_fmac_f32 v6, v0, v18 :: v_dual_lshlrev_b32 v13, 16, v16
	v_mul_f32_e32 v9, v9, v13
	s_delay_alu instid0(VALU_DEP_1) | instskip(NEXT) | instid1(VALU_DEP_1)
	v_dual_fmac_f32 v9, v3, v14 :: v_dual_mul_f32 v8, v17, v12
	v_fmac_f32_e32 v8, v2, v11
	s_delay_alu instid0(VALU_DEP_4) | instskip(NEXT) | instid1(VALU_DEP_2)
	v_dual_mov_b32 v0, v6 :: v_dual_mov_b32 v1, v7
	v_dual_mov_b32 v3, v9 :: v_dual_mov_b32 v2, v8
.LBB123_3:
	s_or_b32 exec_lo, exec_lo, s0
	s_delay_alu instid0(VALU_DEP_2) | instskip(NEXT) | instid1(VALU_DEP_1)
	v_and_b32_e32 v6, 0x7f800000, v0
	v_cmp_ne_u32_e32 vcc_lo, 0x7f800000, v6
                                        ; implicit-def: $vgpr6
	s_and_saveexec_b32 s0, vcc_lo
	s_delay_alu instid0(SALU_CYCLE_1)
	s_xor_b32 s0, exec_lo, s0
; %bb.4:
	v_bfe_u32 v6, v0, 16, 1
	s_delay_alu instid0(VALU_DEP_1)
	v_add3_u32 v6, v0, v6, 0x7fff
; %bb.5:
	s_and_not1_saveexec_b32 s0, s0
; %bb.6:
	v_and_b32_e32 v6, 0xffff, v0
	v_or_b32_e32 v7, 0x10000, v0
	s_delay_alu instid0(VALU_DEP_2) | instskip(NEXT) | instid1(VALU_DEP_2)
	v_cmp_eq_u32_e32 vcc_lo, 0, v6
	v_cndmask_b32_e32 v6, v7, v0, vcc_lo
; %bb.7:
	s_or_b32 exec_lo, exec_lo, s0
	v_and_b32_e32 v0, 0x7f800000, v1
	s_mov_b32 s0, exec_lo
                                        ; implicit-def: $vgpr7
	s_delay_alu instid0(VALU_DEP_1)
	v_cmpx_ne_u32_e32 0x7f800000, v0
	s_xor_b32 s0, exec_lo, s0
; %bb.8:
	v_bfe_u32 v0, v1, 16, 1
	s_delay_alu instid0(VALU_DEP_1)
	v_add3_u32 v7, v1, v0, 0x7fff
; %bb.9:
	s_and_not1_saveexec_b32 s0, s0
; %bb.10:
	v_and_b32_e32 v0, 0xffff, v1
	v_or_b32_e32 v7, 0x10000, v1
	s_delay_alu instid0(VALU_DEP_2) | instskip(NEXT) | instid1(VALU_DEP_2)
	v_cmp_eq_u32_e32 vcc_lo, 0, v0
	v_cndmask_b32_e32 v7, v7, v1, vcc_lo
; %bb.11:
	s_or_b32 exec_lo, exec_lo, s0
	v_and_b32_e32 v0, 0x7f800000, v2
	s_mov_b32 s0, exec_lo
                                        ; implicit-def: $vgpr8
	s_delay_alu instid0(VALU_DEP_1)
	v_cmpx_ne_u32_e32 0x7f800000, v0
	s_xor_b32 s0, exec_lo, s0
; %bb.12:
	v_bfe_u32 v0, v2, 16, 1
	s_delay_alu instid0(VALU_DEP_1)
	v_add3_u32 v8, v2, v0, 0x7fff
; %bb.13:
	s_and_not1_saveexec_b32 s0, s0
; %bb.14:
	v_and_b32_e32 v0, 0xffff, v2
	v_or_b32_e32 v1, 0x10000, v2
	s_delay_alu instid0(VALU_DEP_2) | instskip(NEXT) | instid1(VALU_DEP_2)
	v_cmp_eq_u32_e32 vcc_lo, 0, v0
	v_cndmask_b32_e32 v8, v1, v2, vcc_lo
; %bb.15:
	s_or_b32 exec_lo, exec_lo, s0
	v_and_b32_e32 v0, 0x7f800000, v3
	s_mov_b32 s0, exec_lo
                                        ; implicit-def: $vgpr9
	s_delay_alu instid0(VALU_DEP_1)
	v_cmpx_ne_u32_e32 0x7f800000, v0
	s_xor_b32 s0, exec_lo, s0
; %bb.16:
	v_bfe_u32 v0, v3, 16, 1
	s_delay_alu instid0(VALU_DEP_1)
	v_add3_u32 v9, v3, v0, 0x7fff
                                        ; implicit-def: $vgpr0_vgpr1_vgpr2_vgpr3
; %bb.17:
	s_and_not1_saveexec_b32 s0, s0
; %bb.18:
	v_and_b32_e32 v0, 0xffff, v3
	v_or_b32_e32 v1, 0x10000, v3
	s_delay_alu instid0(VALU_DEP_2) | instskip(NEXT) | instid1(VALU_DEP_2)
	v_cmp_eq_u32_e32 vcc_lo, 0, v0
	v_cndmask_b32_e32 v9, v1, v3, vcc_lo
; %bb.19:
	s_or_b32 exec_lo, exec_lo, s0
	v_lshrrev_b32_e32 v0, 16, v8
	s_delay_alu instid0(VALU_DEP_2) | instskip(SKIP_1) | instid1(VALU_DEP_2)
	v_and_b32_e32 v1, 0xffff0000, v9
	v_lshrrev_b32_e32 v2, 16, v6
	v_or_b32_e32 v1, v1, v0
	s_delay_alu instid0(VALU_DEP_2)
	v_and_or_b32 v0, 0xffff0000, v7, v2
	global_store_b64 v[4:5], v[0:1], off
.LBB123_20:
	s_nop 0
	s_sendmsg sendmsg(MSG_DEALLOC_VGPRS)
	s_endpgm
	.section	.rodata,"a",@progbits
	.p2align	6, 0x0
	.amdhsa_kernel _ZN12tensorrt_llm7kernels21fusedQKNormRopeKernelIN3c108BFloat16ES3_Li128ELb0EEEvPviiifPKvS6_S6_PKlii
		.amdhsa_group_segment_fixed_size 0
		.amdhsa_private_segment_fixed_size 0
		.amdhsa_kernarg_size 320
		.amdhsa_user_sgpr_count 15
		.amdhsa_user_sgpr_dispatch_ptr 0
		.amdhsa_user_sgpr_queue_ptr 0
		.amdhsa_user_sgpr_kernarg_segment_ptr 1
		.amdhsa_user_sgpr_dispatch_id 0
		.amdhsa_user_sgpr_private_segment_size 0
		.amdhsa_wavefront_size32 1
		.amdhsa_uses_dynamic_stack 0
		.amdhsa_enable_private_segment 0
		.amdhsa_system_sgpr_workgroup_id_x 1
		.amdhsa_system_sgpr_workgroup_id_y 0
		.amdhsa_system_sgpr_workgroup_id_z 0
		.amdhsa_system_sgpr_workgroup_info 0
		.amdhsa_system_vgpr_workitem_id 0
		.amdhsa_next_free_vgpr 25
		.amdhsa_next_free_sgpr 16
		.amdhsa_reserve_vcc 1
		.amdhsa_float_round_mode_32 0
		.amdhsa_float_round_mode_16_64 0
		.amdhsa_float_denorm_mode_32 3
		.amdhsa_float_denorm_mode_16_64 3
		.amdhsa_dx10_clamp 1
		.amdhsa_ieee_mode 1
		.amdhsa_fp16_overflow 0
		.amdhsa_workgroup_processor_mode 1
		.amdhsa_memory_ordered 1
		.amdhsa_forward_progress 0
		.amdhsa_shared_vgpr_count 0
		.amdhsa_exception_fp_ieee_invalid_op 0
		.amdhsa_exception_fp_denorm_src 0
		.amdhsa_exception_fp_ieee_div_zero 0
		.amdhsa_exception_fp_ieee_overflow 0
		.amdhsa_exception_fp_ieee_underflow 0
		.amdhsa_exception_fp_ieee_inexact 0
		.amdhsa_exception_int_div_zero 0
	.end_amdhsa_kernel
	.section	.text._ZN12tensorrt_llm7kernels21fusedQKNormRopeKernelIN3c108BFloat16ES3_Li128ELb0EEEvPviiifPKvS6_S6_PKlii,"axG",@progbits,_ZN12tensorrt_llm7kernels21fusedQKNormRopeKernelIN3c108BFloat16ES3_Li128ELb0EEEvPviiifPKvS6_S6_PKlii,comdat
.Lfunc_end123:
	.size	_ZN12tensorrt_llm7kernels21fusedQKNormRopeKernelIN3c108BFloat16ES3_Li128ELb0EEEvPviiifPKvS6_S6_PKlii, .Lfunc_end123-_ZN12tensorrt_llm7kernels21fusedQKNormRopeKernelIN3c108BFloat16ES3_Li128ELb0EEEvPviiifPKvS6_S6_PKlii
                                        ; -- End function
	.section	.AMDGPU.csdata,"",@progbits
; Kernel info:
; codeLenInByte = 2100
; NumSgprs: 18
; NumVgprs: 25
; ScratchSize: 0
; MemoryBound: 0
; FloatMode: 240
; IeeeMode: 1
; LDSByteSize: 0 bytes/workgroup (compile time only)
; SGPRBlocks: 2
; VGPRBlocks: 3
; NumSGPRsForWavesPerEU: 18
; NumVGPRsForWavesPerEU: 25
; Occupancy: 16
; WaveLimiterHint : 1
; COMPUTE_PGM_RSRC2:SCRATCH_EN: 0
; COMPUTE_PGM_RSRC2:USER_SGPR: 15
; COMPUTE_PGM_RSRC2:TRAP_HANDLER: 0
; COMPUTE_PGM_RSRC2:TGID_X_EN: 1
; COMPUTE_PGM_RSRC2:TGID_Y_EN: 0
; COMPUTE_PGM_RSRC2:TGID_Z_EN: 0
; COMPUTE_PGM_RSRC2:TIDIG_COMP_CNT: 0
	.section	.text._ZN12tensorrt_llm7kernels21fusedQKNormRopeKernelIN3c108BFloat16ES3_Li256ELb1EEEvPviiifPKvS6_S6_PKlii,"axG",@progbits,_ZN12tensorrt_llm7kernels21fusedQKNormRopeKernelIN3c108BFloat16ES3_Li256ELb1EEEvPviiifPKvS6_S6_PKlii,comdat
	.protected	_ZN12tensorrt_llm7kernels21fusedQKNormRopeKernelIN3c108BFloat16ES3_Li256ELb1EEEvPviiifPKvS6_S6_PKlii ; -- Begin function _ZN12tensorrt_llm7kernels21fusedQKNormRopeKernelIN3c108BFloat16ES3_Li256ELb1EEEvPviiifPKvS6_S6_PKlii
	.globl	_ZN12tensorrt_llm7kernels21fusedQKNormRopeKernelIN3c108BFloat16ES3_Li256ELb1EEEvPviiifPKvS6_S6_PKlii
	.p2align	8
	.type	_ZN12tensorrt_llm7kernels21fusedQKNormRopeKernelIN3c108BFloat16ES3_Li256ELb1EEEvPviiifPKvS6_S6_PKlii,@function
_ZN12tensorrt_llm7kernels21fusedQKNormRopeKernelIN3c108BFloat16ES3_Li256ELb1EEEvPviiifPKvS6_S6_PKlii: ; @_ZN12tensorrt_llm7kernels21fusedQKNormRopeKernelIN3c108BFloat16ES3_Li256ELb1EEEvPviiifPKvS6_S6_PKlii
; %bb.0:
	s_clause 0x2
	s_load_b128 s[8:11], s[0:1], 0x8
	s_load_b64 s[12:13], s[0:1], 0x38
	s_load_b32 s4, s[0:1], 0x4c
	v_lshrrev_b32_e32 v3, 5, v0
	s_waitcnt lgkmcnt(0)
	s_add_i32 s2, s9, s8
	s_bfe_u32 s4, s4, 0xb0005
	s_abs_i32 s3, s2
	s_delay_alu instid0(SALU_CYCLE_1) | instskip(SKIP_1) | instid1(VALU_DEP_1)
	v_cvt_f32_u32_e32 v1, s3
	s_sub_i32 s5, 0, s3
	v_rcp_iflag_f32_e32 v1, v1
	s_waitcnt_depctr 0xfff
	v_mul_f32_e32 v1, 0x4f7ffffe, v1
	s_delay_alu instid0(VALU_DEP_1) | instskip(NEXT) | instid1(VALU_DEP_1)
	v_cvt_u32_f32_e32 v4, v1
	v_mul_lo_u32 v5, s5, v4
	v_mad_u64_u32 v[1:2], null, s15, s4, v[3:4]
	s_delay_alu instid0(VALU_DEP_2) | instskip(NEXT) | instid1(VALU_DEP_2)
	v_mul_hi_u32 v2, v4, v5
	v_sub_nc_u32_e32 v3, 0, v1
	s_delay_alu instid0(VALU_DEP_1) | instskip(NEXT) | instid1(VALU_DEP_3)
	v_max_i32_e32 v3, v1, v3
	v_add_nc_u32_e32 v2, v4, v2
	s_delay_alu instid0(VALU_DEP_1) | instskip(NEXT) | instid1(VALU_DEP_1)
	v_mul_hi_u32 v2, v3, v2
	v_mul_lo_u32 v4, v2, s3
	s_delay_alu instid0(VALU_DEP_1) | instskip(NEXT) | instid1(VALU_DEP_1)
	v_sub_nc_u32_e32 v3, v3, v4
	v_subrev_nc_u32_e32 v5, s3, v3
	v_cmp_le_u32_e32 vcc_lo, s3, v3
	s_delay_alu instid0(VALU_DEP_2) | instskip(NEXT) | instid1(VALU_DEP_1)
	v_dual_cndmask_b32 v3, v3, v5 :: v_dual_add_nc_u32 v4, 1, v2
	v_cndmask_b32_e32 v2, v2, v4, vcc_lo
	v_xor_b32_e32 v4, s2, v1
	s_delay_alu instid0(VALU_DEP_3) | instskip(NEXT) | instid1(VALU_DEP_3)
	v_cmp_le_u32_e32 vcc_lo, s3, v3
	v_add_nc_u32_e32 v5, 1, v2
	s_delay_alu instid0(VALU_DEP_3) | instskip(SKIP_1) | instid1(VALU_DEP_2)
	v_ashrrev_i32_e32 v4, 31, v4
	s_mov_b32 s3, exec_lo
	v_cndmask_b32_e32 v2, v2, v5, vcc_lo
	s_delay_alu instid0(VALU_DEP_1) | instskip(NEXT) | instid1(VALU_DEP_1)
	v_xor_b32_e32 v2, v2, v4
	v_sub_nc_u32_e32 v2, v2, v4
	s_delay_alu instid0(VALU_DEP_1)
	v_cmpx_gt_i32_e64 s12, v2
	s_cbranch_execz .LBB124_36
; %bb.1:
	v_mul_lo_u32 v3, v2, s2
	s_add_i32 s2, s2, s10
	v_and_b32_e32 v14, 31, v0
	v_mul_lo_u32 v4, v2, s2
	s_load_b64 s[2:3], s[0:1], 0x0
	v_mbcnt_lo_u32_b32 v17, -1, 0
	s_delay_alu instid0(VALU_DEP_3) | instskip(SKIP_1) | instid1(VALU_DEP_3)
	v_lshlrev_b32_e32 v9, 3, v14
	v_sub_nc_u32_e32 v1, v1, v3
	v_xor_b32_e32 v18, 16, v17
	s_delay_alu instid0(VALU_DEP_2) | instskip(SKIP_1) | instid1(VALU_DEP_1)
	v_cmp_gt_i32_e32 vcc_lo, s8, v1
	v_cndmask_b32_e64 v3, s8, 0, vcc_lo
	v_sub_nc_u32_e32 v0, v1, v3
	s_delay_alu instid0(VALU_DEP_1) | instskip(NEXT) | instid1(VALU_DEP_1)
	v_add3_u32 v0, v4, v3, v0
	v_lshl_or_b32 v0, v0, 8, v9
	s_delay_alu instid0(VALU_DEP_1) | instskip(NEXT) | instid1(VALU_DEP_1)
	v_ashrrev_i32_e32 v1, 31, v0
	v_lshlrev_b64 v[0:1], 1, v[0:1]
	s_waitcnt lgkmcnt(0)
	s_delay_alu instid0(VALU_DEP_1) | instskip(NEXT) | instid1(VALU_DEP_1)
	v_add_co_u32 v0, s2, s2, v0
	v_add_co_ci_u32_e64 v1, s2, s3, v1, s2
	s_load_b256 s[0:7], s[0:1], 0x18
	global_load_b128 v[3:6], v[0:1], off
	s_waitcnt lgkmcnt(0)
	v_dual_mov_b32 v8, s1 :: v_dual_mov_b32 v7, s0
	v_lshlrev_b32_e32 v10, 4, v14
	s_ashr_i32 s1, s13, 31
	s_delay_alu instid0(VALU_DEP_2) | instskip(NEXT) | instid1(VALU_DEP_3)
	v_cndmask_b32_e32 v8, s3, v8, vcc_lo
	v_cndmask_b32_e32 v7, s2, v7, vcc_lo
	s_lshr_b32 s0, s1, 29
	s_delay_alu instid0(SALU_CYCLE_1) | instskip(NEXT) | instid1(VALU_DEP_1)
	s_add_i32 s0, s13, s0
	v_add_co_u32 v7, vcc_lo, v7, v10
	v_add_co_ci_u32_e32 v8, vcc_lo, 0, v8, vcc_lo
	v_cmp_gt_i32_e32 vcc_lo, 32, v18
	s_ashr_i32 s0, s0, 3
	global_load_b128 v[10:13], v[7:8], off
	s_waitcnt vmcnt(1)
	v_dual_cndmask_b32 v18, v17, v18 :: v_dual_lshlrev_b32 v15, 16, v4
	v_and_b32_e32 v4, 0xffff0000, v4
	v_and_b32_e32 v7, 0xffff0000, v3
	v_lshlrev_b32_e32 v3, 16, v3
	v_lshlrev_b32_e32 v16, 16, v5
	v_and_b32_e32 v5, 0xffff0000, v5
	v_and_b32_e32 v20, 0xffff0000, v6
	v_dual_mul_f32 v8, v7, v7 :: v_dual_lshlrev_b32 v19, 16, v6
	s_delay_alu instid0(VALU_DEP_1) | instskip(NEXT) | instid1(VALU_DEP_1)
	v_fmac_f32_e32 v8, v3, v3
	v_fmac_f32_e32 v8, v15, v15
	s_delay_alu instid0(VALU_DEP_1) | instskip(SKIP_2) | instid1(VALU_DEP_3)
	v_fmac_f32_e32 v8, v4, v4
	v_lshlrev_b32_e32 v6, 2, v18
	v_xor_b32_e32 v18, 8, v17
	v_fmac_f32_e32 v8, v16, v16
	s_delay_alu instid0(VALU_DEP_2) | instskip(NEXT) | instid1(VALU_DEP_2)
	v_cmp_gt_i32_e32 vcc_lo, 32, v18
	v_fmac_f32_e32 v8, v5, v5
	s_waitcnt vmcnt(0)
	v_dual_cndmask_b32 v18, v17, v18 :: v_dual_and_b32 v21, 0xffff0000, v13
	s_delay_alu instid0(VALU_DEP_2) | instskip(NEXT) | instid1(VALU_DEP_2)
	v_dual_fmac_f32 v8, v19, v19 :: v_dual_lshlrev_b32 v13, 16, v13
	v_lshlrev_b32_e32 v18, 2, v18
	s_delay_alu instid0(VALU_DEP_2)
	v_fmac_f32_e32 v8, v20, v20
	ds_bpermute_b32 v6, v6, v8
	s_waitcnt lgkmcnt(0)
	v_add_f32_e32 v6, v8, v6
	ds_bpermute_b32 v8, v18, v6
	v_xor_b32_e32 v18, 4, v17
	s_delay_alu instid0(VALU_DEP_1) | instskip(SKIP_1) | instid1(VALU_DEP_1)
	v_cmp_gt_i32_e32 vcc_lo, 32, v18
	v_cndmask_b32_e32 v18, v17, v18, vcc_lo
	v_lshlrev_b32_e32 v18, 2, v18
	s_waitcnt lgkmcnt(0)
	v_add_f32_e32 v6, v6, v8
	ds_bpermute_b32 v8, v18, v6
	v_xor_b32_e32 v18, 2, v17
	s_delay_alu instid0(VALU_DEP_1) | instskip(SKIP_1) | instid1(VALU_DEP_1)
	v_cmp_gt_i32_e32 vcc_lo, 32, v18
	v_cndmask_b32_e32 v18, v17, v18, vcc_lo
	v_lshlrev_b32_e32 v18, 2, v18
	s_waitcnt lgkmcnt(0)
	v_add_f32_e32 v6, v6, v8
	ds_bpermute_b32 v8, v18, v6
	v_xor_b32_e32 v18, 1, v17
	s_delay_alu instid0(VALU_DEP_1) | instskip(SKIP_3) | instid1(VALU_DEP_2)
	v_cmp_gt_i32_e32 vcc_lo, 32, v18
	v_dual_cndmask_b32 v17, v17, v18 :: v_dual_and_b32 v18, 0xffff0000, v11
	v_lshlrev_b32_e32 v11, 16, v11
	s_waitcnt lgkmcnt(0)
	v_dual_add_f32 v6, v6, v8 :: v_dual_lshlrev_b32 v17, 2, v17
	ds_bpermute_b32 v8, v17, v6
	s_waitcnt lgkmcnt(0)
	v_dual_mov_b32 v17, s11 :: v_dual_add_f32 v6, v6, v8
	s_delay_alu instid0(VALU_DEP_1) | instskip(SKIP_2) | instid1(VALU_DEP_3)
	v_fmamk_f32 v6, v6, 0x3b800000, v17
	v_and_b32_e32 v17, 0xffff0000, v10
	v_lshlrev_b32_e32 v10, 16, v10
	v_mul_f32_e32 v8, 0x4b800000, v6
	v_cmp_gt_f32_e32 vcc_lo, 0x800000, v6
	s_delay_alu instid0(VALU_DEP_2) | instskip(NEXT) | instid1(VALU_DEP_1)
	v_cndmask_b32_e32 v6, v6, v8, vcc_lo
	v_rsq_f32_e32 v6, v6
	s_waitcnt_depctr 0xfff
	v_mul_f32_e32 v8, 0x45800000, v6
	s_delay_alu instid0(VALU_DEP_1) | instskip(SKIP_3) | instid1(VALU_DEP_4)
	v_cndmask_b32_e32 v6, v6, v8, vcc_lo
	v_and_b32_e32 v8, 0xffff0000, v12
	v_lshlrev_b32_e32 v12, 16, v12
	v_cmp_gt_i32_e32 vcc_lo, s0, v14
	v_mul_f32_e32 v10, v6, v10
	v_mul_f32_e32 v17, v6, v17
	;; [unrolled: 1-line block ×12, first 2 shown]
	v_dual_mul_f32 v6, v24, v5 :: v_dual_mul_f32 v5, v13, v19
	v_mul_f32_e32 v7, v23, v16
	v_mul_f32_e32 v4, v21, v20
	s_and_saveexec_b32 s0, vcc_lo
	s_cbranch_execz .LBB124_3
; %bb.2:
	v_ashrrev_i32_e32 v3, 31, v2
	s_delay_alu instid0(VALU_DEP_1) | instskip(NEXT) | instid1(VALU_DEP_1)
	v_lshlrev_b64 v[2:3], 3, v[2:3]
	v_add_co_u32 v2, vcc_lo, s6, v2
	s_delay_alu instid0(VALU_DEP_2)
	v_add_co_ci_u32_e32 v3, vcc_lo, s7, v3, vcc_lo
	global_load_b64 v[2:3], v[2:3], off
	s_waitcnt vmcnt(0)
	v_mul_lo_u32 v3, v3, s13
	v_mul_lo_u32 v15, v2, s1
	v_mad_u64_u32 v[13:14], null, v2, s13, 0
	s_lshr_b32 s1, s13, 31
	s_delay_alu instid0(SALU_CYCLE_1) | instskip(NEXT) | instid1(SALU_CYCLE_1)
	s_add_i32 s1, s13, s1
	s_ashr_i32 s2, s1, 1
	s_delay_alu instid0(VALU_DEP_1) | instskip(SKIP_1) | instid1(SALU_CYCLE_1)
	v_add3_u32 v14, v14, v15, v3
	s_ashr_i32 s3, s2, 31
	s_lshl_b64 s[2:3], s[2:3], 1
	s_delay_alu instid0(VALU_DEP_1) | instskip(NEXT) | instid1(VALU_DEP_1)
	v_lshlrev_b64 v[2:3], 1, v[13:14]
	v_add_co_u32 v2, vcc_lo, s4, v2
	s_delay_alu instid0(VALU_DEP_2) | instskip(NEXT) | instid1(VALU_DEP_2)
	v_add_co_ci_u32_e32 v3, vcc_lo, s5, v3, vcc_lo
	v_add_co_u32 v2, vcc_lo, v2, v9
	s_delay_alu instid0(VALU_DEP_2) | instskip(NEXT) | instid1(VALU_DEP_2)
	v_add_co_ci_u32_e32 v3, vcc_lo, 0, v3, vcc_lo
	v_add_co_u32 v13, vcc_lo, v2, s2
	s_delay_alu instid0(VALU_DEP_2)
	v_add_co_ci_u32_e32 v14, vcc_lo, s3, v3, vcc_lo
	s_clause 0x1
	global_load_b64 v[2:3], v[2:3], off
	global_load_b64 v[13:14], v[13:14], off
	s_waitcnt vmcnt(1)
	v_lshlrev_b32_e32 v15, 16, v3
	v_lshlrev_b32_e32 v9, 16, v2
	s_waitcnt vmcnt(0)
	v_lshlrev_b32_e32 v18, 16, v14
	v_and_b32_e32 v3, 0xffff0000, v3
	v_and_b32_e32 v14, 0xffff0000, v14
	v_lshlrev_b32_e32 v16, 16, v13
	s_delay_alu instid0(VALU_DEP_4)
	v_dual_mul_f32 v20, v6, v18 :: v_dual_and_b32 v13, 0xffff0000, v13
	v_mul_f32_e32 v6, v6, v15
	v_dual_mul_f32 v17, v11, v9 :: v_dual_and_b32 v2, 0xffff0000, v2
	v_mul_f32_e32 v9, v12, v9
	v_mul_f32_e32 v21, v4, v14
	;; [unrolled: 1-line block ×3, first 2 shown]
	s_delay_alu instid0(VALU_DEP_4) | instskip(SKIP_4) | instid1(VALU_DEP_4)
	v_fmac_f32_e32 v17, v12, v16
	v_dual_mul_f32 v19, v8, v13 :: v_dual_fmac_f32 v6, v7, v18
	v_mul_f32_e32 v8, v8, v2
	v_fma_f32 v12, -v11, v16, v9
	v_fma_f32 v9, v7, v15, -v20
	v_fma_f32 v2, v10, v2, -v19
	v_fma_f32 v3, v5, v3, -v21
	v_dual_fmac_f32 v8, v10, v13 :: v_dual_mov_b32 v11, v17
	v_fmac_f32_e32 v4, v5, v14
	s_delay_alu instid0(VALU_DEP_4) | instskip(NEXT) | instid1(VALU_DEP_4)
	v_dual_mov_b32 v10, v2 :: v_dual_mov_b32 v7, v9
	v_mov_b32_e32 v5, v3
.LBB124_3:
	s_or_b32 exec_lo, exec_lo, s0
	v_and_b32_e32 v2, 0x7f800000, v12
	s_delay_alu instid0(VALU_DEP_1) | instskip(SKIP_1) | instid1(SALU_CYCLE_1)
	v_cmp_ne_u32_e32 vcc_lo, 0x7f800000, v2
                                        ; implicit-def: $vgpr2
	s_and_saveexec_b32 s0, vcc_lo
	s_xor_b32 s0, exec_lo, s0
; %bb.4:
	v_bfe_u32 v2, v12, 16, 1
	s_delay_alu instid0(VALU_DEP_1)
	v_add3_u32 v2, v12, v2, 0x7fff
                                        ; implicit-def: $vgpr12
; %bb.5:
	s_and_not1_saveexec_b32 s0, s0
; %bb.6:
	v_and_b32_e32 v2, 0xffff, v12
	v_or_b32_e32 v3, 0x10000, v12
	s_delay_alu instid0(VALU_DEP_2) | instskip(NEXT) | instid1(VALU_DEP_2)
	v_cmp_eq_u32_e32 vcc_lo, 0, v2
	v_cndmask_b32_e32 v2, v3, v12, vcc_lo
; %bb.7:
	s_or_b32 exec_lo, exec_lo, s0
	v_and_b32_e32 v3, 0x7f800000, v11
	s_delay_alu instid0(VALU_DEP_1) | instskip(SKIP_1) | instid1(SALU_CYCLE_1)
	v_cmp_ne_u32_e32 vcc_lo, 0x7f800000, v3
                                        ; implicit-def: $vgpr3
	s_and_saveexec_b32 s0, vcc_lo
	s_xor_b32 s0, exec_lo, s0
; %bb.8:
	v_bfe_u32 v3, v11, 16, 1
	s_delay_alu instid0(VALU_DEP_1)
	v_add3_u32 v3, v11, v3, 0x7fff
                                        ; implicit-def: $vgpr11
; %bb.9:
	s_and_not1_saveexec_b32 s0, s0
; %bb.10:
	v_and_b32_e32 v3, 0xffff, v11
	v_or_b32_e32 v9, 0x10000, v11
	s_delay_alu instid0(VALU_DEP_2) | instskip(NEXT) | instid1(VALU_DEP_2)
	v_cmp_eq_u32_e32 vcc_lo, 0, v3
	v_cndmask_b32_e32 v3, v9, v11, vcc_lo
; %bb.11:
	s_or_b32 exec_lo, exec_lo, s0
	v_and_b32_e32 v9, 0x7f800000, v10
	s_delay_alu instid0(VALU_DEP_1) | instskip(SKIP_1) | instid1(SALU_CYCLE_1)
	v_cmp_ne_u32_e32 vcc_lo, 0x7f800000, v9
                                        ; implicit-def: $vgpr9
	s_and_saveexec_b32 s0, vcc_lo
	s_xor_b32 s0, exec_lo, s0
; %bb.12:
	v_bfe_u32 v9, v10, 16, 1
	s_delay_alu instid0(VALU_DEP_1)
	v_add3_u32 v9, v10, v9, 0x7fff
                                        ; implicit-def: $vgpr10
; %bb.13:
	s_and_not1_saveexec_b32 s0, s0
; %bb.14:
	v_and_b32_e32 v9, 0xffff, v10
	v_or_b32_e32 v11, 0x10000, v10
	s_delay_alu instid0(VALU_DEP_2) | instskip(NEXT) | instid1(VALU_DEP_2)
	v_cmp_eq_u32_e32 vcc_lo, 0, v9
	v_cndmask_b32_e32 v9, v11, v10, vcc_lo
; %bb.15:
	s_or_b32 exec_lo, exec_lo, s0
	v_and_b32_e32 v10, 0x7f800000, v8
	s_delay_alu instid0(VALU_DEP_1) | instskip(SKIP_1) | instid1(SALU_CYCLE_1)
	v_cmp_ne_u32_e32 vcc_lo, 0x7f800000, v10
                                        ; implicit-def: $vgpr10
	s_and_saveexec_b32 s0, vcc_lo
	s_xor_b32 s0, exec_lo, s0
; %bb.16:
	v_bfe_u32 v10, v8, 16, 1
	s_delay_alu instid0(VALU_DEP_1)
	v_add3_u32 v10, v8, v10, 0x7fff
                                        ; implicit-def: $vgpr8
; %bb.17:
	s_and_not1_saveexec_b32 s0, s0
; %bb.18:
	v_and_b32_e32 v10, 0xffff, v8
	v_or_b32_e32 v11, 0x10000, v8
	s_delay_alu instid0(VALU_DEP_2) | instskip(NEXT) | instid1(VALU_DEP_2)
	v_cmp_eq_u32_e32 vcc_lo, 0, v10
	v_cndmask_b32_e32 v10, v11, v8, vcc_lo
; %bb.19:
	s_or_b32 exec_lo, exec_lo, s0
	v_and_b32_e32 v8, 0x7f800000, v7
	s_delay_alu instid0(VALU_DEP_1) | instskip(SKIP_1) | instid1(SALU_CYCLE_1)
	v_cmp_ne_u32_e32 vcc_lo, 0x7f800000, v8
                                        ; implicit-def: $vgpr8
	s_and_saveexec_b32 s0, vcc_lo
	s_xor_b32 s0, exec_lo, s0
; %bb.20:
	v_bfe_u32 v8, v7, 16, 1
	s_delay_alu instid0(VALU_DEP_1)
	v_add3_u32 v8, v7, v8, 0x7fff
                                        ; implicit-def: $vgpr7
; %bb.21:
	s_and_not1_saveexec_b32 s0, s0
; %bb.22:
	v_and_b32_e32 v8, 0xffff, v7
	v_or_b32_e32 v11, 0x10000, v7
	s_delay_alu instid0(VALU_DEP_2) | instskip(NEXT) | instid1(VALU_DEP_2)
	v_cmp_eq_u32_e32 vcc_lo, 0, v8
	v_cndmask_b32_e32 v8, v11, v7, vcc_lo
; %bb.23:
	s_or_b32 exec_lo, exec_lo, s0
	v_and_b32_e32 v7, 0x7f800000, v6
	s_delay_alu instid0(VALU_DEP_1) | instskip(SKIP_1) | instid1(SALU_CYCLE_1)
	v_cmp_ne_u32_e32 vcc_lo, 0x7f800000, v7
                                        ; implicit-def: $vgpr7
	s_and_saveexec_b32 s0, vcc_lo
	s_xor_b32 s0, exec_lo, s0
; %bb.24:
	v_bfe_u32 v7, v6, 16, 1
	s_delay_alu instid0(VALU_DEP_1)
	v_add3_u32 v7, v6, v7, 0x7fff
                                        ; implicit-def: $vgpr6
; %bb.25:
	s_and_not1_saveexec_b32 s0, s0
; %bb.26:
	v_and_b32_e32 v7, 0xffff, v6
	v_or_b32_e32 v11, 0x10000, v6
	s_delay_alu instid0(VALU_DEP_2) | instskip(NEXT) | instid1(VALU_DEP_2)
	v_cmp_eq_u32_e32 vcc_lo, 0, v7
	v_cndmask_b32_e32 v7, v11, v6, vcc_lo
; %bb.27:
	s_or_b32 exec_lo, exec_lo, s0
	v_and_b32_e32 v6, 0x7f800000, v5
	s_delay_alu instid0(VALU_DEP_1) | instskip(SKIP_1) | instid1(SALU_CYCLE_1)
	v_cmp_ne_u32_e32 vcc_lo, 0x7f800000, v6
                                        ; implicit-def: $vgpr6
	s_and_saveexec_b32 s0, vcc_lo
	s_xor_b32 s0, exec_lo, s0
; %bb.28:
	v_bfe_u32 v6, v5, 16, 1
	s_delay_alu instid0(VALU_DEP_1)
	v_add3_u32 v6, v5, v6, 0x7fff
                                        ; implicit-def: $vgpr5
; %bb.29:
	s_and_not1_saveexec_b32 s0, s0
; %bb.30:
	v_and_b32_e32 v6, 0xffff, v5
	v_or_b32_e32 v11, 0x10000, v5
	s_delay_alu instid0(VALU_DEP_2) | instskip(NEXT) | instid1(VALU_DEP_2)
	v_cmp_eq_u32_e32 vcc_lo, 0, v6
	v_cndmask_b32_e32 v6, v11, v5, vcc_lo
; %bb.31:
	s_or_b32 exec_lo, exec_lo, s0
	v_and_b32_e32 v5, 0x7f800000, v4
	s_delay_alu instid0(VALU_DEP_1) | instskip(SKIP_1) | instid1(SALU_CYCLE_1)
	v_cmp_ne_u32_e32 vcc_lo, 0x7f800000, v5
                                        ; implicit-def: $vgpr5
	s_and_saveexec_b32 s0, vcc_lo
	s_xor_b32 s0, exec_lo, s0
; %bb.32:
	v_bfe_u32 v5, v4, 16, 1
	s_delay_alu instid0(VALU_DEP_1)
	v_add3_u32 v5, v4, v5, 0x7fff
                                        ; implicit-def: $vgpr4
; %bb.33:
	s_and_not1_saveexec_b32 s0, s0
; %bb.34:
	v_and_b32_e32 v5, 0xffff, v4
	v_or_b32_e32 v11, 0x10000, v4
	s_delay_alu instid0(VALU_DEP_2) | instskip(NEXT) | instid1(VALU_DEP_2)
	v_cmp_eq_u32_e32 vcc_lo, 0, v5
	v_cndmask_b32_e32 v5, v11, v4, vcc_lo
; %bb.35:
	s_or_b32 exec_lo, exec_lo, s0
	s_delay_alu instid0(VALU_DEP_1)
	v_perm_b32 v6, v5, v6, 0x7060302
	v_perm_b32 v5, v7, v8, 0x7060302
	;; [unrolled: 1-line block ×4, first 2 shown]
	global_store_b128 v[0:1], v[3:6], off
.LBB124_36:
	s_nop 0
	s_sendmsg sendmsg(MSG_DEALLOC_VGPRS)
	s_endpgm
	.section	.rodata,"a",@progbits
	.p2align	6, 0x0
	.amdhsa_kernel _ZN12tensorrt_llm7kernels21fusedQKNormRopeKernelIN3c108BFloat16ES3_Li256ELb1EEEvPviiifPKvS6_S6_PKlii
		.amdhsa_group_segment_fixed_size 0
		.amdhsa_private_segment_fixed_size 0
		.amdhsa_kernarg_size 320
		.amdhsa_user_sgpr_count 15
		.amdhsa_user_sgpr_dispatch_ptr 0
		.amdhsa_user_sgpr_queue_ptr 0
		.amdhsa_user_sgpr_kernarg_segment_ptr 1
		.amdhsa_user_sgpr_dispatch_id 0
		.amdhsa_user_sgpr_private_segment_size 0
		.amdhsa_wavefront_size32 1
		.amdhsa_uses_dynamic_stack 0
		.amdhsa_enable_private_segment 0
		.amdhsa_system_sgpr_workgroup_id_x 1
		.amdhsa_system_sgpr_workgroup_id_y 0
		.amdhsa_system_sgpr_workgroup_id_z 0
		.amdhsa_system_sgpr_workgroup_info 0
		.amdhsa_system_vgpr_workitem_id 0
		.amdhsa_next_free_vgpr 25
		.amdhsa_next_free_sgpr 16
		.amdhsa_reserve_vcc 1
		.amdhsa_float_round_mode_32 0
		.amdhsa_float_round_mode_16_64 0
		.amdhsa_float_denorm_mode_32 3
		.amdhsa_float_denorm_mode_16_64 3
		.amdhsa_dx10_clamp 1
		.amdhsa_ieee_mode 1
		.amdhsa_fp16_overflow 0
		.amdhsa_workgroup_processor_mode 1
		.amdhsa_memory_ordered 1
		.amdhsa_forward_progress 0
		.amdhsa_shared_vgpr_count 0
		.amdhsa_exception_fp_ieee_invalid_op 0
		.amdhsa_exception_fp_denorm_src 0
		.amdhsa_exception_fp_ieee_div_zero 0
		.amdhsa_exception_fp_ieee_overflow 0
		.amdhsa_exception_fp_ieee_underflow 0
		.amdhsa_exception_fp_ieee_inexact 0
		.amdhsa_exception_int_div_zero 0
	.end_amdhsa_kernel
	.section	.text._ZN12tensorrt_llm7kernels21fusedQKNormRopeKernelIN3c108BFloat16ES3_Li256ELb1EEEvPviiifPKvS6_S6_PKlii,"axG",@progbits,_ZN12tensorrt_llm7kernels21fusedQKNormRopeKernelIN3c108BFloat16ES3_Li256ELb1EEEvPviiifPKvS6_S6_PKlii,comdat
.Lfunc_end124:
	.size	_ZN12tensorrt_llm7kernels21fusedQKNormRopeKernelIN3c108BFloat16ES3_Li256ELb1EEEvPviiifPKvS6_S6_PKlii, .Lfunc_end124-_ZN12tensorrt_llm7kernels21fusedQKNormRopeKernelIN3c108BFloat16ES3_Li256ELb1EEEvPviiifPKvS6_S6_PKlii
                                        ; -- End function
	.section	.AMDGPU.csdata,"",@progbits
; Kernel info:
; codeLenInByte = 2056
; NumSgprs: 18
; NumVgprs: 25
; ScratchSize: 0
; MemoryBound: 0
; FloatMode: 240
; IeeeMode: 1
; LDSByteSize: 0 bytes/workgroup (compile time only)
; SGPRBlocks: 2
; VGPRBlocks: 3
; NumSGPRsForWavesPerEU: 18
; NumVGPRsForWavesPerEU: 25
; Occupancy: 16
; WaveLimiterHint : 1
; COMPUTE_PGM_RSRC2:SCRATCH_EN: 0
; COMPUTE_PGM_RSRC2:USER_SGPR: 15
; COMPUTE_PGM_RSRC2:TRAP_HANDLER: 0
; COMPUTE_PGM_RSRC2:TGID_X_EN: 1
; COMPUTE_PGM_RSRC2:TGID_Y_EN: 0
; COMPUTE_PGM_RSRC2:TGID_Z_EN: 0
; COMPUTE_PGM_RSRC2:TIDIG_COMP_CNT: 0
	.section	.text._ZN12tensorrt_llm7kernels21fusedQKNormRopeKernelIN3c108BFloat16ES3_Li256ELb0EEEvPviiifPKvS6_S6_PKlii,"axG",@progbits,_ZN12tensorrt_llm7kernels21fusedQKNormRopeKernelIN3c108BFloat16ES3_Li256ELb0EEEvPviiifPKvS6_S6_PKlii,comdat
	.protected	_ZN12tensorrt_llm7kernels21fusedQKNormRopeKernelIN3c108BFloat16ES3_Li256ELb0EEEvPviiifPKvS6_S6_PKlii ; -- Begin function _ZN12tensorrt_llm7kernels21fusedQKNormRopeKernelIN3c108BFloat16ES3_Li256ELb0EEEvPviiifPKvS6_S6_PKlii
	.globl	_ZN12tensorrt_llm7kernels21fusedQKNormRopeKernelIN3c108BFloat16ES3_Li256ELb0EEEvPviiifPKvS6_S6_PKlii
	.p2align	8
	.type	_ZN12tensorrt_llm7kernels21fusedQKNormRopeKernelIN3c108BFloat16ES3_Li256ELb0EEEvPviiifPKvS6_S6_PKlii,@function
_ZN12tensorrt_llm7kernels21fusedQKNormRopeKernelIN3c108BFloat16ES3_Li256ELb0EEEvPviiifPKvS6_S6_PKlii: ; @_ZN12tensorrt_llm7kernels21fusedQKNormRopeKernelIN3c108BFloat16ES3_Li256ELb0EEEvPviiifPKvS6_S6_PKlii
; %bb.0:
	s_clause 0x2
	s_load_b128 s[8:11], s[0:1], 0x8
	s_load_b64 s[12:13], s[0:1], 0x38
	s_load_b32 s4, s[0:1], 0x4c
	v_lshrrev_b32_e32 v3, 5, v0
	s_waitcnt lgkmcnt(0)
	s_add_i32 s2, s9, s8
	s_bfe_u32 s4, s4, 0xb0005
	s_abs_i32 s3, s2
	s_delay_alu instid0(SALU_CYCLE_1) | instskip(SKIP_1) | instid1(VALU_DEP_1)
	v_cvt_f32_u32_e32 v1, s3
	s_sub_i32 s5, 0, s3
	v_rcp_iflag_f32_e32 v1, v1
	s_waitcnt_depctr 0xfff
	v_mul_f32_e32 v1, 0x4f7ffffe, v1
	s_delay_alu instid0(VALU_DEP_1) | instskip(NEXT) | instid1(VALU_DEP_1)
	v_cvt_u32_f32_e32 v4, v1
	v_mul_lo_u32 v5, s5, v4
	v_mad_u64_u32 v[1:2], null, s15, s4, v[3:4]
	s_delay_alu instid0(VALU_DEP_2) | instskip(NEXT) | instid1(VALU_DEP_2)
	v_mul_hi_u32 v2, v4, v5
	v_sub_nc_u32_e32 v3, 0, v1
	s_delay_alu instid0(VALU_DEP_1) | instskip(NEXT) | instid1(VALU_DEP_3)
	v_max_i32_e32 v3, v1, v3
	v_add_nc_u32_e32 v2, v4, v2
	s_delay_alu instid0(VALU_DEP_1) | instskip(NEXT) | instid1(VALU_DEP_1)
	v_mul_hi_u32 v2, v3, v2
	v_mul_lo_u32 v4, v2, s3
	s_delay_alu instid0(VALU_DEP_1) | instskip(NEXT) | instid1(VALU_DEP_1)
	v_sub_nc_u32_e32 v3, v3, v4
	v_subrev_nc_u32_e32 v5, s3, v3
	v_cmp_le_u32_e32 vcc_lo, s3, v3
	s_delay_alu instid0(VALU_DEP_2) | instskip(NEXT) | instid1(VALU_DEP_1)
	v_dual_cndmask_b32 v3, v3, v5 :: v_dual_add_nc_u32 v4, 1, v2
	v_cndmask_b32_e32 v2, v2, v4, vcc_lo
	v_xor_b32_e32 v4, s2, v1
	s_delay_alu instid0(VALU_DEP_3) | instskip(NEXT) | instid1(VALU_DEP_3)
	v_cmp_le_u32_e32 vcc_lo, s3, v3
	v_add_nc_u32_e32 v5, 1, v2
	s_delay_alu instid0(VALU_DEP_3) | instskip(SKIP_1) | instid1(VALU_DEP_2)
	v_ashrrev_i32_e32 v4, 31, v4
	s_mov_b32 s3, exec_lo
	v_cndmask_b32_e32 v2, v2, v5, vcc_lo
	s_delay_alu instid0(VALU_DEP_1) | instskip(NEXT) | instid1(VALU_DEP_1)
	v_xor_b32_e32 v2, v2, v4
	v_sub_nc_u32_e32 v10, v2, v4
	s_delay_alu instid0(VALU_DEP_1)
	v_cmpx_gt_i32_e64 s12, v10
	s_cbranch_execz .LBB125_36
; %bb.1:
	v_mul_lo_u32 v2, v10, s2
	s_add_i32 s2, s2, s10
	v_and_b32_e32 v12, 31, v0
	v_mul_lo_u32 v3, v10, s2
	s_load_b64 s[2:3], s[0:1], 0x0
	v_mbcnt_lo_u32_b32 v13, -1, 0
	s_delay_alu instid0(VALU_DEP_4) | instskip(NEXT) | instid1(VALU_DEP_1)
	v_sub_nc_u32_e32 v1, v1, v2
	v_cmp_gt_i32_e32 vcc_lo, s8, v1
	v_cndmask_b32_e64 v2, s8, 0, vcc_lo
	s_delay_alu instid0(VALU_DEP_1) | instskip(SKIP_1) | instid1(VALU_DEP_2)
	v_sub_nc_u32_e32 v0, v1, v2
	v_lshlrev_b32_e32 v1, 3, v12
	v_add3_u32 v0, v3, v2, v0
	s_delay_alu instid0(VALU_DEP_1) | instskip(NEXT) | instid1(VALU_DEP_1)
	v_lshl_or_b32 v0, v0, 8, v1
	v_ashrrev_i32_e32 v1, 31, v0
	s_delay_alu instid0(VALU_DEP_1) | instskip(SKIP_1) | instid1(VALU_DEP_1)
	v_lshlrev_b64 v[0:1], 1, v[0:1]
	s_waitcnt lgkmcnt(0)
	v_add_co_u32 v8, s2, s2, v0
	s_delay_alu instid0(VALU_DEP_1)
	v_add_co_ci_u32_e64 v9, s2, s3, v1, s2
	s_load_b256 s[0:7], s[0:1], 0x18
	global_load_b128 v[0:3], v[8:9], off
	s_waitcnt lgkmcnt(0)
	v_dual_mov_b32 v4, s0 :: v_dual_mov_b32 v5, s1
	v_lshlrev_b32_e32 v14, 4, v12
	s_ashr_i32 s1, s13, 31
	s_delay_alu instid0(SALU_CYCLE_1) | instskip(NEXT) | instid1(VALU_DEP_2)
	s_lshr_b32 s0, s1, 29
	v_cndmask_b32_e32 v5, s3, v5, vcc_lo
	s_add_i32 s0, s13, s0
	s_delay_alu instid0(SALU_CYCLE_1)
	s_ashr_i32 s0, s0, 3
	s_waitcnt vmcnt(0)
	v_and_b32_e32 v19, 0xffff0000, v2
	v_lshlrev_b32_e32 v18, 16, v2
	v_xor_b32_e32 v2, 8, v13
	v_and_b32_e32 v11, 0xffff0000, v0
	v_cndmask_b32_e32 v4, s2, v4, vcc_lo
	v_and_b32_e32 v17, 0xffff0000, v1
	v_lshlrev_b32_e32 v0, 16, v0
	v_and_b32_e32 v21, 0xffff0000, v3
	v_mul_f32_e32 v15, v11, v11
	v_add_co_u32 v4, vcc_lo, v4, v14
	v_add_co_ci_u32_e32 v5, vcc_lo, 0, v5, vcc_lo
	s_delay_alu instid0(VALU_DEP_3)
	v_dual_fmac_f32 v15, v0, v0 :: v_dual_lshlrev_b32 v16, 16, v1
	v_xor_b32_e32 v1, 16, v13
	global_load_b128 v[4:7], v[4:5], off
	v_lshlrev_b32_e32 v20, 16, v3
	v_xor_b32_e32 v3, 4, v13
	v_fmac_f32_e32 v15, v16, v16
	v_cmp_gt_i32_e32 vcc_lo, 32, v1
	s_delay_alu instid0(VALU_DEP_2) | instskip(SKIP_2) | instid1(VALU_DEP_3)
	v_fmac_f32_e32 v15, v17, v17
	v_cndmask_b32_e32 v1, v13, v1, vcc_lo
	v_cmp_gt_i32_e32 vcc_lo, 32, v2
	v_fmac_f32_e32 v15, v18, v18
	v_cndmask_b32_e32 v2, v13, v2, vcc_lo
	v_cmp_gt_i32_e32 vcc_lo, 32, v3
	s_delay_alu instid0(VALU_DEP_2) | instskip(SKIP_2) | instid1(VALU_DEP_3)
	v_dual_fmac_f32 v15, v19, v19 :: v_dual_lshlrev_b32 v2, 2, v2
	v_lshlrev_b32_e32 v1, 2, v1
	v_cndmask_b32_e32 v3, v13, v3, vcc_lo
	v_fmac_f32_e32 v15, v20, v20
	s_delay_alu instid0(VALU_DEP_1)
	v_fmac_f32_e32 v15, v21, v21
	ds_bpermute_b32 v1, v1, v15
	s_waitcnt lgkmcnt(0)
	v_add_f32_e32 v1, v15, v1
	ds_bpermute_b32 v2, v2, v1
	s_waitcnt vmcnt(0) lgkmcnt(0)
	v_dual_add_f32 v1, v1, v2 :: v_dual_lshlrev_b32 v22, 16, v7
	v_lshlrev_b32_e32 v3, 2, v3
	v_lshlrev_b32_e32 v15, 16, v5
	v_and_b32_e32 v5, 0xffff0000, v5
	v_and_b32_e32 v7, 0xffff0000, v7
	ds_bpermute_b32 v2, v3, v1
	v_xor_b32_e32 v3, 2, v13
	s_delay_alu instid0(VALU_DEP_1) | instskip(SKIP_1) | instid1(VALU_DEP_1)
	v_cmp_gt_i32_e32 vcc_lo, 32, v3
	v_cndmask_b32_e32 v3, v13, v3, vcc_lo
	v_lshlrev_b32_e32 v3, 2, v3
	s_waitcnt lgkmcnt(0)
	v_add_f32_e32 v1, v1, v2
	ds_bpermute_b32 v2, v3, v1
	v_xor_b32_e32 v3, 1, v13
	s_delay_alu instid0(VALU_DEP_1) | instskip(SKIP_1) | instid1(VALU_DEP_1)
	v_cmp_gt_i32_e32 vcc_lo, 32, v3
	v_cndmask_b32_e32 v3, v13, v3, vcc_lo
	v_lshlrev_b32_e32 v3, 2, v3
	s_waitcnt lgkmcnt(0)
	v_add_f32_e32 v1, v1, v2
	ds_bpermute_b32 v2, v3, v1
	v_mov_b32_e32 v3, s11
	s_waitcnt lgkmcnt(0)
	v_add_f32_e32 v1, v1, v2
	s_delay_alu instid0(VALU_DEP_1) | instskip(SKIP_2) | instid1(VALU_DEP_3)
	v_fmamk_f32 v1, v1, 0x3b800000, v3
	v_lshlrev_b32_e32 v3, 16, v4
	v_and_b32_e32 v4, 0xffff0000, v4
	v_mul_f32_e32 v2, 0x4b800000, v1
	v_cmp_gt_f32_e32 vcc_lo, 0x800000, v1
	s_delay_alu instid0(VALU_DEP_2) | instskip(NEXT) | instid1(VALU_DEP_1)
	v_cndmask_b32_e32 v1, v1, v2, vcc_lo
	v_rsq_f32_e32 v1, v1
	s_waitcnt_depctr 0xfff
	v_mul_f32_e32 v2, 0x45800000, v1
	s_delay_alu instid0(VALU_DEP_1) | instskip(SKIP_3) | instid1(VALU_DEP_4)
	v_cndmask_b32_e32 v1, v1, v2, vcc_lo
	v_lshlrev_b32_e32 v2, 16, v6
	v_and_b32_e32 v6, 0xffff0000, v6
	v_cmp_gt_i32_e32 vcc_lo, s0, v12
	v_mul_f32_e32 v3, v1, v3
	v_mul_f32_e32 v4, v1, v4
	;; [unrolled: 1-line block ×7, first 2 shown]
	v_dual_mul_f32 v7, v1, v7 :: v_dual_mul_f32 v0, v3, v0
	v_dual_mul_f32 v1, v4, v11 :: v_dual_mul_f32 v2, v15, v16
	;; [unrolled: 1-line block ×3, first 2 shown]
	v_mul_f32_e32 v5, v6, v19
	s_delay_alu instid0(VALU_DEP_4)
	v_dual_mul_f32 v6, v22, v20 :: v_dual_mul_f32 v7, v7, v21
	s_and_saveexec_b32 s0, vcc_lo
	s_cbranch_execz .LBB125_3
; %bb.2:
	v_ashrrev_i32_e32 v11, 31, v10
	s_abs_i32 s2, s13
	v_or_b32_e32 v17, 2, v14
	v_cvt_f32_u32_e32 v15, s2
	s_sub_i32 s3, 0, s2
	v_lshlrev_b64 v[10:11], 3, v[10:11]
	v_or_b32_e32 v18, 4, v14
	v_or_b32_e32 v19, 6, v14
	v_rcp_iflag_f32_e32 v15, v15
	v_or_b32_e32 v20, 8, v14
	v_or_b32_e32 v21, 10, v14
	v_add_co_u32 v10, vcc_lo, s6, v10
	v_add_co_ci_u32_e32 v11, vcc_lo, s7, v11, vcc_lo
	v_or_b32_e32 v22, 12, v14
	s_waitcnt_depctr 0xfff
	v_mul_f32_e32 v15, 0x4f7ffffe, v15
	global_load_b64 v[10:11], v[10:11], off
	; wave barrier
	v_cvt_u32_f32_e32 v15, v15
	s_delay_alu instid0(VALU_DEP_1) | instskip(SKIP_1) | instid1(SALU_CYCLE_1)
	v_mul_lo_u32 v16, s3, v15
	s_lshr_b32 s3, s13, 31
	s_add_i32 s3, s13, s3
	s_delay_alu instid0(SALU_CYCLE_1) | instskip(NEXT) | instid1(SALU_CYCLE_1)
	s_ashr_i32 s6, s3, 1
	s_ashr_i32 s7, s6, 31
	s_delay_alu instid0(VALU_DEP_1) | instskip(SKIP_1) | instid1(VALU_DEP_1)
	v_mul_hi_u32 v16, v15, v16
	s_lshl_b64 s[6:7], s[6:7], 1
	v_add_nc_u32_e32 v15, v15, v16
	v_or_b32_e32 v16, 14, v14
	s_delay_alu instid0(VALU_DEP_2)
	v_mul_hi_u32 v23, v14, v15
	v_mul_hi_u32 v24, v17, v15
	;; [unrolled: 1-line block ×8, first 2 shown]
	v_mul_lo_u32 v23, v23, s2
	v_mul_lo_u32 v24, v24, s2
	;; [unrolled: 1-line block ×8, first 2 shown]
	v_sub_nc_u32_e32 v14, v14, v23
	v_sub_nc_u32_e32 v17, v17, v24
	;; [unrolled: 1-line block ×5, first 2 shown]
	v_cmp_le_u32_e32 vcc_lo, s2, v14
	v_subrev_nc_u32_e32 v23, s2, v17
	v_sub_nc_u32_e32 v15, v16, v15
	v_subrev_nc_u32_e32 v16, s2, v14
	v_subrev_nc_u32_e32 v24, s2, v18
	;; [unrolled: 1-line block ×3, first 2 shown]
	v_sub_nc_u32_e32 v21, v21, v28
	v_subrev_nc_u32_e32 v26, s2, v20
	v_cndmask_b32_e32 v14, v14, v16, vcc_lo
	v_cmp_le_u32_e32 vcc_lo, s2, v17
	v_sub_nc_u32_e32 v22, v22, v29
	v_subrev_nc_u32_e32 v27, s2, v21
	v_subrev_nc_u32_e32 v29, s2, v15
	v_cndmask_b32_e32 v16, v17, v23, vcc_lo
	v_cmp_le_u32_e32 vcc_lo, s2, v18
	v_subrev_nc_u32_e32 v28, s2, v22
	s_delay_alu instid0(VALU_DEP_3) | instskip(SKIP_4) | instid1(VALU_DEP_4)
	v_subrev_nc_u32_e32 v23, s2, v16
	v_cndmask_b32_e32 v17, v18, v24, vcc_lo
	v_cmp_le_u32_e32 vcc_lo, s2, v19
	v_cndmask_b32_e32 v18, v19, v25, vcc_lo
	v_cmp_le_u32_e32 vcc_lo, s2, v20
	v_subrev_nc_u32_e32 v24, s2, v17
	s_delay_alu instid0(VALU_DEP_3) | instskip(SKIP_4) | instid1(VALU_DEP_4)
	v_subrev_nc_u32_e32 v25, s2, v18
	v_cndmask_b32_e32 v19, v20, v26, vcc_lo
	v_cmp_le_u32_e32 vcc_lo, s2, v21
	v_cndmask_b32_e32 v20, v21, v27, vcc_lo
	v_cmp_le_u32_e32 vcc_lo, s2, v22
	v_subrev_nc_u32_e32 v26, s2, v19
	s_delay_alu instid0(VALU_DEP_3)
	v_subrev_nc_u32_e32 v27, s2, v20
	v_cndmask_b32_e32 v21, v22, v28, vcc_lo
	v_cmp_le_u32_e32 vcc_lo, s2, v15
	v_cndmask_b32_e32 v22, v15, v29, vcc_lo
	v_subrev_nc_u32_e32 v15, s2, v14
	v_cmp_le_u32_e32 vcc_lo, s2, v14
	v_subrev_nc_u32_e32 v28, s2, v21
	s_delay_alu instid0(VALU_DEP_4) | instskip(NEXT) | instid1(VALU_DEP_4)
	v_subrev_nc_u32_e32 v29, s2, v22
	v_cndmask_b32_e32 v30, v14, v15, vcc_lo
	v_cmp_le_u32_e32 vcc_lo, s2, v16
	v_cndmask_b32_e32 v16, v16, v23, vcc_lo
	v_cmp_le_u32_e32 vcc_lo, s2, v17
	;; [unrolled: 2-line block ×5, first 2 shown]
	s_delay_alu instid0(VALU_DEP_2)
	v_and_b32_e32 v34, -2, v19
	v_cndmask_b32_e32 v20, v20, v27, vcc_lo
	v_cmp_le_u32_e32 vcc_lo, s2, v21
	v_cndmask_b32_e32 v21, v21, v28, vcc_lo
	v_cmp_le_u32_e32 vcc_lo, s2, v22
	v_and_b32_e32 v28, -2, v30
	v_and_b32_e32 v30, -2, v17
	v_and_b32_e32 v32, -2, v18
	v_and_b32_e32 v36, -2, v21
	v_dual_cndmask_b32 v22, v22, v29 :: v_dual_and_b32 v29, -2, v16
	v_and_b32_e32 v35, -2, v20
	s_delay_alu instid0(VALU_DEP_2)
	v_and_b32_e32 v38, -2, v22
	s_waitcnt vmcnt(0)
	v_mul_lo_u32 v11, v11, s13
	v_mul_lo_u32 v23, v10, s1
	v_mad_u64_u32 v[14:15], null, v10, s13, 0
	s_lshr_b32 s1, s1, 28
	s_delay_alu instid0(SALU_CYCLE_1) | instskip(NEXT) | instid1(SALU_CYCLE_1)
	s_add_i32 s1, s13, s1
	s_ashr_i32 s1, s1, 4
	s_delay_alu instid0(VALU_DEP_1) | instskip(NEXT) | instid1(VALU_DEP_1)
	v_add3_u32 v15, v15, v23, v11
	v_lshlrev_b64 v[10:11], 1, v[14:15]
	s_delay_alu instid0(VALU_DEP_1) | instskip(NEXT) | instid1(VALU_DEP_2)
	v_add_co_u32 v26, vcc_lo, s4, v10
	v_add_co_ci_u32_e32 v27, vcc_lo, s5, v11, vcc_lo
	s_delay_alu instid0(VALU_DEP_2) | instskip(NEXT) | instid1(VALU_DEP_2)
	v_add_co_u32 v39, vcc_lo, v26, s6
	v_add_co_ci_u32_e32 v40, vcc_lo, s7, v27, vcc_lo
	v_add_co_u32 v10, vcc_lo, v26, v28
	v_add_co_ci_u32_e32 v11, vcc_lo, 0, v27, vcc_lo
	;; [unrolled: 2-line block ×9, first 2 shown]
	s_clause 0x1
	global_load_u16 v41, v[10:11], off
	global_load_u16 v42, v[20:21], off
	v_add_co_u32 v10, vcc_lo, v39, v28
	v_add_co_ci_u32_e32 v11, vcc_lo, 0, v40, vcc_lo
	v_add_co_u32 v28, vcc_lo, v39, v29
	v_add_co_ci_u32_e32 v29, vcc_lo, 0, v40, vcc_lo
	;; [unrolled: 2-line block ×8, first 2 shown]
	s_clause 0xd
	global_load_u16 v10, v[10:11], off
	global_load_u16 v11, v[14:15], off
	;; [unrolled: 1-line block ×14, first 2 shown]
	v_xor_b32_e32 v26, s1, v13
	; wave barrier
	s_delay_alu instid0(VALU_DEP_1)
	v_cmp_gt_i32_e32 vcc_lo, 32, v26
	v_cndmask_b32_e32 v13, v13, v26, vcc_lo
	v_cmp_gt_i32_e32 vcc_lo, s1, v12
	s_waitcnt vmcnt(12)
	v_lshlrev_b32_e32 v35, 16, v11
	s_waitcnt vmcnt(8)
	v_lshlrev_b32_e32 v37, 16, v17
	;; [unrolled: 2-line block ×3, first 2 shown]
	v_lshlrev_b32_e32 v11, 16, v14
	v_lshlrev_b32_e32 v14, 16, v18
	;; [unrolled: 1-line block ×3, first 2 shown]
	s_waitcnt vmcnt(1)
	v_lshlrev_b32_e32 v20, 16, v24
	v_lshlrev_b32_e32 v10, 16, v10
	;; [unrolled: 1-line block ×5, first 2 shown]
	ds_bpermute_b32 v26, v13, v0
	s_waitcnt lgkmcnt(0)
	v_cndmask_b32_e64 v12, v26, -v26, vcc_lo
	s_delay_alu instid0(VALU_DEP_1)
	v_mul_f32_e32 v10, v12, v10
	ds_bpermute_b32 v27, v13, v1
	ds_bpermute_b32 v28, v13, v2
	;; [unrolled: 1-line block ×7, first 2 shown]
	s_waitcnt lgkmcnt(6)
	v_cndmask_b32_e64 v26, v27, -v27, vcc_lo
	s_waitcnt lgkmcnt(5)
	v_cndmask_b32_e64 v27, v28, -v28, vcc_lo
	;; [unrolled: 2-line block ×7, first 2 shown]
	v_lshlrev_b32_e32 v33, 16, v41
	v_lshlrev_b32_e32 v13, 16, v16
	;; [unrolled: 1-line block ×3, first 2 shown]
	s_delay_alu instid0(VALU_DEP_2) | instskip(SKIP_1) | instid1(VALU_DEP_3)
	v_dual_mul_f32 v12, v27, v13 :: v_dual_mul_f32 v13, v28, v14
	v_mul_f32_e32 v14, v29, v15
	v_dual_fmac_f32 v10, v0, v33 :: v_dual_mul_f32 v15, v30, v16
	v_mul_f32_e32 v16, v31, v17
	s_waitcnt vmcnt(0)
	v_lshlrev_b32_e32 v21, 16, v25
	v_mul_f32_e32 v11, v26, v11
	v_dual_fmac_f32 v15, v5, v18 :: v_dual_fmac_f32 v12, v2, v36
	v_dual_fmac_f32 v13, v3, v37 :: v_dual_lshlrev_b32 v34, 16, v42
	s_delay_alu instid0(VALU_DEP_4) | instskip(NEXT) | instid1(VALU_DEP_2)
	v_mul_f32_e32 v17, v32, v21
	v_dual_fmac_f32 v11, v1, v35 :: v_dual_fmac_f32 v14, v4, v34
	s_delay_alu instid0(VALU_DEP_2) | instskip(SKIP_1) | instid1(VALU_DEP_1)
	v_fmac_f32_e32 v17, v7, v20
	v_lshlrev_b32_e32 v19, 16, v22
	v_fmac_f32_e32 v16, v6, v19
	s_delay_alu instid0(VALU_DEP_4) | instskip(SKIP_2) | instid1(VALU_DEP_4)
	v_dual_mov_b32 v0, v10 :: v_dual_mov_b32 v1, v11
	v_dual_mov_b32 v2, v12 :: v_dual_mov_b32 v5, v15
	;; [unrolled: 1-line block ×4, first 2 shown]
.LBB125_3:
	s_or_b32 exec_lo, exec_lo, s0
	v_and_b32_e32 v10, 0x7f800000, v0
	s_delay_alu instid0(VALU_DEP_1) | instskip(SKIP_1) | instid1(SALU_CYCLE_1)
	v_cmp_ne_u32_e32 vcc_lo, 0x7f800000, v10
                                        ; implicit-def: $vgpr10
	s_and_saveexec_b32 s0, vcc_lo
	s_xor_b32 s0, exec_lo, s0
; %bb.4:
	v_bfe_u32 v10, v0, 16, 1
	s_delay_alu instid0(VALU_DEP_1)
	v_add3_u32 v10, v0, v10, 0x7fff
; %bb.5:
	s_and_not1_saveexec_b32 s0, s0
; %bb.6:
	v_and_b32_e32 v10, 0xffff, v0
	v_or_b32_e32 v11, 0x10000, v0
	s_delay_alu instid0(VALU_DEP_2) | instskip(NEXT) | instid1(VALU_DEP_2)
	v_cmp_eq_u32_e32 vcc_lo, 0, v10
	v_cndmask_b32_e32 v10, v11, v0, vcc_lo
; %bb.7:
	s_or_b32 exec_lo, exec_lo, s0
	v_and_b32_e32 v0, 0x7f800000, v1
	s_mov_b32 s0, exec_lo
                                        ; implicit-def: $vgpr11
	s_delay_alu instid0(VALU_DEP_1)
	v_cmpx_ne_u32_e32 0x7f800000, v0
	s_xor_b32 s0, exec_lo, s0
; %bb.8:
	v_bfe_u32 v0, v1, 16, 1
	s_delay_alu instid0(VALU_DEP_1)
	v_add3_u32 v11, v1, v0, 0x7fff
; %bb.9:
	s_and_not1_saveexec_b32 s0, s0
; %bb.10:
	v_and_b32_e32 v0, 0xffff, v1
	v_or_b32_e32 v11, 0x10000, v1
	s_delay_alu instid0(VALU_DEP_2) | instskip(NEXT) | instid1(VALU_DEP_2)
	v_cmp_eq_u32_e32 vcc_lo, 0, v0
	v_cndmask_b32_e32 v11, v11, v1, vcc_lo
; %bb.11:
	s_or_b32 exec_lo, exec_lo, s0
	v_and_b32_e32 v0, 0x7f800000, v2
	s_mov_b32 s0, exec_lo
                                        ; implicit-def: $vgpr12
	s_delay_alu instid0(VALU_DEP_1)
	v_cmpx_ne_u32_e32 0x7f800000, v0
	s_xor_b32 s0, exec_lo, s0
; %bb.12:
	v_bfe_u32 v0, v2, 16, 1
	s_delay_alu instid0(VALU_DEP_1)
	v_add3_u32 v12, v2, v0, 0x7fff
; %bb.13:
	s_and_not1_saveexec_b32 s0, s0
; %bb.14:
	v_and_b32_e32 v0, 0xffff, v2
	v_or_b32_e32 v1, 0x10000, v2
	s_delay_alu instid0(VALU_DEP_2) | instskip(NEXT) | instid1(VALU_DEP_2)
	v_cmp_eq_u32_e32 vcc_lo, 0, v0
	v_cndmask_b32_e32 v12, v1, v2, vcc_lo
; %bb.15:
	s_or_b32 exec_lo, exec_lo, s0
	v_and_b32_e32 v0, 0x7f800000, v3
	s_mov_b32 s0, exec_lo
                                        ; implicit-def: $vgpr13
	s_delay_alu instid0(VALU_DEP_1)
	v_cmpx_ne_u32_e32 0x7f800000, v0
	s_xor_b32 s0, exec_lo, s0
; %bb.16:
	v_bfe_u32 v0, v3, 16, 1
	s_delay_alu instid0(VALU_DEP_1)
	v_add3_u32 v13, v3, v0, 0x7fff
; %bb.17:
	s_and_not1_saveexec_b32 s0, s0
; %bb.18:
	v_and_b32_e32 v0, 0xffff, v3
	v_or_b32_e32 v1, 0x10000, v3
	s_delay_alu instid0(VALU_DEP_2) | instskip(NEXT) | instid1(VALU_DEP_2)
	v_cmp_eq_u32_e32 vcc_lo, 0, v0
	v_cndmask_b32_e32 v13, v1, v3, vcc_lo
; %bb.19:
	s_or_b32 exec_lo, exec_lo, s0
	v_and_b32_e32 v0, 0x7f800000, v4
	s_mov_b32 s0, exec_lo
                                        ; implicit-def: $vgpr14
	s_delay_alu instid0(VALU_DEP_1)
	v_cmpx_ne_u32_e32 0x7f800000, v0
	s_xor_b32 s0, exec_lo, s0
; %bb.20:
	v_bfe_u32 v0, v4, 16, 1
	s_delay_alu instid0(VALU_DEP_1)
	v_add3_u32 v14, v4, v0, 0x7fff
; %bb.21:
	s_and_not1_saveexec_b32 s0, s0
; %bb.22:
	v_and_b32_e32 v0, 0xffff, v4
	v_or_b32_e32 v1, 0x10000, v4
	s_delay_alu instid0(VALU_DEP_2) | instskip(NEXT) | instid1(VALU_DEP_2)
	v_cmp_eq_u32_e32 vcc_lo, 0, v0
	v_cndmask_b32_e32 v14, v1, v4, vcc_lo
; %bb.23:
	s_or_b32 exec_lo, exec_lo, s0
	v_and_b32_e32 v0, 0x7f800000, v5
	s_mov_b32 s0, exec_lo
                                        ; implicit-def: $vgpr15
	s_delay_alu instid0(VALU_DEP_1)
	v_cmpx_ne_u32_e32 0x7f800000, v0
	s_xor_b32 s0, exec_lo, s0
; %bb.24:
	v_bfe_u32 v0, v5, 16, 1
	s_delay_alu instid0(VALU_DEP_1)
	v_add3_u32 v15, v5, v0, 0x7fff
; %bb.25:
	s_and_not1_saveexec_b32 s0, s0
; %bb.26:
	v_and_b32_e32 v0, 0xffff, v5
	v_or_b32_e32 v1, 0x10000, v5
	s_delay_alu instid0(VALU_DEP_2) | instskip(NEXT) | instid1(VALU_DEP_2)
	v_cmp_eq_u32_e32 vcc_lo, 0, v0
	v_cndmask_b32_e32 v15, v1, v5, vcc_lo
; %bb.27:
	s_or_b32 exec_lo, exec_lo, s0
	v_and_b32_e32 v0, 0x7f800000, v6
	s_mov_b32 s0, exec_lo
                                        ; implicit-def: $vgpr16
	s_delay_alu instid0(VALU_DEP_1)
	v_cmpx_ne_u32_e32 0x7f800000, v0
	s_xor_b32 s0, exec_lo, s0
; %bb.28:
	v_bfe_u32 v0, v6, 16, 1
	s_delay_alu instid0(VALU_DEP_1)
	v_add3_u32 v16, v6, v0, 0x7fff
; %bb.29:
	s_and_not1_saveexec_b32 s0, s0
; %bb.30:
	v_and_b32_e32 v0, 0xffff, v6
	v_or_b32_e32 v1, 0x10000, v6
	s_delay_alu instid0(VALU_DEP_2) | instskip(NEXT) | instid1(VALU_DEP_2)
	v_cmp_eq_u32_e32 vcc_lo, 0, v0
	v_cndmask_b32_e32 v16, v1, v6, vcc_lo
; %bb.31:
	s_or_b32 exec_lo, exec_lo, s0
	v_and_b32_e32 v0, 0x7f800000, v7
	s_mov_b32 s0, exec_lo
                                        ; implicit-def: $vgpr17
	s_delay_alu instid0(VALU_DEP_1)
	v_cmpx_ne_u32_e32 0x7f800000, v0
	s_xor_b32 s0, exec_lo, s0
; %bb.32:
	v_bfe_u32 v0, v7, 16, 1
	s_delay_alu instid0(VALU_DEP_1)
	v_add3_u32 v17, v7, v0, 0x7fff
                                        ; implicit-def: $vgpr0_vgpr1_vgpr2_vgpr3_vgpr4_vgpr5_vgpr6_vgpr7
; %bb.33:
	s_and_not1_saveexec_b32 s0, s0
; %bb.34:
	v_and_b32_e32 v0, 0xffff, v7
	v_or_b32_e32 v1, 0x10000, v7
	s_delay_alu instid0(VALU_DEP_2) | instskip(NEXT) | instid1(VALU_DEP_2)
	v_cmp_eq_u32_e32 vcc_lo, 0, v0
	v_cndmask_b32_e32 v17, v1, v7, vcc_lo
; %bb.35:
	s_or_b32 exec_lo, exec_lo, s0
	s_delay_alu instid0(VALU_DEP_1)
	v_perm_b32 v3, v17, v16, 0x7060302
	v_perm_b32 v2, v15, v14, 0x7060302
	;; [unrolled: 1-line block ×4, first 2 shown]
	global_store_b128 v[8:9], v[0:3], off
.LBB125_36:
	s_nop 0
	s_sendmsg sendmsg(MSG_DEALLOC_VGPRS)
	s_endpgm
	.section	.rodata,"a",@progbits
	.p2align	6, 0x0
	.amdhsa_kernel _ZN12tensorrt_llm7kernels21fusedQKNormRopeKernelIN3c108BFloat16ES3_Li256ELb0EEEvPviiifPKvS6_S6_PKlii
		.amdhsa_group_segment_fixed_size 0
		.amdhsa_private_segment_fixed_size 0
		.amdhsa_kernarg_size 320
		.amdhsa_user_sgpr_count 15
		.amdhsa_user_sgpr_dispatch_ptr 0
		.amdhsa_user_sgpr_queue_ptr 0
		.amdhsa_user_sgpr_kernarg_segment_ptr 1
		.amdhsa_user_sgpr_dispatch_id 0
		.amdhsa_user_sgpr_private_segment_size 0
		.amdhsa_wavefront_size32 1
		.amdhsa_uses_dynamic_stack 0
		.amdhsa_enable_private_segment 0
		.amdhsa_system_sgpr_workgroup_id_x 1
		.amdhsa_system_sgpr_workgroup_id_y 0
		.amdhsa_system_sgpr_workgroup_id_z 0
		.amdhsa_system_sgpr_workgroup_info 0
		.amdhsa_system_vgpr_workitem_id 0
		.amdhsa_next_free_vgpr 43
		.amdhsa_next_free_sgpr 16
		.amdhsa_reserve_vcc 1
		.amdhsa_float_round_mode_32 0
		.amdhsa_float_round_mode_16_64 0
		.amdhsa_float_denorm_mode_32 3
		.amdhsa_float_denorm_mode_16_64 3
		.amdhsa_dx10_clamp 1
		.amdhsa_ieee_mode 1
		.amdhsa_fp16_overflow 0
		.amdhsa_workgroup_processor_mode 1
		.amdhsa_memory_ordered 1
		.amdhsa_forward_progress 0
		.amdhsa_shared_vgpr_count 0
		.amdhsa_exception_fp_ieee_invalid_op 0
		.amdhsa_exception_fp_denorm_src 0
		.amdhsa_exception_fp_ieee_div_zero 0
		.amdhsa_exception_fp_ieee_overflow 0
		.amdhsa_exception_fp_ieee_underflow 0
		.amdhsa_exception_fp_ieee_inexact 0
		.amdhsa_exception_int_div_zero 0
	.end_amdhsa_kernel
	.section	.text._ZN12tensorrt_llm7kernels21fusedQKNormRopeKernelIN3c108BFloat16ES3_Li256ELb0EEEvPviiifPKvS6_S6_PKlii,"axG",@progbits,_ZN12tensorrt_llm7kernels21fusedQKNormRopeKernelIN3c108BFloat16ES3_Li256ELb0EEEvPviiifPKvS6_S6_PKlii,comdat
.Lfunc_end125:
	.size	_ZN12tensorrt_llm7kernels21fusedQKNormRopeKernelIN3c108BFloat16ES3_Li256ELb0EEEvPviiifPKvS6_S6_PKlii, .Lfunc_end125-_ZN12tensorrt_llm7kernels21fusedQKNormRopeKernelIN3c108BFloat16ES3_Li256ELb0EEEvPviiifPKvS6_S6_PKlii
                                        ; -- End function
	.section	.AMDGPU.csdata,"",@progbits
; Kernel info:
; codeLenInByte = 3064
; NumSgprs: 18
; NumVgprs: 43
; ScratchSize: 0
; MemoryBound: 0
; FloatMode: 240
; IeeeMode: 1
; LDSByteSize: 0 bytes/workgroup (compile time only)
; SGPRBlocks: 2
; VGPRBlocks: 5
; NumSGPRsForWavesPerEU: 18
; NumVGPRsForWavesPerEU: 43
; Occupancy: 16
; WaveLimiterHint : 1
; COMPUTE_PGM_RSRC2:SCRATCH_EN: 0
; COMPUTE_PGM_RSRC2:USER_SGPR: 15
; COMPUTE_PGM_RSRC2:TRAP_HANDLER: 0
; COMPUTE_PGM_RSRC2:TGID_X_EN: 1
; COMPUTE_PGM_RSRC2:TGID_Y_EN: 0
; COMPUTE_PGM_RSRC2:TGID_Z_EN: 0
; COMPUTE_PGM_RSRC2:TIDIG_COMP_CNT: 0
	.section	.text._ZN12tensorrt_llm7kernels32fusedQKNormRopeKernelNTokenHeadsIN3c108BFloat16ES3_Li64ELb1ELi2EEEvPviiifPKvS6_S6_PKlii,"axG",@progbits,_ZN12tensorrt_llm7kernels32fusedQKNormRopeKernelNTokenHeadsIN3c108BFloat16ES3_Li64ELb1ELi2EEEvPviiifPKvS6_S6_PKlii,comdat
	.protected	_ZN12tensorrt_llm7kernels32fusedQKNormRopeKernelNTokenHeadsIN3c108BFloat16ES3_Li64ELb1ELi2EEEvPviiifPKvS6_S6_PKlii ; -- Begin function _ZN12tensorrt_llm7kernels32fusedQKNormRopeKernelNTokenHeadsIN3c108BFloat16ES3_Li64ELb1ELi2EEEvPviiifPKvS6_S6_PKlii
	.globl	_ZN12tensorrt_llm7kernels32fusedQKNormRopeKernelNTokenHeadsIN3c108BFloat16ES3_Li64ELb1ELi2EEEvPviiifPKvS6_S6_PKlii
	.p2align	8
	.type	_ZN12tensorrt_llm7kernels32fusedQKNormRopeKernelNTokenHeadsIN3c108BFloat16ES3_Li64ELb1ELi2EEEvPviiifPKvS6_S6_PKlii,@function
_ZN12tensorrt_llm7kernels32fusedQKNormRopeKernelNTokenHeadsIN3c108BFloat16ES3_Li64ELb1ELi2EEEvPviiifPKvS6_S6_PKlii: ; @_ZN12tensorrt_llm7kernels32fusedQKNormRopeKernelNTokenHeadsIN3c108BFloat16ES3_Li64ELb1ELi2EEEvPviiifPKvS6_S6_PKlii
; %bb.0:
	s_clause 0x1
	s_load_b128 s[16:19], s[0:1], 0x8
	s_load_b64 s[2:3], s[0:1], 0x38
	v_lshrrev_b32_e32 v2, 5, v0
	s_waitcnt lgkmcnt(0)
	s_add_i32 s4, s17, s16
	s_delay_alu instid0(SALU_CYCLE_1) | instskip(NEXT) | instid1(SALU_CYCLE_1)
	s_add_i32 s5, s4, 1
	s_lshr_b32 s6, s5, 31
	s_delay_alu instid0(SALU_CYCLE_1) | instskip(NEXT) | instid1(SALU_CYCLE_1)
	s_add_i32 s5, s5, s6
	s_ashr_i32 s14, s5, 1
	s_load_b32 s5, s[0:1], 0x4c
	s_abs_i32 s6, s14
	s_delay_alu instid0(SALU_CYCLE_1) | instskip(SKIP_1) | instid1(VALU_DEP_1)
	v_cvt_f32_u32_e32 v1, s6
	s_sub_i32 s7, 0, s6
	v_rcp_iflag_f32_e32 v1, v1
	s_waitcnt_depctr 0xfff
	v_mul_f32_e32 v1, 0x4f7ffffe, v1
	s_waitcnt lgkmcnt(0)
	s_bfe_u32 s5, s5, 0xb0005
	s_delay_alu instid0(SALU_CYCLE_1) | instskip(NEXT) | instid1(VALU_DEP_2)
	v_mad_u64_u32 v[3:4], null, s15, s5, v[2:3]
	v_cvt_u32_f32_e32 v1, v1
	s_delay_alu instid0(VALU_DEP_1) | instskip(NEXT) | instid1(VALU_DEP_1)
	v_mul_lo_u32 v5, s7, v1
	v_mul_hi_u32 v4, v1, v5
	s_delay_alu instid0(VALU_DEP_4) | instskip(NEXT) | instid1(VALU_DEP_1)
	v_sub_nc_u32_e32 v5, 0, v3
	v_max_i32_e32 v5, v3, v5
	s_delay_alu instid0(VALU_DEP_3) | instskip(NEXT) | instid1(VALU_DEP_1)
	v_add_nc_u32_e32 v1, v1, v4
	v_mul_hi_u32 v1, v5, v1
	s_delay_alu instid0(VALU_DEP_1) | instskip(NEXT) | instid1(VALU_DEP_1)
	v_mul_lo_u32 v4, v1, s6
	v_sub_nc_u32_e32 v4, v5, v4
	v_add_nc_u32_e32 v5, 1, v1
	s_delay_alu instid0(VALU_DEP_2) | instskip(SKIP_1) | instid1(VALU_DEP_2)
	v_subrev_nc_u32_e32 v6, s6, v4
	v_cmp_le_u32_e32 vcc_lo, s6, v4
	v_dual_cndmask_b32 v4, v4, v6 :: v_dual_cndmask_b32 v1, v1, v5
	v_xor_b32_e32 v5, s14, v3
	s_delay_alu instid0(VALU_DEP_2) | instskip(NEXT) | instid1(VALU_DEP_3)
	v_cmp_le_u32_e32 vcc_lo, s6, v4
	v_add_nc_u32_e32 v6, 1, v1
	s_delay_alu instid0(VALU_DEP_3) | instskip(NEXT) | instid1(VALU_DEP_2)
	v_ashrrev_i32_e32 v5, 31, v5
	v_cndmask_b32_e32 v1, v1, v6, vcc_lo
	s_delay_alu instid0(VALU_DEP_1) | instskip(NEXT) | instid1(VALU_DEP_1)
	v_xor_b32_e32 v1, v1, v5
	v_sub_nc_u32_e32 v1, v1, v5
	s_delay_alu instid0(VALU_DEP_1)
	v_cmp_gt_i32_e32 vcc_lo, s2, v1
	s_and_saveexec_b32 s2, vcc_lo
	s_cbranch_execz .LBB126_20
; %bb.1:
	v_mul_lo_u32 v4, v1, s14
	s_load_b64 s[12:13], s[0:1], 0x0
	v_and_b32_e32 v7, 31, v0
	v_lshlrev_b32_e32 v8, 8, v2
	v_lshlrev_b32_e32 v0, 7, v3
	s_lshl_b32 s20, s3, 1
	s_delay_alu instid0(VALU_DEP_3) | instskip(SKIP_2) | instid1(VALU_DEP_1)
	v_lshlrev_b32_e32 v9, 2, v7
	v_sub_nc_u32_e32 v4, v3, v4
	s_mul_i32 s15, s20, s5
	v_lshlrev_b32_e32 v5, 1, v4
	s_delay_alu instid0(VALU_DEP_1) | instskip(SKIP_1) | instid1(VALU_DEP_2)
	v_add_nc_u32_e32 v4, 2, v5
	v_sub_nc_u32_e32 v6, s4, v5
	v_cmp_lt_i32_e32 vcc_lo, s4, v4
	s_delay_alu instid0(VALU_DEP_2) | instskip(NEXT) | instid1(VALU_DEP_1)
	v_cndmask_b32_e32 v6, 2, v6, vcc_lo
	v_cmp_lt_i32_e32 vcc_lo, 0, v6
	s_and_saveexec_b32 s4, vcc_lo
	s_cbranch_execz .LBB126_4
; %bb.2:
	s_add_i32 s2, s18, s17
	s_lshl_b32 s5, s14, 1
	s_add_i32 s2, s2, s16
	s_mov_b32 s6, 0
	s_sub_i32 s2, s2, s5
	s_mov_b32 s5, 0
	v_mul_lo_u32 v3, s2, v1
	s_add_i32 s2, s15, 0
	s_delay_alu instid0(SALU_CYCLE_1) | instskip(NEXT) | instid1(VALU_DEP_2)
	v_add3_u32 v10, s2, v8, v9
	v_lshl_add_u32 v3, v3, 6, v0
	s_delay_alu instid0(VALU_DEP_1)
	v_lshl_or_b32 v3, v7, 1, v3
	.p2align	6
.LBB126_3:                              ; =>This Inner Loop Header: Depth=1
	s_delay_alu instid0(VALU_DEP_1) | instskip(SKIP_1) | instid1(VALU_DEP_1)
	v_ashrrev_i32_e32 v4, 31, v3
	s_add_i32 s6, s6, 1
	v_lshlrev_b64 v[11:12], 1, v[3:4]
	v_add_nc_u32_e32 v3, 64, v3
	s_waitcnt lgkmcnt(0)
	s_delay_alu instid0(VALU_DEP_2) | instskip(NEXT) | instid1(VALU_DEP_1)
	v_add_co_u32 v11, s2, s12, v11
	v_add_co_ci_u32_e64 v12, s2, s13, v12, s2
	v_cmp_ge_i32_e64 s2, s6, v6
	global_load_b32 v4, v[11:12], off
	s_or_b32 s5, s2, s5
	s_waitcnt vmcnt(0)
	ds_store_b32 v10, v4
	v_add_nc_u32_e32 v10, 0x80, v10
	s_and_not1_b32 exec_lo, exec_lo, s5
	s_cbranch_execnz .LBB126_3
.LBB126_4:
	s_or_b32 exec_lo, exec_lo, s4
	s_load_b256 s[4:11], s[0:1], 0x18
	v_mul_lo_u32 v2, v2, s3
	s_add_i32 s0, s20, 15
	s_mov_b32 s20, exec_lo
	s_ashr_i32 s1, s0, 31
	s_delay_alu instid0(SALU_CYCLE_1) | instskip(NEXT) | instid1(SALU_CYCLE_1)
	s_lshr_b32 s1, s1, 28
	s_add_i32 s0, s0, s1
	s_delay_alu instid0(VALU_DEP_1) | instskip(SKIP_1) | instid1(SALU_CYCLE_1)
	v_lshlrev_b32_e32 v10, 1, v2
	s_ashr_i32 s2, s0, 4
	v_cmpx_gt_i32_e64 s2, v7
	s_cbranch_execz .LBB126_7
; %bb.5:
	v_ashrrev_i32_e32 v2, 31, v1
	s_delay_alu instid0(VALU_DEP_1) | instskip(SKIP_1) | instid1(VALU_DEP_1)
	v_lshlrev_b64 v[2:3], 3, v[1:2]
	s_waitcnt lgkmcnt(0)
	v_add_co_u32 v2, s0, s10, v2
	s_delay_alu instid0(VALU_DEP_1)
	v_add_co_ci_u32_e64 v3, s0, s11, v3, s0
	s_ashr_i32 s0, s3, 31
	global_load_b64 v[2:3], v[2:3], off
	s_waitcnt vmcnt(0)
	v_mul_lo_u32 v11, v3, s3
	v_mul_lo_u32 v12, v2, s0
	v_mad_u64_u32 v[3:4], null, v2, s3, 0
	s_delay_alu instid0(VALU_DEP_1) | instskip(SKIP_1) | instid1(VALU_DEP_2)
	v_add3_u32 v4, v4, v12, v11
	v_mov_b32_e32 v11, v7
	v_lshlrev_b64 v[2:3], 1, v[3:4]
	v_lshlrev_b32_e32 v4, 4, v7
	s_delay_alu instid0(VALU_DEP_1) | instskip(NEXT) | instid1(VALU_DEP_1)
	v_add_co_u32 v2, s0, v2, v4
	v_add_co_ci_u32_e64 v3, s0, 0, v3, s0
	v_add3_u32 v4, v10, v4, 0
	s_delay_alu instid0(VALU_DEP_3) | instskip(NEXT) | instid1(VALU_DEP_1)
	v_add_co_u32 v2, s0, s8, v2
	v_add_co_ci_u32_e64 v3, s0, s9, v3, s0
	s_mov_b32 s8, 0
	.p2align	6
.LBB126_6:                              ; =>This Inner Loop Header: Depth=1
	global_load_b128 v[12:15], v[2:3], off
	v_add_nc_u32_e32 v11, 32, v11
	v_add_co_u32 v2, s0, 0x200, v2
	s_delay_alu instid0(VALU_DEP_1) | instskip(NEXT) | instid1(VALU_DEP_3)
	v_add_co_ci_u32_e64 v3, s0, 0, v3, s0
	v_cmp_le_i32_e64 s1, s2, v11
	s_delay_alu instid0(VALU_DEP_1)
	s_or_b32 s8, s1, s8
	s_waitcnt vmcnt(0)
	ds_store_b128 v4, v[12:15]
	v_add_nc_u32_e32 v4, 0x200, v4
	s_and_not1_b32 exec_lo, exec_lo, s8
	s_cbranch_execnz .LBB126_6
.LBB126_7:
	s_or_b32 exec_lo, exec_lo, s20
	s_delay_alu instid0(SALU_CYCLE_1)
	s_and_b32 exec_lo, exec_lo, vcc_lo
	s_cbranch_execz .LBB126_20
; %bb.8:
	s_waitcnt lgkmcnt(0)
	s_clause 0x1
	global_load_b32 v3, v9, s[4:5]
	global_load_b32 v4, v9, s[6:7]
	v_mbcnt_lo_u32_b32 v11, -1, 0
	s_lshr_b32 s0, s3, 31
	s_add_i32 s1, s18, s17
	s_lshl_b32 s2, s14, 1
	s_add_i32 s0, s3, s0
	v_xor_b32_e32 v13, 16, v11
	s_add_i32 s1, s1, s16
	s_ashr_i32 s3, s0, 1
	s_and_b32 s4, s0, -2
	s_sub_i32 s0, s1, s2
	v_lshlrev_b32_e32 v2, 1, v7
	v_xor_b32_e32 v14, 8, v11
	v_mul_lo_u32 v1, s0, v1
	v_cmp_gt_i32_e64 s0, 32, v13
	v_add_nc_u32_e32 v12, s15, v8
	v_xor_b32_e32 v15, 4, v11
	v_add3_u32 v8, 0, v10, v2
	v_xor_b32_e32 v16, 2, v11
	v_cndmask_b32_e64 v10, v11, v13, s0
	v_cmp_gt_i32_e64 s0, 32, v14
	v_add3_u32 v9, v12, v9, 0
	v_xor_b32_e32 v17, 1, v11
	v_lshl_add_u32 v0, v1, 6, v0
	v_cmp_le_i32_e32 vcc_lo, s3, v7
	v_cndmask_b32_e64 v12, v11, v14, s0
	v_cmp_gt_i32_e64 s0, 32, v15
	v_add_nc_u32_e32 v7, s4, v8
	v_lshlrev_b32_e32 v10, 2, v10
	v_or_b32_e32 v0, v0, v2
	s_mov_b32 s2, 0
	v_cndmask_b32_e64 v13, v11, v15, s0
	v_cmp_gt_i32_e64 s0, 32, v16
	s_mov_b32 s3, 0
	s_delay_alu instid0(VALU_DEP_1) | instskip(SKIP_1) | instid1(VALU_DEP_1)
	v_cndmask_b32_e64 v14, v11, v16, s0
	v_cmp_gt_i32_e64 s0, 32, v17
	v_cndmask_b32_e64 v15, v11, v17, s0
	v_lshlrev_b32_e32 v11, 2, v12
	v_lshlrev_b32_e32 v12, 2, v13
	;; [unrolled: 1-line block ×3, first 2 shown]
	s_delay_alu instid0(VALU_DEP_4)
	v_lshlrev_b32_e32 v14, 2, v15
	s_waitcnt vmcnt(1)
	v_lshrrev_b32_e32 v15, 16, v3
	s_waitcnt vmcnt(0)
	v_lshrrev_b32_e32 v16, 16, v4
	s_branch .LBB126_10
.LBB126_9:                              ;   in Loop: Header=BB126_10 Depth=1
	s_or_b32 exec_lo, exec_lo, s1
	v_ashrrev_i32_e32 v1, 31, v0
	v_lshrrev_b32_e32 v17, 16, v17
	s_add_i32 s3, s3, 1
	v_add_nc_u32_e32 v9, 0x80, v9
	v_cmp_ge_i32_e64 s0, s3, v6
	v_lshlrev_b64 v[1:2], 1, v[0:1]
	v_and_or_b32 v17, 0xffff0000, v18, v17
	v_add_nc_u32_e32 v0, 64, v0
	s_delay_alu instid0(VALU_DEP_4) | instskip(NEXT) | instid1(VALU_DEP_3)
	s_or_b32 s2, s0, s2
	v_add_co_u32 v1, s1, s12, v1
	s_delay_alu instid0(VALU_DEP_1)
	v_add_co_ci_u32_e64 v2, s1, s13, v2, s1
	global_store_b32 v[1:2], v17, off
	s_and_not1_b32 exec_lo, exec_lo, s2
	s_cbranch_execz .LBB126_20
.LBB126_10:                             ; =>This Inner Loop Header: Depth=1
	ds_load_b32 v1, v9
	s_waitcnt lgkmcnt(0)
	v_lshlrev_b32_e32 v17, 16, v1
	v_and_b32_e32 v1, 0xffff0000, v1
	s_delay_alu instid0(VALU_DEP_2) | instskip(NEXT) | instid1(VALU_DEP_1)
	v_mul_f32_e32 v2, v17, v17
	v_fmac_f32_e32 v2, v1, v1
	ds_bpermute_b32 v18, v10, v2
	s_waitcnt lgkmcnt(0)
	v_add_f32_e32 v2, v2, v18
	ds_bpermute_b32 v18, v11, v2
	s_waitcnt lgkmcnt(0)
	v_add_f32_e32 v2, v2, v18
	;; [unrolled: 3-line block ×5, first 2 shown]
	s_delay_alu instid0(VALU_DEP_1) | instskip(NEXT) | instid1(VALU_DEP_1)
	v_fma_f32 v2, 0x3c800000, v2, s19
	v_mul_f32_e32 v18, 0x4b800000, v2
	v_cmp_gt_f32_e64 s0, 0x800000, v2
	s_delay_alu instid0(VALU_DEP_1) | instskip(NEXT) | instid1(VALU_DEP_1)
	v_cndmask_b32_e64 v2, v2, v18, s0
	v_rsq_f32_e32 v2, v2
	s_waitcnt_depctr 0xfff
	v_dual_mul_f32 v19, 0x45800000, v2 :: v_dual_add_nc_u32 v18, s3, v5
	s_delay_alu instid0(VALU_DEP_1) | instskip(NEXT) | instid1(VALU_DEP_2)
	v_cmp_gt_i32_e64 s1, s16, v18
	v_cndmask_b32_e64 v2, v2, v19, s0
	s_delay_alu instid0(VALU_DEP_2) | instskip(SKIP_1) | instid1(VALU_DEP_2)
	v_cndmask_b32_e64 v18, v16, v15, s1
	v_cndmask_b32_e64 v20, v4, v3, s1
	v_lshlrev_b32_e32 v18, 16, v18
	s_delay_alu instid0(VALU_DEP_1) | instskip(NEXT) | instid1(VALU_DEP_1)
	v_dual_mul_f32 v18, v2, v18 :: v_dual_lshlrev_b32 v19, 16, v20
	v_mul_f32_e32 v19, v2, v19
	s_delay_alu instid0(VALU_DEP_2) | instskip(NEXT) | instid1(VALU_DEP_2)
	v_mul_f32_e32 v2, v18, v1
	v_mul_f32_e32 v1, v19, v17
	s_and_saveexec_b32 s0, vcc_lo
	s_delay_alu instid0(SALU_CYCLE_1) | instskip(NEXT) | instid1(SALU_CYCLE_1)
	s_xor_b32 s0, exec_lo, s0
	s_and_not1_saveexec_b32 s0, s0
	s_cbranch_execz .LBB126_12
; %bb.11:                               ;   in Loop: Header=BB126_10 Depth=1
	ds_load_u16 v17, v7
	ds_load_u16 v18, v8
	s_waitcnt lgkmcnt(1)
	v_lshlrev_b32_e32 v19, 16, v17
	s_waitcnt lgkmcnt(0)
	s_delay_alu instid0(VALU_DEP_1) | instskip(NEXT) | instid1(VALU_DEP_1)
	v_dual_mul_f32 v20, v2, v19 :: v_dual_lshlrev_b32 v17, 16, v18
	v_mul_f32_e32 v18, v2, v17
	s_delay_alu instid0(VALU_DEP_2) | instskip(NEXT) | instid1(VALU_DEP_2)
	v_fma_f32 v17, v1, v17, -v20
	v_fmac_f32_e32 v18, v1, v19
	s_delay_alu instid0(VALU_DEP_1)
	v_dual_mov_b32 v1, v17 :: v_dual_mov_b32 v2, v18
.LBB126_12:                             ;   in Loop: Header=BB126_10 Depth=1
	s_or_b32 exec_lo, exec_lo, s0
	s_delay_alu instid0(VALU_DEP_1) | instskip(NEXT) | instid1(VALU_DEP_1)
	v_and_b32_e32 v17, 0x7f800000, v1
	v_cmp_ne_u32_e64 s0, 0x7f800000, v17
                                        ; implicit-def: $vgpr17
	s_delay_alu instid0(VALU_DEP_1) | instskip(NEXT) | instid1(SALU_CYCLE_1)
	s_and_saveexec_b32 s1, s0
	s_xor_b32 s0, exec_lo, s1
; %bb.13:                               ;   in Loop: Header=BB126_10 Depth=1
	v_bfe_u32 v17, v1, 16, 1
	s_delay_alu instid0(VALU_DEP_1)
	v_add3_u32 v17, v1, v17, 0x7fff
; %bb.14:                               ;   in Loop: Header=BB126_10 Depth=1
	s_and_not1_saveexec_b32 s1, s0
; %bb.15:                               ;   in Loop: Header=BB126_10 Depth=1
	v_and_b32_e32 v17, 0xffff, v1
	v_or_b32_e32 v18, 0x10000, v1
	s_delay_alu instid0(VALU_DEP_2) | instskip(NEXT) | instid1(VALU_DEP_1)
	v_cmp_eq_u32_e64 s0, 0, v17
	v_cndmask_b32_e64 v17, v18, v1, s0
; %bb.16:                               ;   in Loop: Header=BB126_10 Depth=1
	s_or_b32 exec_lo, exec_lo, s1
	v_and_b32_e32 v1, 0x7f800000, v2
                                        ; implicit-def: $vgpr18
	s_delay_alu instid0(VALU_DEP_1) | instskip(NEXT) | instid1(VALU_DEP_1)
	v_cmp_ne_u32_e64 s0, 0x7f800000, v1
	s_and_saveexec_b32 s1, s0
	s_delay_alu instid0(SALU_CYCLE_1)
	s_xor_b32 s0, exec_lo, s1
; %bb.17:                               ;   in Loop: Header=BB126_10 Depth=1
	v_bfe_u32 v1, v2, 16, 1
	s_delay_alu instid0(VALU_DEP_1)
	v_add3_u32 v18, v2, v1, 0x7fff
                                        ; implicit-def: $vgpr1_vgpr2
; %bb.18:                               ;   in Loop: Header=BB126_10 Depth=1
	s_and_not1_saveexec_b32 s1, s0
	s_cbranch_execz .LBB126_9
; %bb.19:                               ;   in Loop: Header=BB126_10 Depth=1
	v_and_b32_e32 v1, 0xffff, v2
	v_or_b32_e32 v18, 0x10000, v2
	s_delay_alu instid0(VALU_DEP_2) | instskip(NEXT) | instid1(VALU_DEP_1)
	v_cmp_eq_u32_e64 s0, 0, v1
	v_cndmask_b32_e64 v18, v18, v2, s0
	s_branch .LBB126_9
.LBB126_20:
	s_nop 0
	s_sendmsg sendmsg(MSG_DEALLOC_VGPRS)
	s_endpgm
	.section	.rodata,"a",@progbits
	.p2align	6, 0x0
	.amdhsa_kernel _ZN12tensorrt_llm7kernels32fusedQKNormRopeKernelNTokenHeadsIN3c108BFloat16ES3_Li64ELb1ELi2EEEvPviiifPKvS6_S6_PKlii
		.amdhsa_group_segment_fixed_size 0
		.amdhsa_private_segment_fixed_size 0
		.amdhsa_kernarg_size 320
		.amdhsa_user_sgpr_count 15
		.amdhsa_user_sgpr_dispatch_ptr 0
		.amdhsa_user_sgpr_queue_ptr 0
		.amdhsa_user_sgpr_kernarg_segment_ptr 1
		.amdhsa_user_sgpr_dispatch_id 0
		.amdhsa_user_sgpr_private_segment_size 0
		.amdhsa_wavefront_size32 1
		.amdhsa_uses_dynamic_stack 0
		.amdhsa_enable_private_segment 0
		.amdhsa_system_sgpr_workgroup_id_x 1
		.amdhsa_system_sgpr_workgroup_id_y 0
		.amdhsa_system_sgpr_workgroup_id_z 0
		.amdhsa_system_sgpr_workgroup_info 0
		.amdhsa_system_vgpr_workitem_id 0
		.amdhsa_next_free_vgpr 21
		.amdhsa_next_free_sgpr 21
		.amdhsa_reserve_vcc 1
		.amdhsa_float_round_mode_32 0
		.amdhsa_float_round_mode_16_64 0
		.amdhsa_float_denorm_mode_32 3
		.amdhsa_float_denorm_mode_16_64 3
		.amdhsa_dx10_clamp 1
		.amdhsa_ieee_mode 1
		.amdhsa_fp16_overflow 0
		.amdhsa_workgroup_processor_mode 1
		.amdhsa_memory_ordered 1
		.amdhsa_forward_progress 0
		.amdhsa_shared_vgpr_count 0
		.amdhsa_exception_fp_ieee_invalid_op 0
		.amdhsa_exception_fp_denorm_src 0
		.amdhsa_exception_fp_ieee_div_zero 0
		.amdhsa_exception_fp_ieee_overflow 0
		.amdhsa_exception_fp_ieee_underflow 0
		.amdhsa_exception_fp_ieee_inexact 0
		.amdhsa_exception_int_div_zero 0
	.end_amdhsa_kernel
	.section	.text._ZN12tensorrt_llm7kernels32fusedQKNormRopeKernelNTokenHeadsIN3c108BFloat16ES3_Li64ELb1ELi2EEEvPviiifPKvS6_S6_PKlii,"axG",@progbits,_ZN12tensorrt_llm7kernels32fusedQKNormRopeKernelNTokenHeadsIN3c108BFloat16ES3_Li64ELb1ELi2EEEvPviiifPKvS6_S6_PKlii,comdat
.Lfunc_end126:
	.size	_ZN12tensorrt_llm7kernels32fusedQKNormRopeKernelNTokenHeadsIN3c108BFloat16ES3_Li64ELb1ELi2EEEvPviiifPKvS6_S6_PKlii, .Lfunc_end126-_ZN12tensorrt_llm7kernels32fusedQKNormRopeKernelNTokenHeadsIN3c108BFloat16ES3_Li64ELb1ELi2EEEvPviiifPKvS6_S6_PKlii
                                        ; -- End function
	.section	.AMDGPU.csdata,"",@progbits
; Kernel info:
; codeLenInByte = 1792
; NumSgprs: 23
; NumVgprs: 21
; ScratchSize: 0
; MemoryBound: 0
; FloatMode: 240
; IeeeMode: 1
; LDSByteSize: 0 bytes/workgroup (compile time only)
; SGPRBlocks: 2
; VGPRBlocks: 2
; NumSGPRsForWavesPerEU: 23
; NumVGPRsForWavesPerEU: 21
; Occupancy: 16
; WaveLimiterHint : 0
; COMPUTE_PGM_RSRC2:SCRATCH_EN: 0
; COMPUTE_PGM_RSRC2:USER_SGPR: 15
; COMPUTE_PGM_RSRC2:TRAP_HANDLER: 0
; COMPUTE_PGM_RSRC2:TGID_X_EN: 1
; COMPUTE_PGM_RSRC2:TGID_Y_EN: 0
; COMPUTE_PGM_RSRC2:TGID_Z_EN: 0
; COMPUTE_PGM_RSRC2:TIDIG_COMP_CNT: 0
	.section	.text._ZN12tensorrt_llm7kernels32fusedQKNormRopeKernelNTokenHeadsIN3c108BFloat16ES3_Li64ELb0ELi2EEEvPviiifPKvS6_S6_PKlii,"axG",@progbits,_ZN12tensorrt_llm7kernels32fusedQKNormRopeKernelNTokenHeadsIN3c108BFloat16ES3_Li64ELb0ELi2EEEvPviiifPKvS6_S6_PKlii,comdat
	.protected	_ZN12tensorrt_llm7kernels32fusedQKNormRopeKernelNTokenHeadsIN3c108BFloat16ES3_Li64ELb0ELi2EEEvPviiifPKvS6_S6_PKlii ; -- Begin function _ZN12tensorrt_llm7kernels32fusedQKNormRopeKernelNTokenHeadsIN3c108BFloat16ES3_Li64ELb0ELi2EEEvPviiifPKvS6_S6_PKlii
	.globl	_ZN12tensorrt_llm7kernels32fusedQKNormRopeKernelNTokenHeadsIN3c108BFloat16ES3_Li64ELb0ELi2EEEvPviiifPKvS6_S6_PKlii
	.p2align	8
	.type	_ZN12tensorrt_llm7kernels32fusedQKNormRopeKernelNTokenHeadsIN3c108BFloat16ES3_Li64ELb0ELi2EEEvPviiifPKvS6_S6_PKlii,@function
_ZN12tensorrt_llm7kernels32fusedQKNormRopeKernelNTokenHeadsIN3c108BFloat16ES3_Li64ELb0ELi2EEEvPviiifPKvS6_S6_PKlii: ; @_ZN12tensorrt_llm7kernels32fusedQKNormRopeKernelNTokenHeadsIN3c108BFloat16ES3_Li64ELb0ELi2EEEvPviiifPKvS6_S6_PKlii
; %bb.0:
	s_clause 0x1
	s_load_b128 s[16:19], s[0:1], 0x8
	s_load_b64 s[2:3], s[0:1], 0x38
	v_lshrrev_b32_e32 v2, 5, v0
	s_waitcnt lgkmcnt(0)
	s_add_i32 s4, s17, s16
	s_delay_alu instid0(SALU_CYCLE_1) | instskip(NEXT) | instid1(SALU_CYCLE_1)
	s_add_i32 s5, s4, 1
	s_lshr_b32 s6, s5, 31
	s_delay_alu instid0(SALU_CYCLE_1) | instskip(NEXT) | instid1(SALU_CYCLE_1)
	s_add_i32 s5, s5, s6
	s_ashr_i32 s14, s5, 1
	s_load_b32 s5, s[0:1], 0x4c
	s_abs_i32 s6, s14
	s_delay_alu instid0(SALU_CYCLE_1) | instskip(SKIP_1) | instid1(VALU_DEP_1)
	v_cvt_f32_u32_e32 v1, s6
	s_sub_i32 s7, 0, s6
	v_rcp_iflag_f32_e32 v1, v1
	s_waitcnt_depctr 0xfff
	v_mul_f32_e32 v1, 0x4f7ffffe, v1
	s_waitcnt lgkmcnt(0)
	s_bfe_u32 s5, s5, 0xb0005
	s_delay_alu instid0(SALU_CYCLE_1) | instskip(NEXT) | instid1(VALU_DEP_2)
	v_mad_u64_u32 v[3:4], null, s15, s5, v[2:3]
	v_cvt_u32_f32_e32 v1, v1
	s_delay_alu instid0(VALU_DEP_1) | instskip(NEXT) | instid1(VALU_DEP_1)
	v_mul_lo_u32 v5, s7, v1
	v_mul_hi_u32 v4, v1, v5
	s_delay_alu instid0(VALU_DEP_4) | instskip(NEXT) | instid1(VALU_DEP_1)
	v_sub_nc_u32_e32 v5, 0, v3
	v_max_i32_e32 v5, v3, v5
	s_delay_alu instid0(VALU_DEP_3) | instskip(NEXT) | instid1(VALU_DEP_1)
	v_add_nc_u32_e32 v1, v1, v4
	v_mul_hi_u32 v1, v5, v1
	s_delay_alu instid0(VALU_DEP_1) | instskip(NEXT) | instid1(VALU_DEP_1)
	v_mul_lo_u32 v4, v1, s6
	v_sub_nc_u32_e32 v4, v5, v4
	v_add_nc_u32_e32 v5, 1, v1
	s_delay_alu instid0(VALU_DEP_2) | instskip(SKIP_1) | instid1(VALU_DEP_2)
	v_subrev_nc_u32_e32 v6, s6, v4
	v_cmp_le_u32_e32 vcc_lo, s6, v4
	v_dual_cndmask_b32 v4, v4, v6 :: v_dual_cndmask_b32 v1, v1, v5
	v_xor_b32_e32 v5, s14, v3
	s_delay_alu instid0(VALU_DEP_2) | instskip(NEXT) | instid1(VALU_DEP_3)
	v_cmp_le_u32_e32 vcc_lo, s6, v4
	v_add_nc_u32_e32 v6, 1, v1
	s_delay_alu instid0(VALU_DEP_3) | instskip(NEXT) | instid1(VALU_DEP_2)
	v_ashrrev_i32_e32 v5, 31, v5
	v_cndmask_b32_e32 v1, v1, v6, vcc_lo
	s_delay_alu instid0(VALU_DEP_1) | instskip(NEXT) | instid1(VALU_DEP_1)
	v_xor_b32_e32 v1, v1, v5
	v_sub_nc_u32_e32 v1, v1, v5
	s_delay_alu instid0(VALU_DEP_1)
	v_cmp_gt_i32_e32 vcc_lo, s2, v1
	s_and_saveexec_b32 s2, vcc_lo
	s_cbranch_execz .LBB127_20
; %bb.1:
	v_mul_lo_u32 v4, v1, s14
	s_load_b64 s[12:13], s[0:1], 0x0
	v_and_b32_e32 v0, 31, v0
	v_lshlrev_b32_e32 v9, 8, v2
	v_lshlrev_b32_e32 v8, 7, v3
	s_lshl_b32 s20, s3, 1
	s_delay_alu instid0(VALU_DEP_3) | instskip(SKIP_2) | instid1(VALU_DEP_1)
	v_lshlrev_b32_e32 v7, 2, v0
	v_sub_nc_u32_e32 v4, v3, v4
	s_mul_i32 s15, s20, s5
	v_lshlrev_b32_e32 v5, 1, v4
	s_delay_alu instid0(VALU_DEP_1) | instskip(SKIP_1) | instid1(VALU_DEP_2)
	v_add_nc_u32_e32 v4, 2, v5
	v_sub_nc_u32_e32 v6, s4, v5
	v_cmp_lt_i32_e32 vcc_lo, s4, v4
	s_delay_alu instid0(VALU_DEP_2) | instskip(NEXT) | instid1(VALU_DEP_1)
	v_cndmask_b32_e32 v6, 2, v6, vcc_lo
	v_cmp_lt_i32_e32 vcc_lo, 0, v6
	s_and_saveexec_b32 s4, vcc_lo
	s_cbranch_execz .LBB127_4
; %bb.2:
	s_add_i32 s2, s18, s17
	s_lshl_b32 s5, s14, 1
	s_add_i32 s2, s2, s16
	s_mov_b32 s6, 0
	s_sub_i32 s2, s2, s5
	s_mov_b32 s5, 0
	v_mul_lo_u32 v3, s2, v1
	s_add_i32 s2, s15, 0
	s_delay_alu instid0(SALU_CYCLE_1) | instskip(NEXT) | instid1(VALU_DEP_2)
	v_add3_u32 v10, s2, v9, v7
	v_lshl_add_u32 v3, v3, 6, v8
	s_delay_alu instid0(VALU_DEP_1)
	v_lshl_or_b32 v3, v0, 1, v3
	.p2align	6
.LBB127_3:                              ; =>This Inner Loop Header: Depth=1
	s_delay_alu instid0(VALU_DEP_1) | instskip(SKIP_1) | instid1(VALU_DEP_1)
	v_ashrrev_i32_e32 v4, 31, v3
	s_add_i32 s6, s6, 1
	v_lshlrev_b64 v[11:12], 1, v[3:4]
	v_add_nc_u32_e32 v3, 64, v3
	s_waitcnt lgkmcnt(0)
	s_delay_alu instid0(VALU_DEP_2) | instskip(NEXT) | instid1(VALU_DEP_1)
	v_add_co_u32 v11, s2, s12, v11
	v_add_co_ci_u32_e64 v12, s2, s13, v12, s2
	v_cmp_ge_i32_e64 s2, s6, v6
	global_load_b32 v4, v[11:12], off
	s_or_b32 s5, s2, s5
	s_waitcnt vmcnt(0)
	ds_store_b32 v10, v4
	v_add_nc_u32_e32 v10, 0x80, v10
	s_and_not1_b32 exec_lo, exec_lo, s5
	s_cbranch_execnz .LBB127_3
.LBB127_4:
	s_or_b32 exec_lo, exec_lo, s4
	s_load_b256 s[4:11], s[0:1], 0x18
	s_add_i32 s0, s20, 15
	v_mul_lo_u32 v10, v2, s3
	s_ashr_i32 s1, s0, 31
	s_mov_b32 s20, exec_lo
	s_lshr_b32 s1, s1, 28
	s_delay_alu instid0(SALU_CYCLE_1) | instskip(NEXT) | instid1(SALU_CYCLE_1)
	s_add_i32 s0, s0, s1
	s_ashr_i32 s2, s0, 4
	s_delay_alu instid0(SALU_CYCLE_1)
	v_cmpx_gt_i32_e64 s2, v0
	s_cbranch_execz .LBB127_7
; %bb.5:
	v_ashrrev_i32_e32 v2, 31, v1
	s_delay_alu instid0(VALU_DEP_1) | instskip(SKIP_1) | instid1(VALU_DEP_1)
	v_lshlrev_b64 v[2:3], 3, v[1:2]
	s_waitcnt lgkmcnt(0)
	v_add_co_u32 v2, s0, s10, v2
	s_delay_alu instid0(VALU_DEP_1)
	v_add_co_ci_u32_e64 v3, s0, s11, v3, s0
	s_ashr_i32 s0, s3, 31
	global_load_b64 v[2:3], v[2:3], off
	s_waitcnt vmcnt(0)
	v_mul_lo_u32 v11, v3, s3
	v_mul_lo_u32 v12, v2, s0
	v_mad_u64_u32 v[3:4], null, v2, s3, 0
	s_delay_alu instid0(VALU_DEP_1) | instskip(SKIP_1) | instid1(VALU_DEP_2)
	v_add3_u32 v4, v4, v12, v11
	v_lshlrev_b32_e32 v11, 1, v10
	v_lshlrev_b64 v[2:3], 1, v[3:4]
	v_lshlrev_b32_e32 v4, 4, v0
	s_delay_alu instid0(VALU_DEP_1) | instskip(NEXT) | instid1(VALU_DEP_1)
	v_add_co_u32 v2, s0, v2, v4
	v_add_co_ci_u32_e64 v3, s0, 0, v3, s0
	v_add3_u32 v4, v11, v4, 0
	v_mov_b32_e32 v11, v0
	s_delay_alu instid0(VALU_DEP_4) | instskip(NEXT) | instid1(VALU_DEP_1)
	v_add_co_u32 v2, s0, s8, v2
	v_add_co_ci_u32_e64 v3, s0, s9, v3, s0
	s_mov_b32 s8, 0
	.p2align	6
.LBB127_6:                              ; =>This Inner Loop Header: Depth=1
	global_load_b128 v[12:15], v[2:3], off
	v_add_nc_u32_e32 v11, 32, v11
	v_add_co_u32 v2, s0, 0x200, v2
	s_delay_alu instid0(VALU_DEP_1) | instskip(NEXT) | instid1(VALU_DEP_3)
	v_add_co_ci_u32_e64 v3, s0, 0, v3, s0
	v_cmp_le_i32_e64 s1, s2, v11
	s_delay_alu instid0(VALU_DEP_1)
	s_or_b32 s8, s1, s8
	s_waitcnt vmcnt(0)
	ds_store_b128 v4, v[12:15]
	v_add_nc_u32_e32 v4, 0x200, v4
	s_and_not1_b32 exec_lo, exec_lo, s8
	s_cbranch_execnz .LBB127_6
.LBB127_7:
	s_or_b32 exec_lo, exec_lo, s20
	s_delay_alu instid0(SALU_CYCLE_1)
	s_and_b32 exec_lo, exec_lo, vcc_lo
	s_cbranch_execz .LBB127_20
; %bb.8:
	s_waitcnt lgkmcnt(0)
	s_clause 0x1
	global_load_b32 v3, v7, s[4:5]
	global_load_b32 v4, v7, s[6:7]
	s_abs_i32 s2, s3
	v_lshl_add_u32 v16, v10, 1, 0
	v_cvt_f32_u32_e32 v2, s2
	s_sub_i32 s0, 0, s2
	v_mbcnt_lo_u32_b32 v10, -1, 0
	v_or_b32_e32 v12, 2, v7
	s_add_i32 s1, s18, s17
	v_rcp_iflag_f32_e32 v2, v2
	v_add_nc_u32_e32 v20, s15, v9
	v_xor_b32_e32 v9, 16, v10
	s_lshl_b32 s4, s14, 1
	s_add_i32 s1, s1, s16
	v_xor_b32_e32 v13, 4, v10
	s_sub_i32 s1, s1, s4
	v_xor_b32_e32 v15, 2, v10
	v_mul_lo_u32 v1, s1, v1
	v_cmp_gt_i32_e64 s1, 32, v9
	v_mul_f32_e32 v2, 0x4f7ffffe, v2
	v_xor_b32_e32 v17, 1, v10
	s_mov_b32 s4, 0
	s_delay_alu instid0(VALU_DEP_3) | instskip(NEXT) | instid1(VALU_DEP_3)
	v_cndmask_b32_e64 v9, v10, v9, s1
	v_cvt_u32_f32_e32 v2, v2
	v_lshl_add_u32 v1, v1, 6, v8
	s_delay_alu instid0(VALU_DEP_3) | instskip(NEXT) | instid1(VALU_DEP_3)
	v_lshlrev_b32_e32 v8, 2, v9
	v_mul_lo_u32 v11, s0, v2
	s_lshr_b32 s0, s3, 31
	s_delay_alu instid0(SALU_CYCLE_1) | instskip(NEXT) | instid1(SALU_CYCLE_1)
	s_add_i32 s0, s3, s0
	s_ashr_i32 s3, s0, 1
	s_and_b32 s0, s0, -2
	v_cmp_gt_i32_e32 vcc_lo, s3, v0
	s_delay_alu instid0(VALU_DEP_2)
	v_mul_hi_u32 v11, v2, v11
	v_add_nc_u32_e32 v18, s0, v16
	s_lshr_b32 s0, s3, 1
	s_mov_b32 s3, 0
	v_xor_b32_e32 v19, s0, v10
	v_cmp_gt_u32_e64 s0, s0, v0
	v_lshl_or_b32 v0, v0, 1, v1
	v_add_nc_u32_e32 v2, v2, v11
	v_xor_b32_e32 v11, 8, v10
	s_delay_alu instid0(VALU_DEP_2) | instskip(SKIP_1) | instid1(VALU_DEP_3)
	v_mul_hi_u32 v14, v7, v2
	v_mul_hi_u32 v2, v12, v2
	v_cmp_gt_i32_e64 s1, 32, v11
	s_delay_alu instid0(VALU_DEP_1) | instskip(SKIP_1) | instid1(VALU_DEP_4)
	v_cndmask_b32_e64 v11, v10, v11, s1
	v_cmp_gt_i32_e64 s1, 32, v13
	v_mul_lo_u32 v2, v2, s2
	v_mul_lo_u32 v14, v14, s2
	s_delay_alu instid0(VALU_DEP_4) | instskip(NEXT) | instid1(VALU_DEP_3)
	v_lshlrev_b32_e32 v9, 2, v11
	v_sub_nc_u32_e32 v2, v12, v2
	v_cndmask_b32_e64 v12, v10, v13, s1
	v_cmp_gt_i32_e64 s1, 32, v15
	v_sub_nc_u32_e32 v14, v7, v14
	v_add3_u32 v7, v20, v7, 0
	v_subrev_nc_u32_e32 v21, s2, v2
	s_delay_alu instid0(VALU_DEP_4) | instskip(SKIP_2) | instid1(VALU_DEP_3)
	v_cndmask_b32_e64 v13, v10, v15, s1
	v_cmp_gt_i32_e64 s1, 32, v17
	v_subrev_nc_u32_e32 v15, s2, v14
	v_lshlrev_b32_e32 v11, 2, v13
	s_delay_alu instid0(VALU_DEP_3) | instskip(SKIP_1) | instid1(VALU_DEP_1)
	v_cndmask_b32_e64 v17, v10, v17, s1
	v_cmp_le_u32_e64 s1, s2, v14
	v_cndmask_b32_e64 v14, v14, v15, s1
	v_cmp_le_u32_e64 s1, s2, v2
	s_delay_alu instid0(VALU_DEP_1) | instskip(SKIP_1) | instid1(VALU_DEP_1)
	v_cndmask_b32_e64 v2, v2, v21, s1
	v_cmp_gt_i32_e64 s1, 32, v19
	v_cndmask_b32_e64 v15, v10, v19, s1
	v_subrev_nc_u32_e32 v10, s2, v14
	v_cmp_le_u32_e64 s1, s2, v14
	v_subrev_nc_u32_e32 v19, s2, v2
	s_delay_alu instid0(VALU_DEP_4) | instskip(NEXT) | instid1(VALU_DEP_3)
	v_lshlrev_b32_e32 v13, 2, v15
	v_cndmask_b32_e64 v14, v14, v10, s1
	v_cmp_le_u32_e64 s1, s2, v2
	v_lshlrev_b32_e32 v10, 2, v12
	v_lshlrev_b32_e32 v12, 2, v17
	s_delay_alu instid0(VALU_DEP_3) | instskip(SKIP_1) | instid1(VALU_DEP_2)
	v_cndmask_b32_e64 v2, v2, v19, s1
	v_and_b32_e32 v19, -2, v14
	v_and_b32_e32 v2, -2, v2
	s_delay_alu instid0(VALU_DEP_2) | instskip(SKIP_1) | instid1(VALU_DEP_3)
	v_add_nc_u32_e32 v14, v16, v19
	v_add_nc_u32_e32 v15, v18, v19
	;; [unrolled: 1-line block ×4, first 2 shown]
	s_waitcnt vmcnt(1)
	v_lshrrev_b32_e32 v18, 16, v3
	s_waitcnt vmcnt(0)
	v_lshrrev_b32_e32 v19, 16, v4
	s_branch .LBB127_10
.LBB127_9:                              ;   in Loop: Header=BB127_10 Depth=1
	s_or_b32 exec_lo, exec_lo, s2
	v_ashrrev_i32_e32 v1, 31, v0
	v_lshrrev_b32_e32 v20, 16, v20
	s_add_i32 s4, s4, 1
	v_add_nc_u32_e32 v7, 0x80, v7
	v_cmp_ge_i32_e64 s1, s4, v6
	v_lshlrev_b64 v[1:2], 1, v[0:1]
	v_and_or_b32 v20, 0xffff0000, v21, v20
	v_add_nc_u32_e32 v0, 64, v0
	s_delay_alu instid0(VALU_DEP_4) | instskip(NEXT) | instid1(VALU_DEP_3)
	s_or_b32 s3, s1, s3
	v_add_co_u32 v1, s2, s12, v1
	s_delay_alu instid0(VALU_DEP_1)
	v_add_co_ci_u32_e64 v2, s2, s13, v2, s2
	global_store_b32 v[1:2], v20, off
	s_and_not1_b32 exec_lo, exec_lo, s3
	s_cbranch_execz .LBB127_20
.LBB127_10:                             ; =>This Inner Loop Header: Depth=1
	ds_load_b32 v1, v7
	s_waitcnt lgkmcnt(0)
	v_and_b32_e32 v20, 0xffff0000, v1
	v_lshlrev_b32_e32 v2, 16, v1
	s_delay_alu instid0(VALU_DEP_1) | instskip(NEXT) | instid1(VALU_DEP_1)
	v_mul_f32_e32 v1, v2, v2
	v_fmac_f32_e32 v1, v20, v20
	ds_bpermute_b32 v21, v8, v1
	s_waitcnt lgkmcnt(0)
	v_add_f32_e32 v1, v1, v21
	ds_bpermute_b32 v21, v9, v1
	s_waitcnt lgkmcnt(0)
	v_add_f32_e32 v1, v1, v21
	ds_bpermute_b32 v21, v10, v1
	s_waitcnt lgkmcnt(0)
	v_add_f32_e32 v1, v1, v21
	ds_bpermute_b32 v21, v11, v1
	s_waitcnt lgkmcnt(0)
	v_add_f32_e32 v1, v1, v21
	ds_bpermute_b32 v21, v12, v1
	s_waitcnt lgkmcnt(0)
	v_add_f32_e32 v1, v1, v21
	s_delay_alu instid0(VALU_DEP_1) | instskip(NEXT) | instid1(VALU_DEP_1)
	v_fma_f32 v1, 0x3c800000, v1, s19
	v_mul_f32_e32 v21, 0x4b800000, v1
	v_cmp_gt_f32_e64 s1, 0x800000, v1
	s_delay_alu instid0(VALU_DEP_1) | instskip(SKIP_1) | instid1(VALU_DEP_2)
	v_cndmask_b32_e64 v1, v1, v21, s1
	v_add_nc_u32_e32 v21, s4, v5
	v_rsq_f32_e32 v1, v1
	s_delay_alu instid0(VALU_DEP_1) | instskip(NEXT) | instid1(VALU_DEP_1)
	v_cmp_gt_i32_e64 s2, s16, v21
	v_cndmask_b32_e64 v21, v4, v3, s2
	v_cndmask_b32_e64 v23, v19, v18, s2
	s_waitcnt_depctr 0xfff
	v_mul_f32_e32 v22, 0x45800000, v1
	v_lshlrev_b32_e32 v21, 16, v21
	s_delay_alu instid0(VALU_DEP_2) | instskip(NEXT) | instid1(VALU_DEP_1)
	v_cndmask_b32_e64 v1, v1, v22, s1
	v_dual_mul_f32 v21, v1, v21 :: v_dual_lshlrev_b32 v22, 16, v23
	s_delay_alu instid0(VALU_DEP_1) | instskip(NEXT) | instid1(VALU_DEP_1)
	v_mul_f32_e32 v22, v1, v22
	v_dual_mul_f32 v1, v21, v2 :: v_dual_mul_f32 v2, v22, v20
	s_and_saveexec_b32 s1, vcc_lo
	s_cbranch_execz .LBB127_12
; %bb.11:                               ;   in Loop: Header=BB127_10 Depth=1
	; wave barrier
	ds_bpermute_b32 v20, v13, v1
	ds_load_u16 v21, v15
	ds_bpermute_b32 v22, v13, v2
	ds_load_u16 v23, v17
	ds_load_u16 v24, v14
	;; [unrolled: 1-line block ×3, first 2 shown]
	; wave barrier
	s_waitcnt lgkmcnt(5)
	v_cndmask_b32_e64 v20, v20, -v20, s0
	s_waitcnt lgkmcnt(3)
	v_cndmask_b32_e64 v22, v22, -v22, s0
	s_waitcnt lgkmcnt(1)
	v_lshlrev_b32_e32 v24, 16, v24
	v_lshlrev_b32_e32 v21, 16, v21
	s_delay_alu instid0(VALU_DEP_1) | instskip(NEXT) | instid1(VALU_DEP_1)
	v_dual_mul_f32 v20, v20, v21 :: v_dual_lshlrev_b32 v23, 16, v23
	v_dual_mul_f32 v21, v22, v23 :: v_dual_fmac_f32 v20, v1, v24
	s_waitcnt lgkmcnt(0)
	v_lshlrev_b32_e32 v25, 16, v25
	s_delay_alu instid0(VALU_DEP_1) | instskip(NEXT) | instid1(VALU_DEP_1)
	v_fmac_f32_e32 v21, v2, v25
	v_dual_mov_b32 v1, v20 :: v_dual_mov_b32 v2, v21
.LBB127_12:                             ;   in Loop: Header=BB127_10 Depth=1
	s_or_b32 exec_lo, exec_lo, s1
	s_delay_alu instid0(VALU_DEP_1) | instskip(NEXT) | instid1(VALU_DEP_1)
	v_and_b32_e32 v20, 0x7f800000, v1
	v_cmp_ne_u32_e64 s1, 0x7f800000, v20
                                        ; implicit-def: $vgpr20
	s_delay_alu instid0(VALU_DEP_1) | instskip(NEXT) | instid1(SALU_CYCLE_1)
	s_and_saveexec_b32 s2, s1
	s_xor_b32 s1, exec_lo, s2
; %bb.13:                               ;   in Loop: Header=BB127_10 Depth=1
	v_bfe_u32 v20, v1, 16, 1
	s_delay_alu instid0(VALU_DEP_1)
	v_add3_u32 v20, v1, v20, 0x7fff
; %bb.14:                               ;   in Loop: Header=BB127_10 Depth=1
	s_and_not1_saveexec_b32 s2, s1
; %bb.15:                               ;   in Loop: Header=BB127_10 Depth=1
	v_and_b32_e32 v20, 0xffff, v1
	v_or_b32_e32 v21, 0x10000, v1
	s_delay_alu instid0(VALU_DEP_2) | instskip(NEXT) | instid1(VALU_DEP_1)
	v_cmp_eq_u32_e64 s1, 0, v20
	v_cndmask_b32_e64 v20, v21, v1, s1
; %bb.16:                               ;   in Loop: Header=BB127_10 Depth=1
	s_or_b32 exec_lo, exec_lo, s2
	v_and_b32_e32 v1, 0x7f800000, v2
                                        ; implicit-def: $vgpr21
	s_delay_alu instid0(VALU_DEP_1) | instskip(NEXT) | instid1(VALU_DEP_1)
	v_cmp_ne_u32_e64 s1, 0x7f800000, v1
	s_and_saveexec_b32 s2, s1
	s_delay_alu instid0(SALU_CYCLE_1)
	s_xor_b32 s1, exec_lo, s2
; %bb.17:                               ;   in Loop: Header=BB127_10 Depth=1
	v_bfe_u32 v1, v2, 16, 1
	s_delay_alu instid0(VALU_DEP_1)
	v_add3_u32 v21, v2, v1, 0x7fff
                                        ; implicit-def: $vgpr1_vgpr2
; %bb.18:                               ;   in Loop: Header=BB127_10 Depth=1
	s_and_not1_saveexec_b32 s2, s1
	s_cbranch_execz .LBB127_9
; %bb.19:                               ;   in Loop: Header=BB127_10 Depth=1
	v_and_b32_e32 v1, 0xffff, v2
	v_or_b32_e32 v21, 0x10000, v2
	s_delay_alu instid0(VALU_DEP_2) | instskip(NEXT) | instid1(VALU_DEP_1)
	v_cmp_eq_u32_e64 s1, 0, v1
	v_cndmask_b32_e64 v21, v21, v2, s1
	s_branch .LBB127_9
.LBB127_20:
	s_nop 0
	s_sendmsg sendmsg(MSG_DEALLOC_VGPRS)
	s_endpgm
	.section	.rodata,"a",@progbits
	.p2align	6, 0x0
	.amdhsa_kernel _ZN12tensorrt_llm7kernels32fusedQKNormRopeKernelNTokenHeadsIN3c108BFloat16ES3_Li64ELb0ELi2EEEvPviiifPKvS6_S6_PKlii
		.amdhsa_group_segment_fixed_size 0
		.amdhsa_private_segment_fixed_size 0
		.amdhsa_kernarg_size 320
		.amdhsa_user_sgpr_count 15
		.amdhsa_user_sgpr_dispatch_ptr 0
		.amdhsa_user_sgpr_queue_ptr 0
		.amdhsa_user_sgpr_kernarg_segment_ptr 1
		.amdhsa_user_sgpr_dispatch_id 0
		.amdhsa_user_sgpr_private_segment_size 0
		.amdhsa_wavefront_size32 1
		.amdhsa_uses_dynamic_stack 0
		.amdhsa_enable_private_segment 0
		.amdhsa_system_sgpr_workgroup_id_x 1
		.amdhsa_system_sgpr_workgroup_id_y 0
		.amdhsa_system_sgpr_workgroup_id_z 0
		.amdhsa_system_sgpr_workgroup_info 0
		.amdhsa_system_vgpr_workitem_id 0
		.amdhsa_next_free_vgpr 26
		.amdhsa_next_free_sgpr 21
		.amdhsa_reserve_vcc 1
		.amdhsa_float_round_mode_32 0
		.amdhsa_float_round_mode_16_64 0
		.amdhsa_float_denorm_mode_32 3
		.amdhsa_float_denorm_mode_16_64 3
		.amdhsa_dx10_clamp 1
		.amdhsa_ieee_mode 1
		.amdhsa_fp16_overflow 0
		.amdhsa_workgroup_processor_mode 1
		.amdhsa_memory_ordered 1
		.amdhsa_forward_progress 0
		.amdhsa_shared_vgpr_count 0
		.amdhsa_exception_fp_ieee_invalid_op 0
		.amdhsa_exception_fp_denorm_src 0
		.amdhsa_exception_fp_ieee_div_zero 0
		.amdhsa_exception_fp_ieee_overflow 0
		.amdhsa_exception_fp_ieee_underflow 0
		.amdhsa_exception_fp_ieee_inexact 0
		.amdhsa_exception_int_div_zero 0
	.end_amdhsa_kernel
	.section	.text._ZN12tensorrt_llm7kernels32fusedQKNormRopeKernelNTokenHeadsIN3c108BFloat16ES3_Li64ELb0ELi2EEEvPviiifPKvS6_S6_PKlii,"axG",@progbits,_ZN12tensorrt_llm7kernels32fusedQKNormRopeKernelNTokenHeadsIN3c108BFloat16ES3_Li64ELb0ELi2EEEvPviiifPKvS6_S6_PKlii,comdat
.Lfunc_end127:
	.size	_ZN12tensorrt_llm7kernels32fusedQKNormRopeKernelNTokenHeadsIN3c108BFloat16ES3_Li64ELb0ELi2EEEvPviiifPKvS6_S6_PKlii, .Lfunc_end127-_ZN12tensorrt_llm7kernels32fusedQKNormRopeKernelNTokenHeadsIN3c108BFloat16ES3_Li64ELb0ELi2EEEvPviiifPKvS6_S6_PKlii
                                        ; -- End function
	.section	.AMDGPU.csdata,"",@progbits
; Kernel info:
; codeLenInByte = 2108
; NumSgprs: 23
; NumVgprs: 26
; ScratchSize: 0
; MemoryBound: 0
; FloatMode: 240
; IeeeMode: 1
; LDSByteSize: 0 bytes/workgroup (compile time only)
; SGPRBlocks: 2
; VGPRBlocks: 3
; NumSGPRsForWavesPerEU: 23
; NumVGPRsForWavesPerEU: 26
; Occupancy: 16
; WaveLimiterHint : 0
; COMPUTE_PGM_RSRC2:SCRATCH_EN: 0
; COMPUTE_PGM_RSRC2:USER_SGPR: 15
; COMPUTE_PGM_RSRC2:TRAP_HANDLER: 0
; COMPUTE_PGM_RSRC2:TGID_X_EN: 1
; COMPUTE_PGM_RSRC2:TGID_Y_EN: 0
; COMPUTE_PGM_RSRC2:TGID_Z_EN: 0
; COMPUTE_PGM_RSRC2:TIDIG_COMP_CNT: 0
	.section	.text._ZN12tensorrt_llm7kernels32fusedQKNormRopeKernelNTokenHeadsIN3c108BFloat16ES3_Li128ELb1ELi2EEEvPviiifPKvS6_S6_PKlii,"axG",@progbits,_ZN12tensorrt_llm7kernels32fusedQKNormRopeKernelNTokenHeadsIN3c108BFloat16ES3_Li128ELb1ELi2EEEvPviiifPKvS6_S6_PKlii,comdat
	.protected	_ZN12tensorrt_llm7kernels32fusedQKNormRopeKernelNTokenHeadsIN3c108BFloat16ES3_Li128ELb1ELi2EEEvPviiifPKvS6_S6_PKlii ; -- Begin function _ZN12tensorrt_llm7kernels32fusedQKNormRopeKernelNTokenHeadsIN3c108BFloat16ES3_Li128ELb1ELi2EEEvPviiifPKvS6_S6_PKlii
	.globl	_ZN12tensorrt_llm7kernels32fusedQKNormRopeKernelNTokenHeadsIN3c108BFloat16ES3_Li128ELb1ELi2EEEvPviiifPKvS6_S6_PKlii
	.p2align	8
	.type	_ZN12tensorrt_llm7kernels32fusedQKNormRopeKernelNTokenHeadsIN3c108BFloat16ES3_Li128ELb1ELi2EEEvPviiifPKvS6_S6_PKlii,@function
_ZN12tensorrt_llm7kernels32fusedQKNormRopeKernelNTokenHeadsIN3c108BFloat16ES3_Li128ELb1ELi2EEEvPviiifPKvS6_S6_PKlii: ; @_ZN12tensorrt_llm7kernels32fusedQKNormRopeKernelNTokenHeadsIN3c108BFloat16ES3_Li128ELb1ELi2EEEvPviiifPKvS6_S6_PKlii
; %bb.0:
	s_clause 0x1
	s_load_b128 s[16:19], s[0:1], 0x8
	s_load_b64 s[2:3], s[0:1], 0x38
	v_lshrrev_b32_e32 v2, 5, v0
	s_waitcnt lgkmcnt(0)
	s_add_i32 s4, s17, s16
	s_delay_alu instid0(SALU_CYCLE_1) | instskip(NEXT) | instid1(SALU_CYCLE_1)
	s_add_i32 s5, s4, 1
	s_lshr_b32 s6, s5, 31
	s_delay_alu instid0(SALU_CYCLE_1) | instskip(NEXT) | instid1(SALU_CYCLE_1)
	s_add_i32 s5, s5, s6
	s_ashr_i32 s14, s5, 1
	s_load_b32 s5, s[0:1], 0x4c
	s_abs_i32 s6, s14
	s_delay_alu instid0(SALU_CYCLE_1) | instskip(SKIP_1) | instid1(VALU_DEP_1)
	v_cvt_f32_u32_e32 v1, s6
	s_sub_i32 s7, 0, s6
	v_rcp_iflag_f32_e32 v1, v1
	s_waitcnt_depctr 0xfff
	v_mul_f32_e32 v1, 0x4f7ffffe, v1
	s_waitcnt lgkmcnt(0)
	s_bfe_u32 s5, s5, 0xb0005
	s_delay_alu instid0(SALU_CYCLE_1) | instskip(NEXT) | instid1(VALU_DEP_2)
	v_mad_u64_u32 v[3:4], null, s15, s5, v[2:3]
	v_cvt_u32_f32_e32 v1, v1
	s_delay_alu instid0(VALU_DEP_1) | instskip(NEXT) | instid1(VALU_DEP_1)
	v_mul_lo_u32 v5, s7, v1
	v_mul_hi_u32 v4, v1, v5
	s_delay_alu instid0(VALU_DEP_4) | instskip(NEXT) | instid1(VALU_DEP_1)
	v_sub_nc_u32_e32 v5, 0, v3
	v_max_i32_e32 v5, v3, v5
	s_delay_alu instid0(VALU_DEP_3) | instskip(NEXT) | instid1(VALU_DEP_1)
	v_add_nc_u32_e32 v1, v1, v4
	v_mul_hi_u32 v1, v5, v1
	s_delay_alu instid0(VALU_DEP_1) | instskip(NEXT) | instid1(VALU_DEP_1)
	v_mul_lo_u32 v4, v1, s6
	v_sub_nc_u32_e32 v4, v5, v4
	v_add_nc_u32_e32 v5, 1, v1
	s_delay_alu instid0(VALU_DEP_2) | instskip(SKIP_1) | instid1(VALU_DEP_2)
	v_subrev_nc_u32_e32 v6, s6, v4
	v_cmp_le_u32_e32 vcc_lo, s6, v4
	v_dual_cndmask_b32 v4, v4, v6 :: v_dual_cndmask_b32 v1, v1, v5
	v_xor_b32_e32 v5, s14, v3
	s_delay_alu instid0(VALU_DEP_2) | instskip(NEXT) | instid1(VALU_DEP_3)
	v_cmp_le_u32_e32 vcc_lo, s6, v4
	v_add_nc_u32_e32 v6, 1, v1
	s_delay_alu instid0(VALU_DEP_3) | instskip(NEXT) | instid1(VALU_DEP_2)
	v_ashrrev_i32_e32 v5, 31, v5
	v_cndmask_b32_e32 v1, v1, v6, vcc_lo
	s_delay_alu instid0(VALU_DEP_1) | instskip(NEXT) | instid1(VALU_DEP_1)
	v_xor_b32_e32 v1, v1, v5
	v_sub_nc_u32_e32 v1, v1, v5
	s_delay_alu instid0(VALU_DEP_1)
	v_cmp_gt_i32_e32 vcc_lo, s2, v1
	s_and_saveexec_b32 s2, vcc_lo
	s_cbranch_execz .LBB128_28
; %bb.1:
	v_mul_lo_u32 v4, v1, s14
	s_load_b64 s[12:13], s[0:1], 0x0
	v_and_b32_e32 v8, 31, v0
	v_lshlrev_b32_e32 v12, 9, v2
	v_lshlrev_b32_e32 v0, 8, v3
	s_lshl_b32 s20, s3, 1
	s_delay_alu instid0(VALU_DEP_3) | instskip(SKIP_2) | instid1(VALU_DEP_1)
	v_lshlrev_b32_e32 v9, 3, v8
	v_sub_nc_u32_e32 v4, v3, v4
	s_mul_i32 s15, s20, s5
	v_lshlrev_b32_e32 v10, 1, v4
	s_delay_alu instid0(VALU_DEP_1) | instskip(SKIP_1) | instid1(VALU_DEP_2)
	v_add_nc_u32_e32 v4, 2, v10
	v_sub_nc_u32_e32 v5, s4, v10
	v_cmp_lt_i32_e32 vcc_lo, s4, v4
	s_delay_alu instid0(VALU_DEP_2) | instskip(NEXT) | instid1(VALU_DEP_1)
	v_cndmask_b32_e32 v11, 2, v5, vcc_lo
	v_cmp_lt_i32_e32 vcc_lo, 0, v11
	s_and_saveexec_b32 s4, vcc_lo
	s_cbranch_execz .LBB128_4
; %bb.2:
	s_add_i32 s2, s18, s17
	s_lshl_b32 s5, s14, 1
	s_add_i32 s2, s2, s16
	s_mov_b32 s6, 0
	s_sub_i32 s2, s2, s5
	s_mov_b32 s5, 0
	v_mul_lo_u32 v3, s2, v1
	s_add_i32 s2, s15, 0
	s_delay_alu instid0(SALU_CYCLE_1) | instskip(NEXT) | instid1(VALU_DEP_2)
	v_add3_u32 v5, s2, v12, v9
	v_lshl_add_u32 v3, v3, 7, v0
	s_delay_alu instid0(VALU_DEP_1)
	v_lshl_or_b32 v3, v8, 2, v3
	.p2align	6
.LBB128_3:                              ; =>This Inner Loop Header: Depth=1
	s_delay_alu instid0(VALU_DEP_1) | instskip(SKIP_1) | instid1(VALU_DEP_1)
	v_ashrrev_i32_e32 v4, 31, v3
	s_add_i32 s6, s6, 1
	v_lshlrev_b64 v[6:7], 1, v[3:4]
	v_add_nc_u32_e32 v3, 0x80, v3
	s_waitcnt lgkmcnt(0)
	s_delay_alu instid0(VALU_DEP_2) | instskip(NEXT) | instid1(VALU_DEP_1)
	v_add_co_u32 v6, s2, s12, v6
	v_add_co_ci_u32_e64 v7, s2, s13, v7, s2
	v_cmp_ge_i32_e64 s2, s6, v11
	global_load_b64 v[6:7], v[6:7], off
	s_or_b32 s5, s2, s5
	s_waitcnt vmcnt(0)
	ds_store_b64 v5, v[6:7]
	v_add_nc_u32_e32 v5, 0x100, v5
	s_and_not1_b32 exec_lo, exec_lo, s5
	s_cbranch_execnz .LBB128_3
.LBB128_4:
	s_or_b32 exec_lo, exec_lo, s4
	s_load_b256 s[4:11], s[0:1], 0x18
	v_mul_lo_u32 v2, v2, s3
	s_add_i32 s0, s20, 15
	s_mov_b32 s20, exec_lo
	s_ashr_i32 s1, s0, 31
	s_delay_alu instid0(SALU_CYCLE_1) | instskip(NEXT) | instid1(SALU_CYCLE_1)
	s_lshr_b32 s1, s1, 28
	s_add_i32 s0, s0, s1
	s_delay_alu instid0(VALU_DEP_1) | instskip(SKIP_1) | instid1(SALU_CYCLE_1)
	v_lshlrev_b32_e32 v13, 1, v2
	s_ashr_i32 s2, s0, 4
	v_cmpx_gt_i32_e64 s2, v8
	s_cbranch_execz .LBB128_7
; %bb.5:
	v_ashrrev_i32_e32 v2, 31, v1
	s_delay_alu instid0(VALU_DEP_1) | instskip(SKIP_1) | instid1(VALU_DEP_1)
	v_lshlrev_b64 v[2:3], 3, v[1:2]
	s_waitcnt lgkmcnt(0)
	v_add_co_u32 v2, s0, s10, v2
	s_delay_alu instid0(VALU_DEP_1)
	v_add_co_ci_u32_e64 v3, s0, s11, v3, s0
	s_ashr_i32 s0, s3, 31
	global_load_b64 v[2:3], v[2:3], off
	s_waitcnt vmcnt(0)
	v_mul_lo_u32 v5, v3, s3
	v_mul_lo_u32 v6, v2, s0
	v_mad_u64_u32 v[3:4], null, v2, s3, 0
	s_delay_alu instid0(VALU_DEP_1) | instskip(SKIP_1) | instid1(VALU_DEP_2)
	v_add3_u32 v4, v4, v6, v5
	v_mov_b32_e32 v5, v8
	v_lshlrev_b64 v[2:3], 1, v[3:4]
	v_lshlrev_b32_e32 v4, 4, v8
	s_delay_alu instid0(VALU_DEP_1) | instskip(NEXT) | instid1(VALU_DEP_1)
	v_add_co_u32 v2, s0, v2, v4
	v_add_co_ci_u32_e64 v3, s0, 0, v3, s0
	v_add3_u32 v4, v13, v4, 0
	s_delay_alu instid0(VALU_DEP_3) | instskip(NEXT) | instid1(VALU_DEP_1)
	v_add_co_u32 v2, s0, s8, v2
	v_add_co_ci_u32_e64 v3, s0, s9, v3, s0
	s_mov_b32 s8, 0
	.p2align	6
.LBB128_6:                              ; =>This Inner Loop Header: Depth=1
	global_load_b128 v[14:17], v[2:3], off
	v_add_nc_u32_e32 v5, 32, v5
	v_add_co_u32 v2, s0, 0x200, v2
	s_delay_alu instid0(VALU_DEP_1) | instskip(NEXT) | instid1(VALU_DEP_3)
	v_add_co_ci_u32_e64 v3, s0, 0, v3, s0
	v_cmp_le_i32_e64 s1, s2, v5
	s_delay_alu instid0(VALU_DEP_1)
	s_or_b32 s8, s1, s8
	s_waitcnt vmcnt(0)
	ds_store_b128 v4, v[14:17]
	v_add_nc_u32_e32 v4, 0x200, v4
	s_and_not1_b32 exec_lo, exec_lo, s8
	s_cbranch_execnz .LBB128_6
.LBB128_7:
	s_or_b32 exec_lo, exec_lo, s20
	s_delay_alu instid0(SALU_CYCLE_1)
	s_and_b32 exec_lo, exec_lo, vcc_lo
	s_cbranch_execz .LBB128_28
; %bb.8:
	s_waitcnt lgkmcnt(0)
	s_clause 0x1
	global_load_b64 v[4:5], v9, s[4:5]
	global_load_b64 v[6:7], v9, s[6:7]
	v_mbcnt_lo_u32_b32 v3, -1, 0
	s_lshr_b32 s0, s3, 31
	s_ashr_i32 s1, s3, 31
	s_add_i32 s0, s3, s0
	s_lshr_b32 s1, s1, 30
	v_xor_b32_e32 v15, 16, v3
	s_and_b32 s5, s0, -2
	s_add_i32 s0, s3, s1
	v_xor_b32_e32 v16, 8, v3
	s_ashr_i32 s0, s0, 2
	v_lshlrev_b32_e32 v2, 2, v8
	v_cmp_le_i32_e32 vcc_lo, s0, v8
	v_cmp_gt_i32_e64 s0, 32, v15
	v_add_nc_u32_e32 v14, s15, v12
	v_xor_b32_e32 v17, 4, v3
	v_xor_b32_e32 v18, 2, v3
	v_add3_u32 v12, 0, v13, v2
	v_cndmask_b32_e64 v8, v3, v15, s0
	v_cmp_gt_i32_e64 s0, 32, v16
	v_add3_u32 v13, v14, v9, 0
	s_add_i32 s2, s18, s17
	s_lshl_b32 s4, s14, 1
	s_add_i32 s2, s2, s16
	v_cndmask_b32_e64 v9, v3, v16, s0
	v_cmp_gt_i32_e64 s0, 32, v17
	s_sub_i32 s1, s2, s4
	v_xor_b32_e32 v19, 1, v3
	v_mul_lo_u32 v1, s1, v1
	v_add_nc_u32_e32 v14, s5, v12
	v_cndmask_b32_e64 v17, v3, v17, s0
	v_cmp_gt_i32_e64 s0, 32, v18
	v_lshlrev_b32_e32 v15, 2, v8
	v_lshlrev_b32_e32 v16, 2, v9
	s_mov_b32 s2, 0
	v_lshlrev_b32_e32 v17, 2, v17
	v_cndmask_b32_e64 v18, v3, v18, s0
	v_cmp_gt_i32_e64 s0, 32, v19
	v_lshl_add_u32 v0, v1, 7, v0
	s_mov_b32 s3, 0
	s_delay_alu instid0(VALU_DEP_3) | instskip(NEXT) | instid1(VALU_DEP_3)
	v_lshlrev_b32_e32 v18, 2, v18
	v_cndmask_b32_e64 v3, v3, v19, s0
	s_delay_alu instid0(VALU_DEP_3) | instskip(NEXT) | instid1(VALU_DEP_2)
	v_or_b32_e32 v8, v0, v2
	v_lshlrev_b32_e32 v19, 2, v3
	s_waitcnt vmcnt(1)
	v_lshrrev_b32_e32 v20, 16, v4
	s_waitcnt vmcnt(0)
	v_lshrrev_b32_e32 v21, 16, v6
	v_lshrrev_b32_e32 v22, 16, v5
	v_lshrrev_b32_e32 v23, 16, v7
	s_branch .LBB128_10
.LBB128_9:                              ;   in Loop: Header=BB128_10 Depth=1
	s_or_b32 exec_lo, exec_lo, s1
	v_ashrrev_i32_e32 v9, 31, v8
	v_lshrrev_b32_e32 v2, 16, v26
	v_and_b32_e32 v3, 0xffff0000, v27
	s_add_i32 s3, s3, 1
	v_add_nc_u32_e32 v13, 0x100, v13
	v_lshlrev_b64 v[0:1], 1, v[8:9]
	v_lshrrev_b32_e32 v9, 16, v24
	v_cmp_ge_i32_e64 s0, s3, v11
	v_or_b32_e32 v2, v3, v2
	v_add_nc_u32_e32 v8, 0x80, v8
	v_add_co_u32 v26, s1, s12, v0
	s_delay_alu instid0(VALU_DEP_1)
	v_add_co_ci_u32_e64 v27, s1, s13, v1, s1
	v_and_or_b32 v1, 0xffff0000, v25, v9
	s_or_b32 s2, s0, s2
	global_store_b64 v[26:27], v[1:2], off
	s_and_not1_b32 exec_lo, exec_lo, s2
	s_cbranch_execz .LBB128_28
.LBB128_10:                             ; =>This Inner Loop Header: Depth=1
	ds_load_b64 v[0:1], v13
	s_waitcnt lgkmcnt(0)
	v_alignbit_b32 v3, v1, v0, 16
	s_delay_alu instid0(VALU_DEP_1) | instskip(SKIP_2) | instid1(VALU_DEP_1)
	v_and_b32_e32 v24, 0xffff0000, v3
	v_and_b32_e32 v3, 0xffff0000, v1
	;; [unrolled: 1-line block ×3, first 2 shown]
	v_dual_mul_f32 v9, v2, v2 :: v_dual_lshlrev_b32 v0, 16, v0
	s_delay_alu instid0(VALU_DEP_1) | instskip(NEXT) | instid1(VALU_DEP_1)
	v_fmac_f32_e32 v9, v0, v0
	v_fmac_f32_e32 v9, v24, v24
	s_delay_alu instid0(VALU_DEP_1)
	v_fmac_f32_e32 v9, v3, v3
	ds_bpermute_b32 v1, v15, v9
	s_waitcnt lgkmcnt(0)
	v_add_f32_e32 v1, v9, v1
	ds_bpermute_b32 v9, v16, v1
	s_waitcnt lgkmcnt(0)
	v_add_f32_e32 v1, v1, v9
	;; [unrolled: 3-line block ×5, first 2 shown]
	s_delay_alu instid0(VALU_DEP_1) | instskip(NEXT) | instid1(VALU_DEP_1)
	v_fma_f32 v1, 0x3c000000, v1, s19
	v_mul_f32_e32 v9, 0x4b800000, v1
	v_cmp_gt_f32_e64 s0, 0x800000, v1
	s_delay_alu instid0(VALU_DEP_1) | instskip(SKIP_1) | instid1(VALU_DEP_2)
	v_cndmask_b32_e64 v1, v1, v9, s0
	v_add_nc_u32_e32 v9, s3, v10
	v_rsq_f32_e32 v1, v1
	s_delay_alu instid0(VALU_DEP_1) | instskip(NEXT) | instid1(VALU_DEP_1)
	v_cmp_gt_i32_e64 s1, s16, v9
	v_cndmask_b32_e64 v9, v21, v20, s1
	v_cndmask_b32_e64 v26, v6, v4, s1
	;; [unrolled: 1-line block ×4, first 2 shown]
	s_waitcnt_depctr 0xfff
	v_mul_f32_e32 v25, 0x45800000, v1
	v_lshlrev_b32_e32 v9, 16, v9
	s_delay_alu instid0(VALU_DEP_2) | instskip(SKIP_3) | instid1(VALU_DEP_4)
	v_cndmask_b32_e64 v1, v1, v25, s0
	v_lshlrev_b32_e32 v25, 16, v26
	v_lshlrev_b32_e32 v26, 16, v27
	;; [unrolled: 1-line block ×3, first 2 shown]
	v_mul_f32_e32 v9, v1, v9
	s_delay_alu instid0(VALU_DEP_4) | instskip(NEXT) | instid1(VALU_DEP_4)
	v_mul_f32_e32 v25, v1, v25
	v_mul_f32_e32 v26, v1, v26
	s_delay_alu instid0(VALU_DEP_4) | instskip(NEXT) | instid1(VALU_DEP_4)
	v_mul_f32_e32 v27, v1, v27
	v_mul_f32_e32 v1, v9, v2
	s_delay_alu instid0(VALU_DEP_3) | instskip(NEXT) | instid1(VALU_DEP_3)
	v_dual_mul_f32 v0, v25, v0 :: v_dual_mul_f32 v3, v26, v3
	v_mul_f32_e32 v2, v27, v24
	s_and_saveexec_b32 s0, vcc_lo
	s_delay_alu instid0(SALU_CYCLE_1) | instskip(NEXT) | instid1(SALU_CYCLE_1)
	s_xor_b32 s0, exec_lo, s0
	s_and_not1_saveexec_b32 s0, s0
	s_cbranch_execz .LBB128_12
; %bb.11:                               ;   in Loop: Header=BB128_10 Depth=1
	ds_load_u16 v9, v14
	ds_load_u16 v24, v12
	ds_load_u16 v25, v14 offset:2
	ds_load_u16 v26, v12 offset:2
	s_waitcnt lgkmcnt(1)
	v_lshlrev_b32_e32 v28, 16, v25
	s_waitcnt lgkmcnt(0)
	v_lshlrev_b32_e32 v26, 16, v26
	s_delay_alu instid0(VALU_DEP_1) | instskip(NEXT) | instid1(VALU_DEP_1)
	v_mul_f32_e32 v27, v3, v26
	v_fmac_f32_e32 v27, v2, v28
	v_lshlrev_b32_e32 v9, 16, v9
	s_delay_alu instid0(VALU_DEP_1) | instskip(NEXT) | instid1(VALU_DEP_1)
	v_dual_mul_f32 v29, v1, v9 :: v_dual_lshlrev_b32 v24, 16, v24
	v_mul_f32_e32 v25, v1, v24
	v_mul_f32_e32 v1, v3, v28
	s_delay_alu instid0(VALU_DEP_3) | instskip(NEXT) | instid1(VALU_DEP_3)
	v_fma_f32 v24, v0, v24, -v29
	v_fmac_f32_e32 v25, v0, v9
	s_delay_alu instid0(VALU_DEP_3) | instskip(NEXT) | instid1(VALU_DEP_2)
	v_fma_f32 v26, v2, v26, -v1
	v_dual_mov_b32 v0, v24 :: v_dual_mov_b32 v1, v25
	s_delay_alu instid0(VALU_DEP_2)
	v_dual_mov_b32 v2, v26 :: v_dual_mov_b32 v3, v27
.LBB128_12:                             ;   in Loop: Header=BB128_10 Depth=1
	s_or_b32 exec_lo, exec_lo, s0
	s_delay_alu instid0(VALU_DEP_2) | instskip(NEXT) | instid1(VALU_DEP_1)
	v_and_b32_e32 v9, 0x7f800000, v0
                                        ; implicit-def: $vgpr24
	v_cmp_ne_u32_e64 s0, 0x7f800000, v9
	s_delay_alu instid0(VALU_DEP_1) | instskip(NEXT) | instid1(SALU_CYCLE_1)
	s_and_saveexec_b32 s1, s0
	s_xor_b32 s0, exec_lo, s1
; %bb.13:                               ;   in Loop: Header=BB128_10 Depth=1
	v_bfe_u32 v9, v0, 16, 1
	s_delay_alu instid0(VALU_DEP_1)
	v_add3_u32 v24, v0, v9, 0x7fff
; %bb.14:                               ;   in Loop: Header=BB128_10 Depth=1
	s_and_not1_saveexec_b32 s1, s0
; %bb.15:                               ;   in Loop: Header=BB128_10 Depth=1
	v_and_b32_e32 v9, 0xffff, v0
	v_or_b32_e32 v24, 0x10000, v0
	s_delay_alu instid0(VALU_DEP_2) | instskip(NEXT) | instid1(VALU_DEP_1)
	v_cmp_eq_u32_e64 s0, 0, v9
	v_cndmask_b32_e64 v24, v24, v0, s0
; %bb.16:                               ;   in Loop: Header=BB128_10 Depth=1
	s_or_b32 exec_lo, exec_lo, s1
	v_and_b32_e32 v0, 0x7f800000, v1
                                        ; implicit-def: $vgpr25
	s_delay_alu instid0(VALU_DEP_1) | instskip(NEXT) | instid1(VALU_DEP_1)
	v_cmp_ne_u32_e64 s0, 0x7f800000, v0
	s_and_saveexec_b32 s1, s0
	s_delay_alu instid0(SALU_CYCLE_1)
	s_xor_b32 s0, exec_lo, s1
; %bb.17:                               ;   in Loop: Header=BB128_10 Depth=1
	v_bfe_u32 v0, v1, 16, 1
	s_delay_alu instid0(VALU_DEP_1)
	v_add3_u32 v25, v1, v0, 0x7fff
; %bb.18:                               ;   in Loop: Header=BB128_10 Depth=1
	s_and_not1_saveexec_b32 s1, s0
; %bb.19:                               ;   in Loop: Header=BB128_10 Depth=1
	v_and_b32_e32 v0, 0xffff, v1
	v_or_b32_e32 v9, 0x10000, v1
	s_delay_alu instid0(VALU_DEP_2) | instskip(NEXT) | instid1(VALU_DEP_1)
	v_cmp_eq_u32_e64 s0, 0, v0
	v_cndmask_b32_e64 v25, v9, v1, s0
; %bb.20:                               ;   in Loop: Header=BB128_10 Depth=1
	s_or_b32 exec_lo, exec_lo, s1
	v_and_b32_e32 v0, 0x7f800000, v2
                                        ; implicit-def: $vgpr26
	s_delay_alu instid0(VALU_DEP_1) | instskip(NEXT) | instid1(VALU_DEP_1)
	v_cmp_ne_u32_e64 s0, 0x7f800000, v0
	s_and_saveexec_b32 s1, s0
	s_delay_alu instid0(SALU_CYCLE_1)
	s_xor_b32 s0, exec_lo, s1
; %bb.21:                               ;   in Loop: Header=BB128_10 Depth=1
	v_bfe_u32 v0, v2, 16, 1
	s_delay_alu instid0(VALU_DEP_1)
	v_add3_u32 v26, v2, v0, 0x7fff
; %bb.22:                               ;   in Loop: Header=BB128_10 Depth=1
	s_and_not1_saveexec_b32 s1, s0
; %bb.23:                               ;   in Loop: Header=BB128_10 Depth=1
	v_and_b32_e32 v0, 0xffff, v2
	v_or_b32_e32 v1, 0x10000, v2
	s_delay_alu instid0(VALU_DEP_2) | instskip(NEXT) | instid1(VALU_DEP_1)
	v_cmp_eq_u32_e64 s0, 0, v0
	v_cndmask_b32_e64 v26, v1, v2, s0
; %bb.24:                               ;   in Loop: Header=BB128_10 Depth=1
	s_or_b32 exec_lo, exec_lo, s1
	v_and_b32_e32 v0, 0x7f800000, v3
                                        ; implicit-def: $vgpr27
	s_delay_alu instid0(VALU_DEP_1) | instskip(NEXT) | instid1(VALU_DEP_1)
	v_cmp_ne_u32_e64 s0, 0x7f800000, v0
	s_and_saveexec_b32 s1, s0
	s_delay_alu instid0(SALU_CYCLE_1)
	s_xor_b32 s0, exec_lo, s1
; %bb.25:                               ;   in Loop: Header=BB128_10 Depth=1
	v_bfe_u32 v0, v3, 16, 1
	s_delay_alu instid0(VALU_DEP_1)
	v_add3_u32 v27, v3, v0, 0x7fff
                                        ; implicit-def: $vgpr0_vgpr1_vgpr2_vgpr3
; %bb.26:                               ;   in Loop: Header=BB128_10 Depth=1
	s_and_not1_saveexec_b32 s1, s0
	s_cbranch_execz .LBB128_9
; %bb.27:                               ;   in Loop: Header=BB128_10 Depth=1
	v_and_b32_e32 v0, 0xffff, v3
	v_or_b32_e32 v1, 0x10000, v3
	s_delay_alu instid0(VALU_DEP_2) | instskip(NEXT) | instid1(VALU_DEP_1)
	v_cmp_eq_u32_e64 s0, 0, v0
	v_cndmask_b32_e64 v27, v1, v3, s0
	s_branch .LBB128_9
.LBB128_28:
	s_nop 0
	s_sendmsg sendmsg(MSG_DEALLOC_VGPRS)
	s_endpgm
	.section	.rodata,"a",@progbits
	.p2align	6, 0x0
	.amdhsa_kernel _ZN12tensorrt_llm7kernels32fusedQKNormRopeKernelNTokenHeadsIN3c108BFloat16ES3_Li128ELb1ELi2EEEvPviiifPKvS6_S6_PKlii
		.amdhsa_group_segment_fixed_size 0
		.amdhsa_private_segment_fixed_size 0
		.amdhsa_kernarg_size 320
		.amdhsa_user_sgpr_count 15
		.amdhsa_user_sgpr_dispatch_ptr 0
		.amdhsa_user_sgpr_queue_ptr 0
		.amdhsa_user_sgpr_kernarg_segment_ptr 1
		.amdhsa_user_sgpr_dispatch_id 0
		.amdhsa_user_sgpr_private_segment_size 0
		.amdhsa_wavefront_size32 1
		.amdhsa_uses_dynamic_stack 0
		.amdhsa_enable_private_segment 0
		.amdhsa_system_sgpr_workgroup_id_x 1
		.amdhsa_system_sgpr_workgroup_id_y 0
		.amdhsa_system_sgpr_workgroup_id_z 0
		.amdhsa_system_sgpr_workgroup_info 0
		.amdhsa_system_vgpr_workitem_id 0
		.amdhsa_next_free_vgpr 30
		.amdhsa_next_free_sgpr 21
		.amdhsa_reserve_vcc 1
		.amdhsa_float_round_mode_32 0
		.amdhsa_float_round_mode_16_64 0
		.amdhsa_float_denorm_mode_32 3
		.amdhsa_float_denorm_mode_16_64 3
		.amdhsa_dx10_clamp 1
		.amdhsa_ieee_mode 1
		.amdhsa_fp16_overflow 0
		.amdhsa_workgroup_processor_mode 1
		.amdhsa_memory_ordered 1
		.amdhsa_forward_progress 0
		.amdhsa_shared_vgpr_count 0
		.amdhsa_exception_fp_ieee_invalid_op 0
		.amdhsa_exception_fp_denorm_src 0
		.amdhsa_exception_fp_ieee_div_zero 0
		.amdhsa_exception_fp_ieee_overflow 0
		.amdhsa_exception_fp_ieee_underflow 0
		.amdhsa_exception_fp_ieee_inexact 0
		.amdhsa_exception_int_div_zero 0
	.end_amdhsa_kernel
	.section	.text._ZN12tensorrt_llm7kernels32fusedQKNormRopeKernelNTokenHeadsIN3c108BFloat16ES3_Li128ELb1ELi2EEEvPviiifPKvS6_S6_PKlii,"axG",@progbits,_ZN12tensorrt_llm7kernels32fusedQKNormRopeKernelNTokenHeadsIN3c108BFloat16ES3_Li128ELb1ELi2EEEvPviiifPKvS6_S6_PKlii,comdat
.Lfunc_end128:
	.size	_ZN12tensorrt_llm7kernels32fusedQKNormRopeKernelNTokenHeadsIN3c108BFloat16ES3_Li128ELb1ELi2EEEvPviiifPKvS6_S6_PKlii, .Lfunc_end128-_ZN12tensorrt_llm7kernels32fusedQKNormRopeKernelNTokenHeadsIN3c108BFloat16ES3_Li128ELb1ELi2EEEvPviiifPKvS6_S6_PKlii
                                        ; -- End function
	.section	.AMDGPU.csdata,"",@progbits
; Kernel info:
; codeLenInByte = 2184
; NumSgprs: 23
; NumVgprs: 30
; ScratchSize: 0
; MemoryBound: 0
; FloatMode: 240
; IeeeMode: 1
; LDSByteSize: 0 bytes/workgroup (compile time only)
; SGPRBlocks: 2
; VGPRBlocks: 3
; NumSGPRsForWavesPerEU: 23
; NumVGPRsForWavesPerEU: 30
; Occupancy: 16
; WaveLimiterHint : 0
; COMPUTE_PGM_RSRC2:SCRATCH_EN: 0
; COMPUTE_PGM_RSRC2:USER_SGPR: 15
; COMPUTE_PGM_RSRC2:TRAP_HANDLER: 0
; COMPUTE_PGM_RSRC2:TGID_X_EN: 1
; COMPUTE_PGM_RSRC2:TGID_Y_EN: 0
; COMPUTE_PGM_RSRC2:TGID_Z_EN: 0
; COMPUTE_PGM_RSRC2:TIDIG_COMP_CNT: 0
	.section	.text._ZN12tensorrt_llm7kernels32fusedQKNormRopeKernelNTokenHeadsIN3c108BFloat16ES3_Li128ELb0ELi2EEEvPviiifPKvS6_S6_PKlii,"axG",@progbits,_ZN12tensorrt_llm7kernels32fusedQKNormRopeKernelNTokenHeadsIN3c108BFloat16ES3_Li128ELb0ELi2EEEvPviiifPKvS6_S6_PKlii,comdat
	.protected	_ZN12tensorrt_llm7kernels32fusedQKNormRopeKernelNTokenHeadsIN3c108BFloat16ES3_Li128ELb0ELi2EEEvPviiifPKvS6_S6_PKlii ; -- Begin function _ZN12tensorrt_llm7kernels32fusedQKNormRopeKernelNTokenHeadsIN3c108BFloat16ES3_Li128ELb0ELi2EEEvPviiifPKvS6_S6_PKlii
	.globl	_ZN12tensorrt_llm7kernels32fusedQKNormRopeKernelNTokenHeadsIN3c108BFloat16ES3_Li128ELb0ELi2EEEvPviiifPKvS6_S6_PKlii
	.p2align	8
	.type	_ZN12tensorrt_llm7kernels32fusedQKNormRopeKernelNTokenHeadsIN3c108BFloat16ES3_Li128ELb0ELi2EEEvPviiifPKvS6_S6_PKlii,@function
_ZN12tensorrt_llm7kernels32fusedQKNormRopeKernelNTokenHeadsIN3c108BFloat16ES3_Li128ELb0ELi2EEEvPviiifPKvS6_S6_PKlii: ; @_ZN12tensorrt_llm7kernels32fusedQKNormRopeKernelNTokenHeadsIN3c108BFloat16ES3_Li128ELb0ELi2EEEvPviiifPKvS6_S6_PKlii
; %bb.0:
	s_clause 0x1
	s_load_b128 s[16:19], s[0:1], 0x8
	s_load_b64 s[2:3], s[0:1], 0x38
	v_lshrrev_b32_e32 v2, 5, v0
	s_waitcnt lgkmcnt(0)
	s_add_i32 s4, s17, s16
	s_delay_alu instid0(SALU_CYCLE_1) | instskip(NEXT) | instid1(SALU_CYCLE_1)
	s_add_i32 s5, s4, 1
	s_lshr_b32 s6, s5, 31
	s_delay_alu instid0(SALU_CYCLE_1) | instskip(NEXT) | instid1(SALU_CYCLE_1)
	s_add_i32 s5, s5, s6
	s_ashr_i32 s14, s5, 1
	s_load_b32 s5, s[0:1], 0x4c
	s_abs_i32 s6, s14
	s_delay_alu instid0(SALU_CYCLE_1) | instskip(SKIP_1) | instid1(VALU_DEP_1)
	v_cvt_f32_u32_e32 v1, s6
	s_sub_i32 s7, 0, s6
	v_rcp_iflag_f32_e32 v1, v1
	s_waitcnt_depctr 0xfff
	v_mul_f32_e32 v1, 0x4f7ffffe, v1
	s_waitcnt lgkmcnt(0)
	s_bfe_u32 s5, s5, 0xb0005
	s_delay_alu instid0(SALU_CYCLE_1) | instskip(NEXT) | instid1(VALU_DEP_2)
	v_mad_u64_u32 v[3:4], null, s15, s5, v[2:3]
	v_cvt_u32_f32_e32 v1, v1
	s_delay_alu instid0(VALU_DEP_1) | instskip(NEXT) | instid1(VALU_DEP_1)
	v_mul_lo_u32 v5, s7, v1
	v_mul_hi_u32 v4, v1, v5
	s_delay_alu instid0(VALU_DEP_4) | instskip(NEXT) | instid1(VALU_DEP_1)
	v_sub_nc_u32_e32 v5, 0, v3
	v_max_i32_e32 v5, v3, v5
	s_delay_alu instid0(VALU_DEP_3) | instskip(NEXT) | instid1(VALU_DEP_1)
	v_add_nc_u32_e32 v1, v1, v4
	v_mul_hi_u32 v1, v5, v1
	s_delay_alu instid0(VALU_DEP_1) | instskip(NEXT) | instid1(VALU_DEP_1)
	v_mul_lo_u32 v4, v1, s6
	v_sub_nc_u32_e32 v4, v5, v4
	v_add_nc_u32_e32 v5, 1, v1
	s_delay_alu instid0(VALU_DEP_2) | instskip(SKIP_1) | instid1(VALU_DEP_2)
	v_subrev_nc_u32_e32 v6, s6, v4
	v_cmp_le_u32_e32 vcc_lo, s6, v4
	v_dual_cndmask_b32 v4, v4, v6 :: v_dual_cndmask_b32 v1, v1, v5
	v_xor_b32_e32 v5, s14, v3
	s_delay_alu instid0(VALU_DEP_2) | instskip(NEXT) | instid1(VALU_DEP_3)
	v_cmp_le_u32_e32 vcc_lo, s6, v4
	v_add_nc_u32_e32 v6, 1, v1
	s_delay_alu instid0(VALU_DEP_3) | instskip(NEXT) | instid1(VALU_DEP_2)
	v_ashrrev_i32_e32 v5, 31, v5
	v_cndmask_b32_e32 v1, v1, v6, vcc_lo
	s_delay_alu instid0(VALU_DEP_1) | instskip(NEXT) | instid1(VALU_DEP_1)
	v_xor_b32_e32 v1, v1, v5
	v_sub_nc_u32_e32 v1, v1, v5
	s_delay_alu instid0(VALU_DEP_1)
	v_cmp_gt_i32_e32 vcc_lo, s2, v1
	s_and_saveexec_b32 s2, vcc_lo
	s_cbranch_execz .LBB129_28
; %bb.1:
	v_mul_lo_u32 v4, v1, s14
	s_load_b64 s[12:13], s[0:1], 0x0
	v_and_b32_e32 v8, 31, v0
	v_lshlrev_b32_e32 v12, 9, v2
	v_lshlrev_b32_e32 v9, 8, v3
	s_lshl_b32 s20, s3, 1
	s_delay_alu instid0(VALU_DEP_3) | instskip(SKIP_2) | instid1(VALU_DEP_1)
	v_lshlrev_b32_e32 v0, 3, v8
	v_sub_nc_u32_e32 v4, v3, v4
	s_mul_i32 s15, s20, s5
	v_lshlrev_b32_e32 v10, 1, v4
	s_delay_alu instid0(VALU_DEP_1) | instskip(SKIP_1) | instid1(VALU_DEP_2)
	v_add_nc_u32_e32 v4, 2, v10
	v_sub_nc_u32_e32 v5, s4, v10
	v_cmp_lt_i32_e32 vcc_lo, s4, v4
	s_delay_alu instid0(VALU_DEP_2) | instskip(NEXT) | instid1(VALU_DEP_1)
	v_cndmask_b32_e32 v11, 2, v5, vcc_lo
	v_cmp_lt_i32_e32 vcc_lo, 0, v11
	s_and_saveexec_b32 s4, vcc_lo
	s_cbranch_execz .LBB129_4
; %bb.2:
	s_add_i32 s2, s18, s17
	s_lshl_b32 s5, s14, 1
	s_add_i32 s2, s2, s16
	s_mov_b32 s6, 0
	s_sub_i32 s2, s2, s5
	s_mov_b32 s5, 0
	v_mul_lo_u32 v3, s2, v1
	s_add_i32 s2, s15, 0
	s_delay_alu instid0(SALU_CYCLE_1) | instskip(NEXT) | instid1(VALU_DEP_2)
	v_add3_u32 v5, s2, v12, v0
	v_lshl_add_u32 v3, v3, 7, v9
	s_delay_alu instid0(VALU_DEP_1)
	v_lshl_or_b32 v3, v8, 2, v3
	.p2align	6
.LBB129_3:                              ; =>This Inner Loop Header: Depth=1
	s_delay_alu instid0(VALU_DEP_1) | instskip(SKIP_1) | instid1(VALU_DEP_1)
	v_ashrrev_i32_e32 v4, 31, v3
	s_add_i32 s6, s6, 1
	v_lshlrev_b64 v[6:7], 1, v[3:4]
	v_add_nc_u32_e32 v3, 0x80, v3
	s_waitcnt lgkmcnt(0)
	s_delay_alu instid0(VALU_DEP_2) | instskip(NEXT) | instid1(VALU_DEP_1)
	v_add_co_u32 v6, s2, s12, v6
	v_add_co_ci_u32_e64 v7, s2, s13, v7, s2
	v_cmp_ge_i32_e64 s2, s6, v11
	global_load_b64 v[6:7], v[6:7], off
	s_or_b32 s5, s2, s5
	s_waitcnt vmcnt(0)
	ds_store_b64 v5, v[6:7]
	v_add_nc_u32_e32 v5, 0x100, v5
	s_and_not1_b32 exec_lo, exec_lo, s5
	s_cbranch_execnz .LBB129_3
.LBB129_4:
	s_or_b32 exec_lo, exec_lo, s4
	s_load_b256 s[4:11], s[0:1], 0x18
	s_add_i32 s0, s20, 15
	v_mul_lo_u32 v13, v2, s3
	s_ashr_i32 s1, s0, 31
	s_mov_b32 s20, exec_lo
	s_lshr_b32 s1, s1, 28
	s_delay_alu instid0(SALU_CYCLE_1) | instskip(NEXT) | instid1(SALU_CYCLE_1)
	s_add_i32 s0, s0, s1
	s_ashr_i32 s2, s0, 4
	s_delay_alu instid0(SALU_CYCLE_1)
	v_cmpx_gt_i32_e64 s2, v8
	s_cbranch_execz .LBB129_7
; %bb.5:
	v_ashrrev_i32_e32 v2, 31, v1
	s_delay_alu instid0(VALU_DEP_1) | instskip(SKIP_1) | instid1(VALU_DEP_1)
	v_lshlrev_b64 v[2:3], 3, v[1:2]
	s_waitcnt lgkmcnt(0)
	v_add_co_u32 v2, s0, s10, v2
	s_delay_alu instid0(VALU_DEP_1)
	v_add_co_ci_u32_e64 v3, s0, s11, v3, s0
	s_ashr_i32 s0, s3, 31
	global_load_b64 v[2:3], v[2:3], off
	s_waitcnt vmcnt(0)
	v_mul_lo_u32 v5, v3, s3
	v_mul_lo_u32 v6, v2, s0
	v_mad_u64_u32 v[3:4], null, v2, s3, 0
	s_delay_alu instid0(VALU_DEP_1) | instskip(SKIP_1) | instid1(VALU_DEP_2)
	v_add3_u32 v4, v4, v6, v5
	v_lshlrev_b32_e32 v5, 1, v13
	v_lshlrev_b64 v[2:3], 1, v[3:4]
	v_lshlrev_b32_e32 v4, 4, v8
	s_delay_alu instid0(VALU_DEP_1) | instskip(NEXT) | instid1(VALU_DEP_1)
	v_add_co_u32 v2, s0, v2, v4
	v_add_co_ci_u32_e64 v3, s0, 0, v3, s0
	v_add3_u32 v4, v5, v4, 0
	v_mov_b32_e32 v5, v8
	s_delay_alu instid0(VALU_DEP_4) | instskip(NEXT) | instid1(VALU_DEP_1)
	v_add_co_u32 v2, s0, s8, v2
	v_add_co_ci_u32_e64 v3, s0, s9, v3, s0
	s_mov_b32 s8, 0
	.p2align	6
.LBB129_6:                              ; =>This Inner Loop Header: Depth=1
	global_load_b128 v[14:17], v[2:3], off
	v_add_nc_u32_e32 v5, 32, v5
	v_add_co_u32 v2, s0, 0x200, v2
	s_delay_alu instid0(VALU_DEP_1) | instskip(NEXT) | instid1(VALU_DEP_3)
	v_add_co_ci_u32_e64 v3, s0, 0, v3, s0
	v_cmp_le_i32_e64 s1, s2, v5
	s_delay_alu instid0(VALU_DEP_1)
	s_or_b32 s8, s1, s8
	s_waitcnt vmcnt(0)
	ds_store_b128 v4, v[14:17]
	v_add_nc_u32_e32 v4, 0x200, v4
	s_and_not1_b32 exec_lo, exec_lo, s8
	s_cbranch_execnz .LBB129_6
.LBB129_7:
	s_or_b32 exec_lo, exec_lo, s20
	s_delay_alu instid0(SALU_CYCLE_1)
	s_and_b32 exec_lo, exec_lo, vcc_lo
	s_cbranch_execz .LBB129_28
; %bb.8:
	s_waitcnt lgkmcnt(0)
	s_clause 0x1
	global_load_b64 v[4:5], v0, s[4:5]
	global_load_b64 v[6:7], v0, s[6:7]
	s_abs_i32 s2, s3
	s_lshr_b32 s0, s3, 31
	v_cvt_f32_u32_e32 v2, s2
	s_add_i32 s0, s3, s0
	v_lshl_add_u32 v3, v13, 1, 0
	s_and_b32 s0, s0, -2
	v_mbcnt_lo_u32_b32 v13, -1, 0
	v_rcp_iflag_f32_e32 v2, v2
	s_ashr_i32 s1, s3, 31
	v_add_nc_u32_e32 v30, s15, v12
	s_lshr_b32 s6, s1, 30
	s_lshr_b32 s1, s1, 29
	v_xor_b32_e32 v12, 16, v13
	s_add_i32 s6, s3, s6
	s_add_i32 s1, s3, s1
	s_sub_i32 s7, 0, s2
	s_waitcnt_depctr 0xfff
	v_dual_mul_f32 v2, 0x4f7ffffe, v2 :: v_dual_add_nc_u32 v25, s0, v3
	s_ashr_i32 s0, s6, 2
	s_ashr_i32 s1, s1, 3
	v_xor_b32_e32 v14, 8, v13
	v_cmp_gt_i32_e32 vcc_lo, s0, v8
	v_cvt_u32_f32_e32 v2, v2
	v_xor_b32_e32 v22, s1, v13
	v_cmp_gt_i32_e64 s0, s1, v8
	v_cmp_gt_i32_e64 s1, 32, v12
	v_xor_b32_e32 v19, 4, v13
	v_mul_lo_u32 v15, s7, v2
	v_xor_b32_e32 v20, 2, v13
	s_add_i32 s4, s18, s17
	v_cndmask_b32_e64 v12, v13, v12, s1
	v_cmp_gt_i32_e64 s1, 32, v14
	s_lshl_b32 s5, s14, 1
	s_add_i32 s4, s4, s16
	v_or_b32_e32 v16, 2, v0
	v_mul_hi_u32 v15, v2, v15
	v_cndmask_b32_e64 v14, v13, v14, s1
	v_cmp_gt_i32_e64 s1, 32, v19
	s_sub_i32 s3, s4, s5
	v_or_b32_e32 v17, 4, v0
	v_or_b32_e32 v18, 6, v0
	v_mul_lo_u32 v1, s3, v1
	v_xor_b32_e32 v21, 1, v13
	v_add_nc_u32_e32 v2, v2, v15
	v_cndmask_b32_e64 v15, v13, v19, s1
	v_cmp_gt_i32_e64 s1, 32, v20
	v_lshlrev_b32_e32 v12, 2, v12
	v_add3_u32 v30, v30, v0, 0
	v_mul_hi_u32 v23, v16, v2
	v_mul_hi_u32 v24, v17, v2
	v_cndmask_b32_e64 v19, v13, v20, s1
	v_mul_hi_u32 v20, v0, v2
	v_mul_hi_u32 v2, v18, v2
	v_lshl_add_u32 v1, v1, 7, v9
	v_cmp_gt_i32_e64 s1, 32, v21
	s_mov_b32 s3, 0
	s_mov_b32 s4, 0
	s_delay_alu instid0(VALU_DEP_2)
	v_lshl_or_b32 v8, v8, 2, v1
	v_mul_lo_u32 v9, v20, s2
	v_mul_lo_u32 v20, v23, s2
	;; [unrolled: 1-line block ×3, first 2 shown]
	v_cndmask_b32_e64 v21, v13, v21, s1
	v_cmp_gt_i32_e64 s1, 32, v22
	v_mul_lo_u32 v23, v24, s2
	v_sub_nc_u32_e32 v9, v0, v9
	s_delay_alu instid0(VALU_DEP_3)
	v_cndmask_b32_e64 v22, v13, v22, s1
	v_lshlrev_b32_e32 v13, 2, v14
	v_lshlrev_b32_e32 v14, 2, v15
	;; [unrolled: 1-line block ×3, first 2 shown]
	v_sub_nc_u32_e32 v19, v16, v20
	v_sub_nc_u32_e32 v2, v18, v2
	v_subrev_nc_u32_e32 v18, s2, v9
	v_cmp_le_u32_e64 s1, s2, v9
	v_sub_nc_u32_e32 v17, v17, v23
	v_subrev_nc_u32_e32 v20, s2, v19
	v_lshlrev_b32_e32 v16, 2, v21
	v_subrev_nc_u32_e32 v23, s2, v2
	v_cndmask_b32_e64 v9, v9, v18, s1
	v_cmp_le_u32_e64 s1, s2, v19
	v_subrev_nc_u32_e32 v21, s2, v17
	s_delay_alu instid0(VALU_DEP_2) | instskip(SKIP_2) | instid1(VALU_DEP_2)
	v_cndmask_b32_e64 v18, v19, v20, s1
	v_cmp_le_u32_e64 s1, s2, v17
	v_subrev_nc_u32_e32 v20, s2, v9
	v_cndmask_b32_e64 v19, v17, v21, s1
	v_cmp_le_u32_e64 s1, s2, v2
	v_subrev_nc_u32_e32 v21, s2, v18
	v_lshlrev_b32_e32 v17, 2, v22
	s_delay_alu instid0(VALU_DEP_4) | instskip(NEXT) | instid1(VALU_DEP_4)
	v_subrev_nc_u32_e32 v22, s2, v19
	v_cndmask_b32_e64 v2, v2, v23, s1
	v_cmp_le_u32_e64 s1, s2, v9
	s_delay_alu instid0(VALU_DEP_2) | instskip(NEXT) | instid1(VALU_DEP_2)
	v_subrev_nc_u32_e32 v23, s2, v2
	v_cndmask_b32_e64 v9, v9, v20, s1
	v_cmp_le_u32_e64 s1, s2, v18
	s_delay_alu instid0(VALU_DEP_2) | instskip(NEXT) | instid1(VALU_DEP_2)
	v_and_b32_e32 v9, -2, v9
	v_cndmask_b32_e64 v18, v18, v21, s1
	v_cmp_le_u32_e64 s1, s2, v19
	s_delay_alu instid0(VALU_DEP_2) | instskip(NEXT) | instid1(VALU_DEP_2)
	v_and_b32_e32 v1, -2, v18
	v_cndmask_b32_e64 v19, v19, v22, s1
	v_cmp_le_u32_e64 s1, s2, v2
	v_add_nc_u32_e32 v18, v3, v9
	s_delay_alu instid0(VALU_DEP_4) | instskip(SKIP_1) | instid1(VALU_DEP_4)
	v_add_nc_u32_e32 v20, v3, v1
	v_add_nc_u32_e32 v21, v25, v1
	v_cndmask_b32_e64 v2, v2, v23, s1
	v_and_b32_e32 v23, -2, v19
	v_add_nc_u32_e32 v19, v25, v9
	s_delay_alu instid0(VALU_DEP_3) | instskip(NEXT) | instid1(VALU_DEP_3)
	v_and_b32_e32 v2, -2, v2
	v_add_nc_u32_e32 v22, v3, v23
	v_add_nc_u32_e32 v23, v25, v23
	s_delay_alu instid0(VALU_DEP_3)
	v_add_nc_u32_e32 v24, v3, v2
	v_add_nc_u32_e32 v25, v25, v2
	s_waitcnt vmcnt(1)
	v_lshrrev_b32_e32 v26, 16, v4
	v_lshrrev_b32_e32 v27, 16, v5
	s_waitcnt vmcnt(0)
	v_lshrrev_b32_e32 v28, 16, v6
	v_lshrrev_b32_e32 v29, 16, v7
	s_branch .LBB129_10
.LBB129_9:                              ;   in Loop: Header=BB129_10 Depth=1
	s_or_b32 exec_lo, exec_lo, s2
	v_ashrrev_i32_e32 v9, 31, v8
	v_lshrrev_b32_e32 v2, 16, v33
	v_and_b32_e32 v3, 0xffff0000, v34
	s_add_i32 s4, s4, 1
	v_add_nc_u32_e32 v30, 0x100, v30
	v_lshlrev_b64 v[0:1], 1, v[8:9]
	v_lshrrev_b32_e32 v9, 16, v31
	v_cmp_ge_i32_e64 s1, s4, v11
	v_or_b32_e32 v2, v3, v2
	v_add_nc_u32_e32 v8, 0x80, v8
	v_add_co_u32 v33, s2, s12, v0
	s_delay_alu instid0(VALU_DEP_1)
	v_add_co_ci_u32_e64 v34, s2, s13, v1, s2
	v_and_or_b32 v1, 0xffff0000, v32, v9
	s_or_b32 s3, s1, s3
	global_store_b64 v[33:34], v[1:2], off
	s_and_not1_b32 exec_lo, exec_lo, s3
	s_cbranch_execz .LBB129_28
.LBB129_10:                             ; =>This Inner Loop Header: Depth=1
	ds_load_b64 v[0:1], v30
	s_waitcnt lgkmcnt(0)
	v_lshlrev_b32_e32 v3, 16, v0
	v_and_b32_e32 v2, 0xffff0000, v0
	v_alignbit_b32 v0, v1, v0, 16
	s_delay_alu instid0(VALU_DEP_2) | instskip(NEXT) | instid1(VALU_DEP_2)
	v_dual_mul_f32 v9, v2, v2 :: v_dual_and_b32 v32, 0xffff0000, v1
	v_and_b32_e32 v31, 0xffff0000, v0
	s_delay_alu instid0(VALU_DEP_2) | instskip(NEXT) | instid1(VALU_DEP_1)
	v_fmac_f32_e32 v9, v3, v3
	v_fmac_f32_e32 v9, v31, v31
	s_delay_alu instid0(VALU_DEP_1)
	v_fmac_f32_e32 v9, v32, v32
	ds_bpermute_b32 v0, v12, v9
	s_waitcnt lgkmcnt(0)
	v_add_f32_e32 v0, v9, v0
	ds_bpermute_b32 v1, v13, v0
	s_waitcnt lgkmcnt(0)
	v_add_f32_e32 v0, v0, v1
	;; [unrolled: 3-line block ×5, first 2 shown]
	s_delay_alu instid0(VALU_DEP_1) | instskip(NEXT) | instid1(VALU_DEP_1)
	v_fma_f32 v0, 0x3c000000, v0, s19
	v_mul_f32_e32 v1, 0x4b800000, v0
	v_cmp_gt_f32_e64 s1, 0x800000, v0
	s_delay_alu instid0(VALU_DEP_1) | instskip(SKIP_1) | instid1(VALU_DEP_2)
	v_cndmask_b32_e64 v0, v0, v1, s1
	v_add_nc_u32_e32 v1, s4, v10
	v_rsq_f32_e32 v0, v0
	s_delay_alu instid0(VALU_DEP_1) | instskip(NEXT) | instid1(VALU_DEP_1)
	v_cmp_gt_i32_e64 s2, s16, v1
	v_cndmask_b32_e64 v33, v28, v26, s2
	v_cndmask_b32_e64 v34, v7, v5, s2
	;; [unrolled: 1-line block ×4, first 2 shown]
	s_waitcnt_depctr 0xfff
	v_mul_f32_e32 v9, 0x45800000, v0
	s_delay_alu instid0(VALU_DEP_1) | instskip(SKIP_2) | instid1(VALU_DEP_2)
	v_cndmask_b32_e64 v0, v0, v9, s1
	v_lshlrev_b32_e32 v9, 16, v33
	v_lshlrev_b32_e32 v33, 16, v34
	v_dual_mul_f32 v9, v0, v9 :: v_dual_lshlrev_b32 v34, 16, v35
	s_delay_alu instid0(VALU_DEP_2) | instskip(NEXT) | instid1(VALU_DEP_2)
	v_mul_f32_e32 v33, v0, v33
	v_dual_mul_f32 v34, v0, v34 :: v_dual_lshlrev_b32 v1, 16, v1
	s_delay_alu instid0(VALU_DEP_1) | instskip(NEXT) | instid1(VALU_DEP_1)
	v_mul_f32_e32 v1, v0, v1
	v_mul_f32_e32 v0, v1, v3
	;; [unrolled: 1-line block ×3, first 2 shown]
	s_delay_alu instid0(VALU_DEP_4)
	v_dual_mul_f32 v2, v33, v31 :: v_dual_mul_f32 v3, v34, v32
	s_and_saveexec_b32 s1, vcc_lo
	s_cbranch_execz .LBB129_12
; %bb.11:                               ;   in Loop: Header=BB129_10 Depth=1
	; wave barrier
	ds_load_u16 v31, v18
	ds_load_u16 v32, v19
	ds_bpermute_b32 v33, v17, v1
	ds_load_u16 v34, v20
	ds_load_u16 v35, v21
	ds_bpermute_b32 v9, v17, v0
	ds_bpermute_b32 v36, v17, v2
	ds_load_u16 v37, v23
	ds_bpermute_b32 v38, v17, v3
	ds_load_u16 v39, v25
	ds_load_u16 v40, v22
	ds_load_u16 v41, v24
	; wave barrier
	s_waitcnt lgkmcnt(11)
	v_lshlrev_b32_e32 v42, 16, v31
	s_waitcnt lgkmcnt(10)
	v_lshlrev_b32_e32 v31, 16, v32
	s_waitcnt lgkmcnt(9)
	v_cndmask_b32_e64 v32, v33, -v33, s0
	s_waitcnt lgkmcnt(7)
	v_lshlrev_b32_e32 v33, 16, v35
	s_waitcnt lgkmcnt(6)
	v_cndmask_b32_e64 v9, v9, -v9, s0
	s_delay_alu instid0(VALU_DEP_2)
	v_mul_f32_e32 v32, v32, v33
	s_waitcnt lgkmcnt(4)
	v_lshlrev_b32_e32 v35, 16, v37
	s_waitcnt lgkmcnt(2)
	v_lshlrev_b32_e32 v37, 16, v39
	v_lshlrev_b32_e32 v43, 16, v34
	v_cndmask_b32_e64 v34, v36, -v36, s0
	v_cndmask_b32_e64 v36, v38, -v38, s0
	v_mul_f32_e32 v31, v9, v31
	s_delay_alu instid0(VALU_DEP_2) | instskip(SKIP_2) | instid1(VALU_DEP_1)
	v_dual_mul_f32 v33, v34, v35 :: v_dual_mul_f32 v34, v36, v37
	s_waitcnt lgkmcnt(0)
	v_dual_fmac_f32 v32, v1, v43 :: v_dual_lshlrev_b32 v35, 16, v41
	v_dual_fmac_f32 v34, v3, v35 :: v_dual_lshlrev_b32 v9, 16, v40
	s_delay_alu instid0(VALU_DEP_1) | instskip(SKIP_1) | instid1(VALU_DEP_1)
	v_fmac_f32_e32 v33, v2, v9
	v_fmac_f32_e32 v31, v0, v42
	v_dual_mov_b32 v0, v31 :: v_dual_mov_b32 v1, v32
	s_delay_alu instid0(VALU_DEP_3)
	v_dual_mov_b32 v2, v33 :: v_dual_mov_b32 v3, v34
.LBB129_12:                             ;   in Loop: Header=BB129_10 Depth=1
	s_or_b32 exec_lo, exec_lo, s1
	s_delay_alu instid0(VALU_DEP_2) | instskip(NEXT) | instid1(VALU_DEP_1)
	v_and_b32_e32 v9, 0x7f800000, v0
                                        ; implicit-def: $vgpr31
	v_cmp_ne_u32_e64 s1, 0x7f800000, v9
	s_delay_alu instid0(VALU_DEP_1) | instskip(NEXT) | instid1(SALU_CYCLE_1)
	s_and_saveexec_b32 s2, s1
	s_xor_b32 s1, exec_lo, s2
; %bb.13:                               ;   in Loop: Header=BB129_10 Depth=1
	v_bfe_u32 v9, v0, 16, 1
	s_delay_alu instid0(VALU_DEP_1)
	v_add3_u32 v31, v0, v9, 0x7fff
; %bb.14:                               ;   in Loop: Header=BB129_10 Depth=1
	s_and_not1_saveexec_b32 s2, s1
; %bb.15:                               ;   in Loop: Header=BB129_10 Depth=1
	v_and_b32_e32 v9, 0xffff, v0
	v_or_b32_e32 v31, 0x10000, v0
	s_delay_alu instid0(VALU_DEP_2) | instskip(NEXT) | instid1(VALU_DEP_1)
	v_cmp_eq_u32_e64 s1, 0, v9
	v_cndmask_b32_e64 v31, v31, v0, s1
; %bb.16:                               ;   in Loop: Header=BB129_10 Depth=1
	s_or_b32 exec_lo, exec_lo, s2
	v_and_b32_e32 v0, 0x7f800000, v1
                                        ; implicit-def: $vgpr32
	s_delay_alu instid0(VALU_DEP_1) | instskip(NEXT) | instid1(VALU_DEP_1)
	v_cmp_ne_u32_e64 s1, 0x7f800000, v0
	s_and_saveexec_b32 s2, s1
	s_delay_alu instid0(SALU_CYCLE_1)
	s_xor_b32 s1, exec_lo, s2
; %bb.17:                               ;   in Loop: Header=BB129_10 Depth=1
	v_bfe_u32 v0, v1, 16, 1
	s_delay_alu instid0(VALU_DEP_1)
	v_add3_u32 v32, v1, v0, 0x7fff
; %bb.18:                               ;   in Loop: Header=BB129_10 Depth=1
	s_and_not1_saveexec_b32 s2, s1
; %bb.19:                               ;   in Loop: Header=BB129_10 Depth=1
	v_and_b32_e32 v0, 0xffff, v1
	v_or_b32_e32 v9, 0x10000, v1
	s_delay_alu instid0(VALU_DEP_2) | instskip(NEXT) | instid1(VALU_DEP_1)
	v_cmp_eq_u32_e64 s1, 0, v0
	v_cndmask_b32_e64 v32, v9, v1, s1
; %bb.20:                               ;   in Loop: Header=BB129_10 Depth=1
	s_or_b32 exec_lo, exec_lo, s2
	v_and_b32_e32 v0, 0x7f800000, v2
                                        ; implicit-def: $vgpr33
	s_delay_alu instid0(VALU_DEP_1) | instskip(NEXT) | instid1(VALU_DEP_1)
	v_cmp_ne_u32_e64 s1, 0x7f800000, v0
	s_and_saveexec_b32 s2, s1
	s_delay_alu instid0(SALU_CYCLE_1)
	s_xor_b32 s1, exec_lo, s2
; %bb.21:                               ;   in Loop: Header=BB129_10 Depth=1
	v_bfe_u32 v0, v2, 16, 1
	s_delay_alu instid0(VALU_DEP_1)
	v_add3_u32 v33, v2, v0, 0x7fff
; %bb.22:                               ;   in Loop: Header=BB129_10 Depth=1
	s_and_not1_saveexec_b32 s2, s1
; %bb.23:                               ;   in Loop: Header=BB129_10 Depth=1
	v_and_b32_e32 v0, 0xffff, v2
	v_or_b32_e32 v1, 0x10000, v2
	s_delay_alu instid0(VALU_DEP_2) | instskip(NEXT) | instid1(VALU_DEP_1)
	v_cmp_eq_u32_e64 s1, 0, v0
	v_cndmask_b32_e64 v33, v1, v2, s1
; %bb.24:                               ;   in Loop: Header=BB129_10 Depth=1
	s_or_b32 exec_lo, exec_lo, s2
	v_and_b32_e32 v0, 0x7f800000, v3
                                        ; implicit-def: $vgpr34
	s_delay_alu instid0(VALU_DEP_1) | instskip(NEXT) | instid1(VALU_DEP_1)
	v_cmp_ne_u32_e64 s1, 0x7f800000, v0
	s_and_saveexec_b32 s2, s1
	s_delay_alu instid0(SALU_CYCLE_1)
	s_xor_b32 s1, exec_lo, s2
; %bb.25:                               ;   in Loop: Header=BB129_10 Depth=1
	v_bfe_u32 v0, v3, 16, 1
	s_delay_alu instid0(VALU_DEP_1)
	v_add3_u32 v34, v3, v0, 0x7fff
                                        ; implicit-def: $vgpr0_vgpr1_vgpr2_vgpr3
; %bb.26:                               ;   in Loop: Header=BB129_10 Depth=1
	s_and_not1_saveexec_b32 s2, s1
	s_cbranch_execz .LBB129_9
; %bb.27:                               ;   in Loop: Header=BB129_10 Depth=1
	v_and_b32_e32 v0, 0xffff, v3
	v_or_b32_e32 v1, 0x10000, v3
	s_delay_alu instid0(VALU_DEP_2) | instskip(NEXT) | instid1(VALU_DEP_1)
	v_cmp_eq_u32_e64 s1, 0, v0
	v_cndmask_b32_e64 v34, v1, v3, s1
	s_branch .LBB129_9
.LBB129_28:
	s_nop 0
	s_sendmsg sendmsg(MSG_DEALLOC_VGPRS)
	s_endpgm
	.section	.rodata,"a",@progbits
	.p2align	6, 0x0
	.amdhsa_kernel _ZN12tensorrt_llm7kernels32fusedQKNormRopeKernelNTokenHeadsIN3c108BFloat16ES3_Li128ELb0ELi2EEEvPviiifPKvS6_S6_PKlii
		.amdhsa_group_segment_fixed_size 0
		.amdhsa_private_segment_fixed_size 0
		.amdhsa_kernarg_size 320
		.amdhsa_user_sgpr_count 15
		.amdhsa_user_sgpr_dispatch_ptr 0
		.amdhsa_user_sgpr_queue_ptr 0
		.amdhsa_user_sgpr_kernarg_segment_ptr 1
		.amdhsa_user_sgpr_dispatch_id 0
		.amdhsa_user_sgpr_private_segment_size 0
		.amdhsa_wavefront_size32 1
		.amdhsa_uses_dynamic_stack 0
		.amdhsa_enable_private_segment 0
		.amdhsa_system_sgpr_workgroup_id_x 1
		.amdhsa_system_sgpr_workgroup_id_y 0
		.amdhsa_system_sgpr_workgroup_id_z 0
		.amdhsa_system_sgpr_workgroup_info 0
		.amdhsa_system_vgpr_workitem_id 0
		.amdhsa_next_free_vgpr 44
		.amdhsa_next_free_sgpr 21
		.amdhsa_reserve_vcc 1
		.amdhsa_float_round_mode_32 0
		.amdhsa_float_round_mode_16_64 0
		.amdhsa_float_denorm_mode_32 3
		.amdhsa_float_denorm_mode_16_64 3
		.amdhsa_dx10_clamp 1
		.amdhsa_ieee_mode 1
		.amdhsa_fp16_overflow 0
		.amdhsa_workgroup_processor_mode 1
		.amdhsa_memory_ordered 1
		.amdhsa_forward_progress 0
		.amdhsa_shared_vgpr_count 0
		.amdhsa_exception_fp_ieee_invalid_op 0
		.amdhsa_exception_fp_denorm_src 0
		.amdhsa_exception_fp_ieee_div_zero 0
		.amdhsa_exception_fp_ieee_overflow 0
		.amdhsa_exception_fp_ieee_underflow 0
		.amdhsa_exception_fp_ieee_inexact 0
		.amdhsa_exception_int_div_zero 0
	.end_amdhsa_kernel
	.section	.text._ZN12tensorrt_llm7kernels32fusedQKNormRopeKernelNTokenHeadsIN3c108BFloat16ES3_Li128ELb0ELi2EEEvPviiifPKvS6_S6_PKlii,"axG",@progbits,_ZN12tensorrt_llm7kernels32fusedQKNormRopeKernelNTokenHeadsIN3c108BFloat16ES3_Li128ELb0ELi2EEEvPviiifPKvS6_S6_PKlii,comdat
.Lfunc_end129:
	.size	_ZN12tensorrt_llm7kernels32fusedQKNormRopeKernelNTokenHeadsIN3c108BFloat16ES3_Li128ELb0ELi2EEEvPviiifPKvS6_S6_PKlii, .Lfunc_end129-_ZN12tensorrt_llm7kernels32fusedQKNormRopeKernelNTokenHeadsIN3c108BFloat16ES3_Li128ELb0ELi2EEEvPviiifPKvS6_S6_PKlii
                                        ; -- End function
	.section	.AMDGPU.csdata,"",@progbits
; Kernel info:
; codeLenInByte = 2724
; NumSgprs: 23
; NumVgprs: 44
; ScratchSize: 0
; MemoryBound: 0
; FloatMode: 240
; IeeeMode: 1
; LDSByteSize: 0 bytes/workgroup (compile time only)
; SGPRBlocks: 2
; VGPRBlocks: 5
; NumSGPRsForWavesPerEU: 23
; NumVGPRsForWavesPerEU: 44
; Occupancy: 16
; WaveLimiterHint : 0
; COMPUTE_PGM_RSRC2:SCRATCH_EN: 0
; COMPUTE_PGM_RSRC2:USER_SGPR: 15
; COMPUTE_PGM_RSRC2:TRAP_HANDLER: 0
; COMPUTE_PGM_RSRC2:TGID_X_EN: 1
; COMPUTE_PGM_RSRC2:TGID_Y_EN: 0
; COMPUTE_PGM_RSRC2:TGID_Z_EN: 0
; COMPUTE_PGM_RSRC2:TIDIG_COMP_CNT: 0
	.section	.text._ZN12tensorrt_llm7kernels32fusedQKNormRopeKernelNTokenHeadsIN3c108BFloat16ES3_Li256ELb1ELi2EEEvPviiifPKvS6_S6_PKlii,"axG",@progbits,_ZN12tensorrt_llm7kernels32fusedQKNormRopeKernelNTokenHeadsIN3c108BFloat16ES3_Li256ELb1ELi2EEEvPviiifPKvS6_S6_PKlii,comdat
	.protected	_ZN12tensorrt_llm7kernels32fusedQKNormRopeKernelNTokenHeadsIN3c108BFloat16ES3_Li256ELb1ELi2EEEvPviiifPKvS6_S6_PKlii ; -- Begin function _ZN12tensorrt_llm7kernels32fusedQKNormRopeKernelNTokenHeadsIN3c108BFloat16ES3_Li256ELb1ELi2EEEvPviiifPKvS6_S6_PKlii
	.globl	_ZN12tensorrt_llm7kernels32fusedQKNormRopeKernelNTokenHeadsIN3c108BFloat16ES3_Li256ELb1ELi2EEEvPviiifPKvS6_S6_PKlii
	.p2align	8
	.type	_ZN12tensorrt_llm7kernels32fusedQKNormRopeKernelNTokenHeadsIN3c108BFloat16ES3_Li256ELb1ELi2EEEvPviiifPKvS6_S6_PKlii,@function
_ZN12tensorrt_llm7kernels32fusedQKNormRopeKernelNTokenHeadsIN3c108BFloat16ES3_Li256ELb1ELi2EEEvPviiifPKvS6_S6_PKlii: ; @_ZN12tensorrt_llm7kernels32fusedQKNormRopeKernelNTokenHeadsIN3c108BFloat16ES3_Li256ELb1ELi2EEEvPviiifPKvS6_S6_PKlii
; %bb.0:
	s_clause 0x1
	s_load_b128 s[16:19], s[0:1], 0x8
	s_load_b64 s[2:3], s[0:1], 0x38
	v_lshrrev_b32_e32 v2, 5, v0
	s_waitcnt lgkmcnt(0)
	s_add_i32 s4, s17, s16
	s_delay_alu instid0(SALU_CYCLE_1) | instskip(NEXT) | instid1(SALU_CYCLE_1)
	s_add_i32 s5, s4, 1
	s_lshr_b32 s6, s5, 31
	s_delay_alu instid0(SALU_CYCLE_1) | instskip(NEXT) | instid1(SALU_CYCLE_1)
	s_add_i32 s5, s5, s6
	s_ashr_i32 s14, s5, 1
	s_load_b32 s5, s[0:1], 0x4c
	s_abs_i32 s6, s14
	s_delay_alu instid0(SALU_CYCLE_1) | instskip(SKIP_1) | instid1(VALU_DEP_1)
	v_cvt_f32_u32_e32 v1, s6
	s_sub_i32 s7, 0, s6
	v_rcp_iflag_f32_e32 v1, v1
	s_waitcnt_depctr 0xfff
	v_mul_f32_e32 v1, 0x4f7ffffe, v1
	s_waitcnt lgkmcnt(0)
	s_bfe_u32 s5, s5, 0xb0005
	s_delay_alu instid0(SALU_CYCLE_1) | instskip(NEXT) | instid1(VALU_DEP_2)
	v_mad_u64_u32 v[3:4], null, s15, s5, v[2:3]
	v_cvt_u32_f32_e32 v1, v1
	s_delay_alu instid0(VALU_DEP_1) | instskip(NEXT) | instid1(VALU_DEP_1)
	v_mul_lo_u32 v5, s7, v1
	v_mul_hi_u32 v4, v1, v5
	s_delay_alu instid0(VALU_DEP_4) | instskip(NEXT) | instid1(VALU_DEP_1)
	v_sub_nc_u32_e32 v5, 0, v3
	v_max_i32_e32 v5, v3, v5
	s_delay_alu instid0(VALU_DEP_3) | instskip(NEXT) | instid1(VALU_DEP_1)
	v_add_nc_u32_e32 v1, v1, v4
	v_mul_hi_u32 v1, v5, v1
	s_delay_alu instid0(VALU_DEP_1) | instskip(NEXT) | instid1(VALU_DEP_1)
	v_mul_lo_u32 v4, v1, s6
	v_sub_nc_u32_e32 v4, v5, v4
	v_add_nc_u32_e32 v5, 1, v1
	s_delay_alu instid0(VALU_DEP_2) | instskip(SKIP_1) | instid1(VALU_DEP_2)
	v_subrev_nc_u32_e32 v6, s6, v4
	v_cmp_le_u32_e32 vcc_lo, s6, v4
	v_dual_cndmask_b32 v4, v4, v6 :: v_dual_cndmask_b32 v1, v1, v5
	v_xor_b32_e32 v5, s14, v3
	s_delay_alu instid0(VALU_DEP_2) | instskip(NEXT) | instid1(VALU_DEP_3)
	v_cmp_le_u32_e32 vcc_lo, s6, v4
	v_add_nc_u32_e32 v6, 1, v1
	s_delay_alu instid0(VALU_DEP_3) | instskip(NEXT) | instid1(VALU_DEP_2)
	v_ashrrev_i32_e32 v5, 31, v5
	v_cndmask_b32_e32 v1, v1, v6, vcc_lo
	s_delay_alu instid0(VALU_DEP_1) | instskip(NEXT) | instid1(VALU_DEP_1)
	v_xor_b32_e32 v1, v1, v5
	v_sub_nc_u32_e32 v1, v1, v5
	s_delay_alu instid0(VALU_DEP_1)
	v_cmp_gt_i32_e32 vcc_lo, s2, v1
	s_and_saveexec_b32 s2, vcc_lo
	s_cbranch_execz .LBB130_44
; %bb.1:
	v_mul_lo_u32 v4, v1, s14
	s_load_b64 s[12:13], s[0:1], 0x0
	v_and_b32_e32 v6, 31, v0
	v_lshlrev_b32_e32 v12, 10, v2
	s_lshl_b32 s20, s3, 1
	s_delay_alu instid0(SALU_CYCLE_1) | instskip(NEXT) | instid1(VALU_DEP_2)
	s_mul_i32 s15, s20, s5
	v_lshlrev_b32_e32 v7, 4, v6
	s_delay_alu instid0(VALU_DEP_4) | instskip(NEXT) | instid1(VALU_DEP_1)
	v_sub_nc_u32_e32 v4, v3, v4
	v_lshlrev_b32_e32 v14, 1, v4
	s_delay_alu instid0(VALU_DEP_1) | instskip(SKIP_1) | instid1(VALU_DEP_2)
	v_add_nc_u32_e32 v4, 2, v14
	v_sub_nc_u32_e32 v5, s4, v14
	v_cmp_lt_i32_e32 vcc_lo, s4, v4
	s_delay_alu instid0(VALU_DEP_2) | instskip(SKIP_1) | instid1(VALU_DEP_2)
	v_cndmask_b32_e32 v15, 2, v5, vcc_lo
	v_lshlrev_b32_e32 v5, 9, v3
	v_cmp_lt_i32_e32 vcc_lo, 0, v15
	s_and_saveexec_b32 s4, vcc_lo
	s_cbranch_execz .LBB130_4
; %bb.2:
	s_add_i32 s2, s18, s17
	s_lshl_b32 s5, s14, 1
	s_add_i32 s2, s2, s16
	s_mov_b32 s6, 0
	s_sub_i32 s2, s2, s5
	s_mov_b32 s5, 0
	v_mul_lo_u32 v3, s2, v1
	s_add_i32 s2, s15, 0
	s_delay_alu instid0(SALU_CYCLE_1) | instskip(NEXT) | instid1(VALU_DEP_2)
	v_add3_u32 v8, s2, v12, v7
	v_lshl_add_u32 v3, v3, 8, v5
	s_delay_alu instid0(VALU_DEP_1)
	v_lshl_or_b32 v3, v6, 3, v3
	.p2align	6
.LBB130_3:                              ; =>This Inner Loop Header: Depth=1
	s_delay_alu instid0(VALU_DEP_1) | instskip(SKIP_1) | instid1(VALU_DEP_1)
	v_ashrrev_i32_e32 v4, 31, v3
	s_add_i32 s6, s6, 1
	v_lshlrev_b64 v[9:10], 1, v[3:4]
	v_add_nc_u32_e32 v3, 0x100, v3
	s_waitcnt lgkmcnt(0)
	s_delay_alu instid0(VALU_DEP_2) | instskip(NEXT) | instid1(VALU_DEP_1)
	v_add_co_u32 v9, s2, s12, v9
	v_add_co_ci_u32_e64 v10, s2, s13, v10, s2
	v_cmp_ge_i32_e64 s2, s6, v15
	global_load_b128 v[16:19], v[9:10], off
	s_or_b32 s5, s2, s5
	s_waitcnt vmcnt(0)
	ds_store_b128 v8, v[16:19]
	v_add_nc_u32_e32 v8, 0x200, v8
	s_and_not1_b32 exec_lo, exec_lo, s5
	s_cbranch_execnz .LBB130_3
.LBB130_4:
	s_or_b32 exec_lo, exec_lo, s4
	s_load_b256 s[4:11], s[0:1], 0x18
	v_mul_lo_u32 v2, v2, s3
	s_add_i32 s0, s20, 15
	s_mov_b32 s20, exec_lo
	s_ashr_i32 s1, s0, 31
	s_delay_alu instid0(SALU_CYCLE_1) | instskip(NEXT) | instid1(SALU_CYCLE_1)
	s_lshr_b32 s1, s1, 28
	s_add_i32 s0, s0, s1
	s_delay_alu instid0(VALU_DEP_1) | instskip(SKIP_1) | instid1(SALU_CYCLE_1)
	v_lshlrev_b32_e32 v4, 1, v2
	s_ashr_i32 s2, s0, 4
	v_cmpx_gt_i32_e64 s2, v6
	s_cbranch_execz .LBB130_7
; %bb.5:
	v_ashrrev_i32_e32 v2, 31, v1
	v_and_b32_e32 v0, 31, v0
	s_delay_alu instid0(VALU_DEP_2) | instskip(NEXT) | instid1(VALU_DEP_2)
	v_lshlrev_b64 v[2:3], 3, v[1:2]
	v_lshlrev_b32_e32 v0, 4, v0
	s_waitcnt lgkmcnt(0)
	s_delay_alu instid0(VALU_DEP_2) | instskip(NEXT) | instid1(VALU_DEP_1)
	v_add_co_u32 v2, s0, s10, v2
	v_add_co_ci_u32_e64 v3, s0, s11, v3, s0
	s_ashr_i32 s0, s3, 31
	global_load_b64 v[2:3], v[2:3], off
	s_waitcnt vmcnt(0)
	v_mul_lo_u32 v3, v3, s3
	v_mul_lo_u32 v10, v2, s0
	v_mad_u64_u32 v[8:9], null, v2, s3, 0
	s_delay_alu instid0(VALU_DEP_1) | instskip(NEXT) | instid1(VALU_DEP_1)
	v_add3_u32 v9, v9, v10, v3
	v_lshlrev_b64 v[2:3], 1, v[8:9]
	v_mov_b32_e32 v8, v6
	s_delay_alu instid0(VALU_DEP_2) | instskip(NEXT) | instid1(VALU_DEP_1)
	v_add_co_u32 v2, s0, v2, v0
	v_add_co_ci_u32_e64 v3, s0, 0, v3, s0
	v_add3_u32 v0, v4, v7, 0
	s_delay_alu instid0(VALU_DEP_3) | instskip(NEXT) | instid1(VALU_DEP_1)
	v_add_co_u32 v2, s0, s8, v2
	v_add_co_ci_u32_e64 v3, s0, s9, v3, s0
	s_mov_b32 s8, 0
	.p2align	6
.LBB130_6:                              ; =>This Inner Loop Header: Depth=1
	global_load_b128 v[16:19], v[2:3], off
	v_add_nc_u32_e32 v8, 32, v8
	v_add_co_u32 v2, s0, 0x200, v2
	s_delay_alu instid0(VALU_DEP_1) | instskip(NEXT) | instid1(VALU_DEP_3)
	v_add_co_ci_u32_e64 v3, s0, 0, v3, s0
	v_cmp_le_i32_e64 s1, s2, v8
	s_delay_alu instid0(VALU_DEP_1)
	s_or_b32 s8, s1, s8
	s_waitcnt vmcnt(0)
	ds_store_b128 v0, v[16:19]
	v_add_nc_u32_e32 v0, 0x200, v0
	s_and_not1_b32 exec_lo, exec_lo, s8
	s_cbranch_execnz .LBB130_6
.LBB130_7:
	s_or_b32 exec_lo, exec_lo, s20
	s_delay_alu instid0(SALU_CYCLE_1)
	s_and_b32 exec_lo, exec_lo, vcc_lo
	s_cbranch_execz .LBB130_44
; %bb.8:
	s_waitcnt lgkmcnt(0)
	s_clause 0x5
	global_load_b32 v16, v7, s[6:7] offset:2
	global_load_b64 v[8:9], v7, s[4:5] offset:8
	global_load_u16 v17, v7, s[4:5]
	global_load_u16 v18, v7, s[6:7]
	global_load_b32 v19, v7, s[4:5] offset:2
	global_load_b64 v[10:11], v7, s[6:7] offset:8
	v_mbcnt_lo_u32_b32 v2, -1, 0
	s_lshr_b32 s0, s3, 31
	s_ashr_i32 s1, s3, 31
	s_add_i32 s0, s3, s0
	s_lshr_b32 s1, s1, 29
	v_add_nc_u32_e32 v3, s15, v12
	v_xor_b32_e32 v12, 16, v2
	v_xor_b32_e32 v13, 8, v2
	v_lshlrev_b32_e32 v0, 3, v6
	v_xor_b32_e32 v22, 4, v2
	v_add3_u32 v21, v3, v7, 0
	v_xor_b32_e32 v23, 2, v2
	s_add_i32 s2, s18, s17
	v_add3_u32 v20, 0, v4, v0
	s_add_i32 s2, s2, s16
	v_xor_b32_e32 v24, 1, v2
	s_clause 0x1
	global_load_d16_hi_b16 v17, v7, s[4:5] offset:6
	global_load_d16_hi_b16 v18, v7, s[6:7] offset:6
	s_and_b32 s5, s0, -2
	s_add_i32 s0, s3, s1
	s_lshl_b32 s4, s14, 1
	s_ashr_i32 s0, s0, 3
	s_sub_i32 s1, s2, s4
	v_cmp_le_i32_e32 vcc_lo, s0, v6
	v_cmp_gt_i32_e64 s0, 32, v12
	v_mul_lo_u32 v1, s1, v1
	s_waitcnt vmcnt(3)
	v_lshrrev_b32_e32 v28, 16, v19
	v_lshrrev_b32_e32 v29, 16, v16
	;; [unrolled: 1-line block ×3, first 2 shown]
	v_cndmask_b32_e64 v3, v2, v12, s0
	v_cmp_gt_i32_e64 s0, 32, v13
	s_waitcnt vmcnt(2)
	v_lshrrev_b32_e32 v31, 16, v10
	v_lshrrev_b32_e32 v32, 16, v9
	v_lshl_add_u32 v1, v1, 8, v5
	v_lshrrev_b32_e32 v35, 16, v11
	v_cndmask_b32_e64 v4, v2, v13, s0
	v_cmp_gt_i32_e64 s0, 32, v22
	s_mov_b32 s2, 0
	v_or_b32_e32 v12, v1, v0
	s_mov_b32 s3, 0
	s_delay_alu instid0(VALU_DEP_2) | instskip(SKIP_2) | instid1(VALU_DEP_3)
	v_cndmask_b32_e64 v6, v2, v22, s0
	v_cmp_gt_i32_e64 s0, 32, v23
	v_add_nc_u32_e32 v22, s5, v20
	v_lshlrev_b32_e32 v25, 2, v6
	s_delay_alu instid0(VALU_DEP_3) | instskip(SKIP_2) | instid1(VALU_DEP_3)
	v_cndmask_b32_e64 v7, v2, v23, s0
	v_cmp_gt_i32_e64 s0, 32, v24
	v_lshlrev_b32_e32 v23, 2, v3
	v_lshlrev_b32_e32 v26, 2, v7
	s_delay_alu instid0(VALU_DEP_3) | instskip(SKIP_1) | instid1(VALU_DEP_2)
	v_cndmask_b32_e64 v2, v2, v24, s0
	v_lshlrev_b32_e32 v24, 2, v4
	v_lshlrev_b32_e32 v27, 2, v2
	s_waitcnt vmcnt(1)
	v_lshrrev_b32_e32 v33, 16, v17
	s_waitcnt vmcnt(0)
	v_lshrrev_b32_e32 v34, 16, v18
	s_branch .LBB130_10
.LBB130_9:                              ;   in Loop: Header=BB130_10 Depth=1
	s_or_b32 exec_lo, exec_lo, s1
	v_ashrrev_i32_e32 v13, 31, v12
	s_delay_alu instid0(VALU_DEP_2)
	v_perm_b32 v5, v6, v5, 0x7060302
	s_add_i32 s3, s3, 1
	v_perm_b32 v4, v4, v3, 0x7060302
	v_perm_b32 v3, v2, v1, 0x7060302
	v_lshlrev_b64 v[6:7], 1, v[12:13]
	v_perm_b32 v2, v0, v39, 0x7060302
	v_cmp_ge_i32_e64 s0, s3, v15
	v_add_nc_u32_e32 v12, 0x100, v12
	v_add_nc_u32_e32 v21, 0x200, v21
	v_add_co_u32 v0, s1, s12, v6
	s_delay_alu instid0(VALU_DEP_1)
	v_add_co_ci_u32_e64 v1, s1, s13, v7, s1
	s_or_b32 s2, s0, s2
	global_store_b128 v[0:1], v[2:5], off
	s_and_not1_b32 exec_lo, exec_lo, s2
	s_cbranch_execz .LBB130_44
.LBB130_10:                             ; =>This Inner Loop Header: Depth=1
	ds_load_b128 v[0:3], v21
	v_add_nc_u32_e32 v37, s3, v14
	s_delay_alu instid0(VALU_DEP_1) | instskip(NEXT) | instid1(VALU_DEP_1)
	v_cmp_gt_i32_e64 s1, s16, v37
	v_cndmask_b32_e64 v38, v34, v33, s1
	v_cndmask_b32_e64 v39, v18, v17, s1
	;; [unrolled: 1-line block ×6, first 2 shown]
	v_lshlrev_b32_e32 v39, 16, v39
	v_lshlrev_b32_e32 v38, 16, v38
	;; [unrolled: 1-line block ×3, first 2 shown]
	s_waitcnt lgkmcnt(0)
	v_lshlrev_b32_e32 v6, 16, v1
	v_and_b32_e32 v4, 0xffff0000, v0
	v_and_b32_e32 v1, 0xffff0000, v1
	v_lshlrev_b32_e32 v0, 16, v0
	v_lshlrev_b32_e32 v7, 16, v2
	s_delay_alu instid0(VALU_DEP_4) | instskip(SKIP_3) | instid1(VALU_DEP_4)
	v_dual_mul_f32 v5, v4, v4 :: v_dual_and_b32 v2, 0xffff0000, v2
	v_cndmask_b32_e64 v44, v11, v9, s1
	v_lshlrev_b32_e32 v37, 16, v37
	v_lshlrev_b32_e32 v40, 16, v40
	v_dual_fmac_f32 v5, v0, v0 :: v_dual_lshlrev_b32 v42, 16, v42
	s_delay_alu instid0(VALU_DEP_1) | instskip(NEXT) | instid1(VALU_DEP_1)
	v_fmac_f32_e32 v5, v6, v6
	v_fmac_f32_e32 v5, v1, v1
	s_delay_alu instid0(VALU_DEP_1) | instskip(SKIP_2) | instid1(VALU_DEP_3)
	v_fmac_f32_e32 v5, v7, v7
	v_lshlrev_b32_e32 v36, 16, v3
	v_and_b32_e32 v3, 0xffff0000, v3
	v_fmac_f32_e32 v5, v2, v2
	s_delay_alu instid0(VALU_DEP_1) | instskip(NEXT) | instid1(VALU_DEP_1)
	v_fmac_f32_e32 v5, v36, v36
	v_fmac_f32_e32 v5, v3, v3
	ds_bpermute_b32 v13, v23, v5
	s_waitcnt lgkmcnt(0)
	v_add_f32_e32 v5, v5, v13
	ds_bpermute_b32 v13, v24, v5
	s_waitcnt lgkmcnt(0)
	v_add_f32_e32 v5, v5, v13
	;; [unrolled: 3-line block ×5, first 2 shown]
	s_delay_alu instid0(VALU_DEP_1) | instskip(NEXT) | instid1(VALU_DEP_1)
	v_fma_f32 v5, 0x3b800000, v5, s19
	v_mul_f32_e32 v13, 0x4b800000, v5
	v_cmp_gt_f32_e64 s0, 0x800000, v5
	s_delay_alu instid0(VALU_DEP_1) | instskip(SKIP_1) | instid1(VALU_DEP_2)
	v_cndmask_b32_e64 v5, v5, v13, s0
	v_cndmask_b32_e64 v13, v29, v28, s1
	v_rsq_f32_e32 v5, v5
	s_delay_alu instid0(VALU_DEP_1) | instskip(SKIP_2) | instid1(VALU_DEP_1)
	v_lshlrev_b32_e32 v13, 16, v13
	s_waitcnt_depctr 0xfff
	v_mul_f32_e32 v43, 0x45800000, v5
	v_cndmask_b32_e64 v5, v5, v43, s0
	v_lshlrev_b32_e32 v43, 16, v44
	s_delay_alu instid0(VALU_DEP_2)
	v_mul_f32_e32 v39, v5, v39
	v_mul_f32_e32 v38, v5, v38
	;; [unrolled: 1-line block ×7, first 2 shown]
	v_dual_mul_f32 v5, v5, v42 :: v_dual_mul_f32 v40, v38, v1
	v_dual_mul_f32 v0, v39, v0 :: v_dual_mul_f32 v41, v13, v6
	s_delay_alu instid0(VALU_DEP_3) | instskip(SKIP_4) | instid1(SALU_CYCLE_1)
	v_mul_f32_e32 v36, v43, v36
	v_mul_f32_e32 v42, v37, v4
	v_dual_mul_f32 v37, v45, v2 :: v_dual_mul_f32 v38, v44, v7
	v_mul_f32_e32 v13, v5, v3
	s_and_saveexec_b32 s0, vcc_lo
	s_xor_b32 s0, exec_lo, s0
	s_delay_alu instid0(SALU_CYCLE_1)
	s_and_not1_saveexec_b32 s0, s0
	s_cbranch_execz .LBB130_12
; %bb.11:                               ;   in Loop: Header=BB130_10 Depth=1
	ds_load_b64 v[1:2], v20
	ds_load_b64 v[3:4], v22
	s_waitcnt lgkmcnt(0)
	v_lshlrev_b32_e32 v39, 16, v4
	v_and_b32_e32 v4, 0xffff0000, v4
	v_lshlrev_b32_e32 v7, 16, v2
	v_and_b32_e32 v2, 0xffff0000, v2
	v_and_b32_e32 v6, 0xffff0000, v3
	s_delay_alu instid0(VALU_DEP_4) | instskip(NEXT) | instid1(VALU_DEP_3)
	v_mul_f32_e32 v46, v13, v4
	v_mul_f32_e32 v13, v13, v2
	s_delay_alu instid0(VALU_DEP_3)
	v_dual_mul_f32 v44, v40, v6 :: v_dual_and_b32 v5, 0xffff0000, v1
	v_lshlrev_b32_e32 v1, 16, v1
	v_mul_f32_e32 v45, v41, v6
	v_mul_f32_e32 v6, v37, v39
	v_lshlrev_b32_e32 v3, 16, v3
	v_mul_f32_e32 v37, v37, v7
	v_fma_f32 v41, v41, v5, -v44
	v_fmac_f32_e32 v13, v36, v4
	s_delay_alu instid0(VALU_DEP_4) | instskip(SKIP_1) | instid1(VALU_DEP_2)
	v_mul_f32_e32 v43, v42, v3
	v_mul_f32_e32 v42, v42, v1
	v_fma_f32 v1, v0, v1, -v43
	v_fmac_f32_e32 v45, v40, v5
	v_fma_f32 v43, v38, v7, -v6
	s_delay_alu instid0(VALU_DEP_4)
	v_fmac_f32_e32 v42, v0, v3
	v_fmac_f32_e32 v37, v38, v39
	v_fma_f32 v39, v36, v2, -v46
	v_mov_b32_e32 v0, v1
	v_dual_mov_b32 v1, v2 :: v_dual_mov_b32 v40, v45
	v_mov_b32_e32 v2, v3
	v_dual_mov_b32 v3, v4 :: v_dual_mov_b32 v38, v43
	;; [unrolled: 2-line block ×3, first 2 shown]
	v_mov_b32_e32 v6, v7
	v_mov_b32_e32 v7, v8
.LBB130_12:                             ;   in Loop: Header=BB130_10 Depth=1
	s_or_b32 exec_lo, exec_lo, s0
	v_and_b32_e32 v1, 0x7f800000, v0
                                        ; implicit-def: $vgpr39
	s_delay_alu instid0(VALU_DEP_1) | instskip(NEXT) | instid1(VALU_DEP_1)
	v_cmp_ne_u32_e64 s0, 0x7f800000, v1
	s_and_saveexec_b32 s1, s0
	s_delay_alu instid0(SALU_CYCLE_1)
	s_xor_b32 s0, exec_lo, s1
; %bb.13:                               ;   in Loop: Header=BB130_10 Depth=1
	v_bfe_u32 v1, v0, 16, 1
	s_delay_alu instid0(VALU_DEP_1)
	v_add3_u32 v39, v0, v1, 0x7fff
                                        ; implicit-def: $vgpr0_vgpr1_vgpr2_vgpr3_vgpr4_vgpr5_vgpr6_vgpr7
; %bb.14:                               ;   in Loop: Header=BB130_10 Depth=1
	s_and_not1_saveexec_b32 s1, s0
; %bb.15:                               ;   in Loop: Header=BB130_10 Depth=1
	v_and_b32_e32 v1, 0xffff, v0
	v_or_b32_e32 v2, 0x10000, v0
	s_delay_alu instid0(VALU_DEP_2) | instskip(NEXT) | instid1(VALU_DEP_1)
	v_cmp_eq_u32_e64 s0, 0, v1
	v_cndmask_b32_e64 v39, v2, v0, s0
; %bb.16:                               ;   in Loop: Header=BB130_10 Depth=1
	s_or_b32 exec_lo, exec_lo, s1
	v_and_b32_e32 v0, 0x7f800000, v42
	s_delay_alu instid0(VALU_DEP_1) | instskip(NEXT) | instid1(VALU_DEP_1)
	v_cmp_ne_u32_e64 s0, 0x7f800000, v0
                                        ; implicit-def: $vgpr0
	s_and_saveexec_b32 s1, s0
	s_delay_alu instid0(SALU_CYCLE_1)
	s_xor_b32 s0, exec_lo, s1
; %bb.17:                               ;   in Loop: Header=BB130_10 Depth=1
	v_bfe_u32 v0, v42, 16, 1
	s_delay_alu instid0(VALU_DEP_1)
	v_add3_u32 v0, v42, v0, 0x7fff
                                        ; implicit-def: $vgpr42
; %bb.18:                               ;   in Loop: Header=BB130_10 Depth=1
	s_and_not1_saveexec_b32 s1, s0
; %bb.19:                               ;   in Loop: Header=BB130_10 Depth=1
	v_and_b32_e32 v0, 0xffff, v42
	v_or_b32_e32 v1, 0x10000, v42
	s_delay_alu instid0(VALU_DEP_2) | instskip(NEXT) | instid1(VALU_DEP_1)
	v_cmp_eq_u32_e64 s0, 0, v0
	v_cndmask_b32_e64 v0, v1, v42, s0
; %bb.20:                               ;   in Loop: Header=BB130_10 Depth=1
	s_or_b32 exec_lo, exec_lo, s1
	v_and_b32_e32 v1, 0x7f800000, v41
	s_delay_alu instid0(VALU_DEP_1) | instskip(NEXT) | instid1(VALU_DEP_1)
	v_cmp_ne_u32_e64 s0, 0x7f800000, v1
                                        ; implicit-def: $vgpr1
	s_and_saveexec_b32 s1, s0
	s_delay_alu instid0(SALU_CYCLE_1)
	s_xor_b32 s0, exec_lo, s1
; %bb.21:                               ;   in Loop: Header=BB130_10 Depth=1
	v_bfe_u32 v1, v41, 16, 1
	s_delay_alu instid0(VALU_DEP_1)
	v_add3_u32 v1, v41, v1, 0x7fff
                                        ; implicit-def: $vgpr41
; %bb.22:                               ;   in Loop: Header=BB130_10 Depth=1
	s_and_not1_saveexec_b32 s1, s0
; %bb.23:                               ;   in Loop: Header=BB130_10 Depth=1
	v_and_b32_e32 v1, 0xffff, v41
	v_or_b32_e32 v2, 0x10000, v41
	s_delay_alu instid0(VALU_DEP_2) | instskip(NEXT) | instid1(VALU_DEP_1)
	v_cmp_eq_u32_e64 s0, 0, v1
	v_cndmask_b32_e64 v1, v2, v41, s0
; %bb.24:                               ;   in Loop: Header=BB130_10 Depth=1
	s_or_b32 exec_lo, exec_lo, s1
	v_and_b32_e32 v2, 0x7f800000, v40
	s_delay_alu instid0(VALU_DEP_1) | instskip(NEXT) | instid1(VALU_DEP_1)
	v_cmp_ne_u32_e64 s0, 0x7f800000, v2
                                        ; implicit-def: $vgpr2
	s_and_saveexec_b32 s1, s0
	s_delay_alu instid0(SALU_CYCLE_1)
	s_xor_b32 s0, exec_lo, s1
; %bb.25:                               ;   in Loop: Header=BB130_10 Depth=1
	v_bfe_u32 v2, v40, 16, 1
	s_delay_alu instid0(VALU_DEP_1)
	v_add3_u32 v2, v40, v2, 0x7fff
                                        ; implicit-def: $vgpr40
; %bb.26:                               ;   in Loop: Header=BB130_10 Depth=1
	s_and_not1_saveexec_b32 s1, s0
; %bb.27:                               ;   in Loop: Header=BB130_10 Depth=1
	v_and_b32_e32 v2, 0xffff, v40
	v_or_b32_e32 v3, 0x10000, v40
	s_delay_alu instid0(VALU_DEP_2) | instskip(NEXT) | instid1(VALU_DEP_1)
	v_cmp_eq_u32_e64 s0, 0, v2
	v_cndmask_b32_e64 v2, v3, v40, s0
; %bb.28:                               ;   in Loop: Header=BB130_10 Depth=1
	s_or_b32 exec_lo, exec_lo, s1
	v_and_b32_e32 v3, 0x7f800000, v38
	s_delay_alu instid0(VALU_DEP_1) | instskip(NEXT) | instid1(VALU_DEP_1)
	v_cmp_ne_u32_e64 s0, 0x7f800000, v3
                                        ; implicit-def: $vgpr3
	s_and_saveexec_b32 s1, s0
	s_delay_alu instid0(SALU_CYCLE_1)
	s_xor_b32 s0, exec_lo, s1
; %bb.29:                               ;   in Loop: Header=BB130_10 Depth=1
	v_bfe_u32 v3, v38, 16, 1
	s_delay_alu instid0(VALU_DEP_1)
	v_add3_u32 v3, v38, v3, 0x7fff
                                        ; implicit-def: $vgpr38
; %bb.30:                               ;   in Loop: Header=BB130_10 Depth=1
	s_and_not1_saveexec_b32 s1, s0
; %bb.31:                               ;   in Loop: Header=BB130_10 Depth=1
	v_and_b32_e32 v3, 0xffff, v38
	v_or_b32_e32 v4, 0x10000, v38
	s_delay_alu instid0(VALU_DEP_2) | instskip(NEXT) | instid1(VALU_DEP_1)
	v_cmp_eq_u32_e64 s0, 0, v3
	v_cndmask_b32_e64 v3, v4, v38, s0
; %bb.32:                               ;   in Loop: Header=BB130_10 Depth=1
	s_or_b32 exec_lo, exec_lo, s1
	v_and_b32_e32 v4, 0x7f800000, v37
	s_delay_alu instid0(VALU_DEP_1) | instskip(NEXT) | instid1(VALU_DEP_1)
	v_cmp_ne_u32_e64 s0, 0x7f800000, v4
                                        ; implicit-def: $vgpr4
	s_and_saveexec_b32 s1, s0
	s_delay_alu instid0(SALU_CYCLE_1)
	s_xor_b32 s0, exec_lo, s1
; %bb.33:                               ;   in Loop: Header=BB130_10 Depth=1
	v_bfe_u32 v4, v37, 16, 1
	s_delay_alu instid0(VALU_DEP_1)
	v_add3_u32 v4, v37, v4, 0x7fff
                                        ; implicit-def: $vgpr37
; %bb.34:                               ;   in Loop: Header=BB130_10 Depth=1
	s_and_not1_saveexec_b32 s1, s0
; %bb.35:                               ;   in Loop: Header=BB130_10 Depth=1
	v_and_b32_e32 v4, 0xffff, v37
	v_or_b32_e32 v5, 0x10000, v37
	s_delay_alu instid0(VALU_DEP_2) | instskip(NEXT) | instid1(VALU_DEP_1)
	v_cmp_eq_u32_e64 s0, 0, v4
	v_cndmask_b32_e64 v4, v5, v37, s0
; %bb.36:                               ;   in Loop: Header=BB130_10 Depth=1
	s_or_b32 exec_lo, exec_lo, s1
	v_and_b32_e32 v5, 0x7f800000, v36
	s_delay_alu instid0(VALU_DEP_1) | instskip(NEXT) | instid1(VALU_DEP_1)
	v_cmp_ne_u32_e64 s0, 0x7f800000, v5
                                        ; implicit-def: $vgpr5
	s_and_saveexec_b32 s1, s0
	s_delay_alu instid0(SALU_CYCLE_1)
	s_xor_b32 s0, exec_lo, s1
; %bb.37:                               ;   in Loop: Header=BB130_10 Depth=1
	v_bfe_u32 v5, v36, 16, 1
	s_delay_alu instid0(VALU_DEP_1)
	v_add3_u32 v5, v36, v5, 0x7fff
                                        ; implicit-def: $vgpr36
; %bb.38:                               ;   in Loop: Header=BB130_10 Depth=1
	s_and_not1_saveexec_b32 s1, s0
; %bb.39:                               ;   in Loop: Header=BB130_10 Depth=1
	v_and_b32_e32 v5, 0xffff, v36
	v_or_b32_e32 v6, 0x10000, v36
	s_delay_alu instid0(VALU_DEP_2) | instskip(NEXT) | instid1(VALU_DEP_1)
	v_cmp_eq_u32_e64 s0, 0, v5
	v_cndmask_b32_e64 v5, v6, v36, s0
; %bb.40:                               ;   in Loop: Header=BB130_10 Depth=1
	s_or_b32 exec_lo, exec_lo, s1
	v_and_b32_e32 v6, 0x7f800000, v13
	s_delay_alu instid0(VALU_DEP_1) | instskip(NEXT) | instid1(VALU_DEP_1)
	v_cmp_ne_u32_e64 s0, 0x7f800000, v6
                                        ; implicit-def: $vgpr6
	s_and_saveexec_b32 s1, s0
	s_delay_alu instid0(SALU_CYCLE_1)
	s_xor_b32 s0, exec_lo, s1
; %bb.41:                               ;   in Loop: Header=BB130_10 Depth=1
	v_bfe_u32 v6, v13, 16, 1
	s_delay_alu instid0(VALU_DEP_1)
	v_add3_u32 v6, v13, v6, 0x7fff
                                        ; implicit-def: $vgpr13
; %bb.42:                               ;   in Loop: Header=BB130_10 Depth=1
	s_and_not1_saveexec_b32 s1, s0
	s_cbranch_execz .LBB130_9
; %bb.43:                               ;   in Loop: Header=BB130_10 Depth=1
	v_and_b32_e32 v6, 0xffff, v13
	v_or_b32_e32 v7, 0x10000, v13
	s_delay_alu instid0(VALU_DEP_2) | instskip(NEXT) | instid1(VALU_DEP_1)
	v_cmp_eq_u32_e64 s0, 0, v6
	v_cndmask_b32_e64 v6, v7, v13, s0
	s_branch .LBB130_9
.LBB130_44:
	s_nop 0
	s_sendmsg sendmsg(MSG_DEALLOC_VGPRS)
	s_endpgm
	.section	.rodata,"a",@progbits
	.p2align	6, 0x0
	.amdhsa_kernel _ZN12tensorrt_llm7kernels32fusedQKNormRopeKernelNTokenHeadsIN3c108BFloat16ES3_Li256ELb1ELi2EEEvPviiifPKvS6_S6_PKlii
		.amdhsa_group_segment_fixed_size 0
		.amdhsa_private_segment_fixed_size 0
		.amdhsa_kernarg_size 320
		.amdhsa_user_sgpr_count 15
		.amdhsa_user_sgpr_dispatch_ptr 0
		.amdhsa_user_sgpr_queue_ptr 0
		.amdhsa_user_sgpr_kernarg_segment_ptr 1
		.amdhsa_user_sgpr_dispatch_id 0
		.amdhsa_user_sgpr_private_segment_size 0
		.amdhsa_wavefront_size32 1
		.amdhsa_uses_dynamic_stack 0
		.amdhsa_enable_private_segment 0
		.amdhsa_system_sgpr_workgroup_id_x 1
		.amdhsa_system_sgpr_workgroup_id_y 0
		.amdhsa_system_sgpr_workgroup_id_z 0
		.amdhsa_system_sgpr_workgroup_info 0
		.amdhsa_system_vgpr_workitem_id 0
		.amdhsa_next_free_vgpr 47
		.amdhsa_next_free_sgpr 21
		.amdhsa_reserve_vcc 1
		.amdhsa_float_round_mode_32 0
		.amdhsa_float_round_mode_16_64 0
		.amdhsa_float_denorm_mode_32 3
		.amdhsa_float_denorm_mode_16_64 3
		.amdhsa_dx10_clamp 1
		.amdhsa_ieee_mode 1
		.amdhsa_fp16_overflow 0
		.amdhsa_workgroup_processor_mode 1
		.amdhsa_memory_ordered 1
		.amdhsa_forward_progress 0
		.amdhsa_shared_vgpr_count 0
		.amdhsa_exception_fp_ieee_invalid_op 0
		.amdhsa_exception_fp_denorm_src 0
		.amdhsa_exception_fp_ieee_div_zero 0
		.amdhsa_exception_fp_ieee_overflow 0
		.amdhsa_exception_fp_ieee_underflow 0
		.amdhsa_exception_fp_ieee_inexact 0
		.amdhsa_exception_int_div_zero 0
	.end_amdhsa_kernel
	.section	.text._ZN12tensorrt_llm7kernels32fusedQKNormRopeKernelNTokenHeadsIN3c108BFloat16ES3_Li256ELb1ELi2EEEvPviiifPKvS6_S6_PKlii,"axG",@progbits,_ZN12tensorrt_llm7kernels32fusedQKNormRopeKernelNTokenHeadsIN3c108BFloat16ES3_Li256ELb1ELi2EEEvPviiifPKvS6_S6_PKlii,comdat
.Lfunc_end130:
	.size	_ZN12tensorrt_llm7kernels32fusedQKNormRopeKernelNTokenHeadsIN3c108BFloat16ES3_Li256ELb1ELi2EEEvPviiifPKvS6_S6_PKlii, .Lfunc_end130-_ZN12tensorrt_llm7kernels32fusedQKNormRopeKernelNTokenHeadsIN3c108BFloat16ES3_Li256ELb1ELi2EEEvPviiifPKvS6_S6_PKlii
                                        ; -- End function
	.section	.AMDGPU.csdata,"",@progbits
; Kernel info:
; codeLenInByte = 2892
; NumSgprs: 23
; NumVgprs: 47
; ScratchSize: 0
; MemoryBound: 0
; FloatMode: 240
; IeeeMode: 1
; LDSByteSize: 0 bytes/workgroup (compile time only)
; SGPRBlocks: 2
; VGPRBlocks: 5
; NumSGPRsForWavesPerEU: 23
; NumVGPRsForWavesPerEU: 47
; Occupancy: 16
; WaveLimiterHint : 0
; COMPUTE_PGM_RSRC2:SCRATCH_EN: 0
; COMPUTE_PGM_RSRC2:USER_SGPR: 15
; COMPUTE_PGM_RSRC2:TRAP_HANDLER: 0
; COMPUTE_PGM_RSRC2:TGID_X_EN: 1
; COMPUTE_PGM_RSRC2:TGID_Y_EN: 0
; COMPUTE_PGM_RSRC2:TGID_Z_EN: 0
; COMPUTE_PGM_RSRC2:TIDIG_COMP_CNT: 0
	.section	.text._ZN12tensorrt_llm7kernels32fusedQKNormRopeKernelNTokenHeadsIN3c108BFloat16ES3_Li256ELb0ELi2EEEvPviiifPKvS6_S6_PKlii,"axG",@progbits,_ZN12tensorrt_llm7kernels32fusedQKNormRopeKernelNTokenHeadsIN3c108BFloat16ES3_Li256ELb0ELi2EEEvPviiifPKvS6_S6_PKlii,comdat
	.protected	_ZN12tensorrt_llm7kernels32fusedQKNormRopeKernelNTokenHeadsIN3c108BFloat16ES3_Li256ELb0ELi2EEEvPviiifPKvS6_S6_PKlii ; -- Begin function _ZN12tensorrt_llm7kernels32fusedQKNormRopeKernelNTokenHeadsIN3c108BFloat16ES3_Li256ELb0ELi2EEEvPviiifPKvS6_S6_PKlii
	.globl	_ZN12tensorrt_llm7kernels32fusedQKNormRopeKernelNTokenHeadsIN3c108BFloat16ES3_Li256ELb0ELi2EEEvPviiifPKvS6_S6_PKlii
	.p2align	8
	.type	_ZN12tensorrt_llm7kernels32fusedQKNormRopeKernelNTokenHeadsIN3c108BFloat16ES3_Li256ELb0ELi2EEEvPviiifPKvS6_S6_PKlii,@function
_ZN12tensorrt_llm7kernels32fusedQKNormRopeKernelNTokenHeadsIN3c108BFloat16ES3_Li256ELb0ELi2EEEvPviiifPKvS6_S6_PKlii: ; @_ZN12tensorrt_llm7kernels32fusedQKNormRopeKernelNTokenHeadsIN3c108BFloat16ES3_Li256ELb0ELi2EEEvPviiifPKvS6_S6_PKlii
; %bb.0:
	s_clause 0x1
	s_load_b128 s[16:19], s[0:1], 0x8
	s_load_b64 s[2:3], s[0:1], 0x38
	v_lshrrev_b32_e32 v2, 5, v0
	s_waitcnt lgkmcnt(0)
	s_add_i32 s4, s17, s16
	s_delay_alu instid0(SALU_CYCLE_1) | instskip(NEXT) | instid1(SALU_CYCLE_1)
	s_add_i32 s5, s4, 1
	s_lshr_b32 s6, s5, 31
	s_delay_alu instid0(SALU_CYCLE_1) | instskip(NEXT) | instid1(SALU_CYCLE_1)
	s_add_i32 s5, s5, s6
	s_ashr_i32 s14, s5, 1
	s_load_b32 s5, s[0:1], 0x4c
	s_abs_i32 s6, s14
	s_delay_alu instid0(SALU_CYCLE_1) | instskip(SKIP_1) | instid1(VALU_DEP_1)
	v_cvt_f32_u32_e32 v1, s6
	s_sub_i32 s7, 0, s6
	v_rcp_iflag_f32_e32 v1, v1
	s_waitcnt_depctr 0xfff
	v_mul_f32_e32 v1, 0x4f7ffffe, v1
	s_waitcnt lgkmcnt(0)
	s_bfe_u32 s5, s5, 0xb0005
	s_delay_alu instid0(SALU_CYCLE_1) | instskip(NEXT) | instid1(VALU_DEP_2)
	v_mad_u64_u32 v[3:4], null, s15, s5, v[2:3]
	v_cvt_u32_f32_e32 v1, v1
	s_delay_alu instid0(VALU_DEP_1) | instskip(NEXT) | instid1(VALU_DEP_1)
	v_mul_lo_u32 v5, s7, v1
	v_mul_hi_u32 v4, v1, v5
	s_delay_alu instid0(VALU_DEP_4) | instskip(NEXT) | instid1(VALU_DEP_1)
	v_sub_nc_u32_e32 v5, 0, v3
	v_max_i32_e32 v5, v3, v5
	s_delay_alu instid0(VALU_DEP_3) | instskip(NEXT) | instid1(VALU_DEP_1)
	v_add_nc_u32_e32 v1, v1, v4
	v_mul_hi_u32 v1, v5, v1
	s_delay_alu instid0(VALU_DEP_1) | instskip(NEXT) | instid1(VALU_DEP_1)
	v_mul_lo_u32 v4, v1, s6
	v_sub_nc_u32_e32 v4, v5, v4
	v_add_nc_u32_e32 v5, 1, v1
	s_delay_alu instid0(VALU_DEP_2) | instskip(SKIP_1) | instid1(VALU_DEP_2)
	v_subrev_nc_u32_e32 v6, s6, v4
	v_cmp_le_u32_e32 vcc_lo, s6, v4
	v_dual_cndmask_b32 v4, v4, v6 :: v_dual_cndmask_b32 v1, v1, v5
	v_xor_b32_e32 v5, s14, v3
	s_delay_alu instid0(VALU_DEP_2) | instskip(NEXT) | instid1(VALU_DEP_3)
	v_cmp_le_u32_e32 vcc_lo, s6, v4
	v_add_nc_u32_e32 v6, 1, v1
	s_delay_alu instid0(VALU_DEP_3) | instskip(NEXT) | instid1(VALU_DEP_2)
	v_ashrrev_i32_e32 v5, 31, v5
	v_cndmask_b32_e32 v1, v1, v6, vcc_lo
	s_delay_alu instid0(VALU_DEP_1) | instskip(NEXT) | instid1(VALU_DEP_1)
	v_xor_b32_e32 v1, v1, v5
	v_sub_nc_u32_e32 v1, v1, v5
	s_delay_alu instid0(VALU_DEP_1)
	v_cmp_gt_i32_e32 vcc_lo, s2, v1
	s_and_saveexec_b32 s2, vcc_lo
	s_cbranch_execz .LBB131_44
; %bb.1:
	v_mul_lo_u32 v4, v1, s14
	s_load_b64 s[12:13], s[0:1], 0x0
	v_and_b32_e32 v6, 31, v0
	v_lshlrev_b32_e32 v16, 10, v2
	v_lshlrev_b32_e32 v7, 9, v3
	s_lshl_b32 s20, s3, 1
	s_delay_alu instid0(SALU_CYCLE_1) | instskip(NEXT) | instid1(VALU_DEP_4)
	s_mul_i32 s15, s20, s5
	v_sub_nc_u32_e32 v4, v3, v4
	s_delay_alu instid0(VALU_DEP_1) | instskip(NEXT) | instid1(VALU_DEP_1)
	v_lshlrev_b32_e32 v18, 1, v4
	v_add_nc_u32_e32 v4, 2, v18
	v_sub_nc_u32_e32 v5, s4, v18
	s_delay_alu instid0(VALU_DEP_2) | instskip(NEXT) | instid1(VALU_DEP_2)
	v_cmp_lt_i32_e32 vcc_lo, s4, v4
	v_cndmask_b32_e32 v19, 2, v5, vcc_lo
	v_lshlrev_b32_e32 v5, 4, v6
	s_delay_alu instid0(VALU_DEP_2)
	v_cmp_lt_i32_e32 vcc_lo, 0, v19
	s_and_saveexec_b32 s4, vcc_lo
	s_cbranch_execz .LBB131_4
; %bb.2:
	s_add_i32 s2, s18, s17
	s_lshl_b32 s5, s14, 1
	s_add_i32 s2, s2, s16
	s_mov_b32 s6, 0
	s_sub_i32 s2, s2, s5
	s_mov_b32 s5, 0
	v_mul_lo_u32 v3, s2, v1
	s_add_i32 s2, s15, 0
	s_delay_alu instid0(SALU_CYCLE_1) | instskip(NEXT) | instid1(VALU_DEP_2)
	v_add3_u32 v8, s2, v16, v5
	v_lshl_add_u32 v3, v3, 8, v7
	s_delay_alu instid0(VALU_DEP_1)
	v_lshl_or_b32 v3, v6, 3, v3
	.p2align	6
.LBB131_3:                              ; =>This Inner Loop Header: Depth=1
	s_delay_alu instid0(VALU_DEP_1) | instskip(SKIP_1) | instid1(VALU_DEP_1)
	v_ashrrev_i32_e32 v4, 31, v3
	s_add_i32 s6, s6, 1
	v_lshlrev_b64 v[9:10], 1, v[3:4]
	v_add_nc_u32_e32 v3, 0x100, v3
	s_waitcnt lgkmcnt(0)
	s_delay_alu instid0(VALU_DEP_2) | instskip(NEXT) | instid1(VALU_DEP_1)
	v_add_co_u32 v9, s2, s12, v9
	v_add_co_ci_u32_e64 v10, s2, s13, v10, s2
	v_cmp_ge_i32_e64 s2, s6, v19
	global_load_b128 v[9:12], v[9:10], off
	s_or_b32 s5, s2, s5
	s_waitcnt vmcnt(0)
	ds_store_b128 v8, v[9:12]
	v_add_nc_u32_e32 v8, 0x200, v8
	s_and_not1_b32 exec_lo, exec_lo, s5
	s_cbranch_execnz .LBB131_3
.LBB131_4:
	s_or_b32 exec_lo, exec_lo, s4
	s_load_b256 s[4:11], s[0:1], 0x18
	s_add_i32 s0, s20, 15
	v_mul_lo_u32 v4, v2, s3
	s_ashr_i32 s1, s0, 31
	s_mov_b32 s20, exec_lo
	s_lshr_b32 s1, s1, 28
	s_delay_alu instid0(SALU_CYCLE_1) | instskip(NEXT) | instid1(SALU_CYCLE_1)
	s_add_i32 s0, s0, s1
	s_ashr_i32 s2, s0, 4
	s_delay_alu instid0(SALU_CYCLE_1)
	v_cmpx_gt_i32_e64 s2, v6
	s_cbranch_execz .LBB131_7
; %bb.5:
	v_ashrrev_i32_e32 v2, 31, v1
	v_and_b32_e32 v0, 31, v0
	s_delay_alu instid0(VALU_DEP_2) | instskip(NEXT) | instid1(VALU_DEP_2)
	v_lshlrev_b64 v[2:3], 3, v[1:2]
	v_lshlrev_b32_e32 v0, 4, v0
	s_waitcnt lgkmcnt(0)
	s_delay_alu instid0(VALU_DEP_2) | instskip(NEXT) | instid1(VALU_DEP_1)
	v_add_co_u32 v2, s0, s10, v2
	v_add_co_ci_u32_e64 v3, s0, s11, v3, s0
	s_ashr_i32 s0, s3, 31
	global_load_b64 v[2:3], v[2:3], off
	s_waitcnt vmcnt(0)
	v_mul_lo_u32 v3, v3, s3
	v_mul_lo_u32 v10, v2, s0
	v_mad_u64_u32 v[8:9], null, v2, s3, 0
	s_delay_alu instid0(VALU_DEP_1) | instskip(NEXT) | instid1(VALU_DEP_1)
	v_add3_u32 v9, v9, v10, v3
	v_lshlrev_b64 v[2:3], 1, v[8:9]
	v_lshlrev_b32_e32 v8, 1, v4
	s_delay_alu instid0(VALU_DEP_2) | instskip(NEXT) | instid1(VALU_DEP_1)
	v_add_co_u32 v2, s0, v2, v0
	v_add_co_ci_u32_e64 v3, s0, 0, v3, s0
	s_delay_alu instid0(VALU_DEP_3) | instskip(NEXT) | instid1(VALU_DEP_3)
	v_add3_u32 v0, v8, v5, 0
	v_add_co_u32 v2, s0, s8, v2
	s_delay_alu instid0(VALU_DEP_1)
	v_add_co_ci_u32_e64 v3, s0, s9, v3, s0
	v_mov_b32_e32 v8, v6
	s_mov_b32 s8, 0
	.p2align	6
.LBB131_6:                              ; =>This Inner Loop Header: Depth=1
	global_load_b128 v[9:12], v[2:3], off
	v_add_nc_u32_e32 v8, 32, v8
	v_add_co_u32 v2, s0, 0x200, v2
	s_delay_alu instid0(VALU_DEP_1) | instskip(NEXT) | instid1(VALU_DEP_3)
	v_add_co_ci_u32_e64 v3, s0, 0, v3, s0
	v_cmp_le_i32_e64 s1, s2, v8
	s_delay_alu instid0(VALU_DEP_1)
	s_or_b32 s8, s1, s8
	s_waitcnt vmcnt(0)
	ds_store_b128 v0, v[9:12]
	v_add_nc_u32_e32 v0, 0x200, v0
	s_and_not1_b32 exec_lo, exec_lo, s8
	s_cbranch_execnz .LBB131_6
.LBB131_7:
	s_or_b32 exec_lo, exec_lo, s20
	s_delay_alu instid0(SALU_CYCLE_1)
	s_and_b32 exec_lo, exec_lo, vcc_lo
	s_cbranch_execz .LBB131_44
; %bb.8:
	s_waitcnt lgkmcnt(0)
	s_clause 0x1
	global_load_b128 v[8:11], v5, s[4:5]
	global_load_b128 v[12:15], v5, s[6:7]
	v_mbcnt_lo_u32_b32 v2, -1, 0
	s_lshr_b32 s0, s3, 31
	s_ashr_i32 s1, s3, 31
	v_lshl_add_u32 v0, v4, 1, 0
	s_abs_i32 s2, s3
	s_add_i32 s0, s3, s0
	s_lshr_b32 s6, s1, 29
	s_lshr_b32 s1, s1, 28
	v_add_nc_u32_e32 v50, s15, v16
	v_cvt_f32_u32_e32 v16, s2
	v_xor_b32_e32 v20, 16, v2
	s_and_b32 s0, s0, -2
	s_add_i32 s6, s3, s6
	s_add_i32 s1, s3, s1
	v_add_nc_u32_e32 v41, s0, v0
	s_ashr_i32 s0, s6, 3
	s_ashr_i32 s1, s1, 4
	v_rcp_iflag_f32_e32 v16, v16
	v_xor_b32_e32 v21, 8, v2
	v_cmp_gt_i32_e32 vcc_lo, s0, v6
	v_xor_b32_e32 v25, s1, v2
	v_cmp_gt_i32_e64 s0, s1, v6
	v_cmp_gt_i32_e64 s1, 32, v20
	v_xor_b32_e32 v22, 4, v2
	s_sub_i32 s7, 0, s2
	v_xor_b32_e32 v23, 2, v2
	s_add_i32 s4, s18, s17
	v_cndmask_b32_e64 v20, v2, v20, s1
	v_cmp_gt_i32_e64 s1, 32, v21
	s_lshl_b32 s5, s14, 1
	s_add_i32 s4, s4, s16
	v_xor_b32_e32 v24, 1, v2
	s_sub_i32 s3, s4, s5
	v_cndmask_b32_e64 v21, v2, v21, s1
	v_mul_f32_e32 v16, 0x4f7ffffe, v16
	v_cmp_gt_i32_e64 s1, 32, v22
	v_mul_lo_u32 v1, s3, v1
	v_or_b32_e32 v3, 2, v5
	v_lshlrev_b32_e32 v21, 2, v21
	v_cvt_u32_f32_e32 v16, v16
	v_cndmask_b32_e64 v22, v2, v22, s1
	v_cmp_gt_i32_e64 s1, 32, v23
	v_or_b32_e32 v4, 4, v5
	v_or_b32_e32 v17, 6, v5
	v_mul_lo_u32 v30, s7, v16
	v_lshl_add_u32 v1, v1, 8, v7
	v_cndmask_b32_e64 v23, v2, v23, s1
	v_cmp_gt_i32_e64 s1, 32, v24
	v_or_b32_e32 v27, 10, v5
	v_or_b32_e32 v26, 8, v5
	;; [unrolled: 1-line block ×4, first 2 shown]
	v_mul_hi_u32 v30, v16, v30
	v_cndmask_b32_e64 v24, v2, v24, s1
	v_cmp_gt_i32_e64 s1, 32, v25
	v_lshlrev_b32_e32 v20, 2, v20
	v_lshlrev_b32_e32 v22, 2, v22
	v_lshlrev_b32_e32 v23, 2, v23
	v_lshlrev_b32_e32 v24, 2, v24
	v_cndmask_b32_e64 v2, v2, v25, s1
	v_add_nc_u32_e32 v7, v16, v30
	v_lshl_or_b32 v16, v6, 3, v1
	v_add3_u32 v50, v50, v5, 0
	s_mov_b32 s3, 0
	v_lshlrev_b32_e32 v25, 2, v2
	v_mul_hi_u32 v1, v5, v7
	v_mul_hi_u32 v2, v3, v7
	;; [unrolled: 1-line block ×8, first 2 shown]
	v_mul_lo_u32 v1, v1, s2
	v_mul_lo_u32 v2, v2, s2
	;; [unrolled: 1-line block ×8, first 2 shown]
	v_sub_nc_u32_e32 v1, v5, v1
	v_sub_nc_u32_e32 v2, v3, v2
	;; [unrolled: 1-line block ×5, first 2 shown]
	v_subrev_nc_u32_e32 v27, s2, v1
	v_cmp_le_u32_e64 s1, s2, v1
	v_sub_nc_u32_e32 v6, v26, v31
	v_sub_nc_u32_e32 v26, v28, v33
	v_subrev_nc_u32_e32 v28, s2, v2
	v_sub_nc_u32_e32 v7, v29, v7
	v_cndmask_b32_e64 v1, v1, v27, s1
	v_cmp_le_u32_e64 s1, s2, v2
	v_subrev_nc_u32_e32 v29, s2, v3
	v_subrev_nc_u32_e32 v30, s2, v4
	;; [unrolled: 1-line block ×4, first 2 shown]
	v_cndmask_b32_e64 v2, v2, v28, s1
	v_cmp_le_u32_e64 s1, s2, v3
	v_subrev_nc_u32_e32 v33, s2, v26
	v_subrev_nc_u32_e32 v34, s2, v7
	;; [unrolled: 1-line block ×4, first 2 shown]
	v_cndmask_b32_e64 v3, v3, v29, s1
	v_cmp_le_u32_e64 s1, s2, v4
	s_mov_b32 s4, 0
	s_delay_alu instid0(VALU_DEP_2) | instskip(NEXT) | instid1(VALU_DEP_2)
	v_subrev_nc_u32_e32 v29, s2, v3
	v_cndmask_b32_e64 v4, v4, v30, s1
	v_cmp_le_u32_e64 s1, s2, v6
	s_delay_alu instid0(VALU_DEP_2) | instskip(NEXT) | instid1(VALU_DEP_2)
	v_subrev_nc_u32_e32 v30, s2, v4
	v_cndmask_b32_e64 v6, v6, v31, s1
	v_cmp_le_u32_e64 s1, s2, v17
	;; [unrolled: 4-line block ×6, first 2 shown]
	s_delay_alu instid0(VALU_DEP_2) | instskip(NEXT) | instid1(VALU_DEP_2)
	v_and_b32_e32 v1, -2, v1
	v_cndmask_b32_e64 v2, v2, v28, s1
	v_cmp_le_u32_e64 s1, s2, v3
	s_delay_alu instid0(VALU_DEP_3) | instskip(NEXT) | instid1(VALU_DEP_3)
	v_add_nc_u32_e32 v27, v41, v1
	v_and_b32_e32 v2, -2, v2
	s_delay_alu instid0(VALU_DEP_3) | instskip(SKIP_1) | instid1(VALU_DEP_3)
	v_cndmask_b32_e64 v3, v3, v29, s1
	v_cmp_le_u32_e64 s1, s2, v4
	v_add_nc_u32_e32 v28, v0, v2
	s_delay_alu instid0(VALU_DEP_3) | instskip(NEXT) | instid1(VALU_DEP_3)
	v_and_b32_e32 v3, -2, v3
	v_cndmask_b32_e64 v4, v4, v30, s1
	v_cmp_le_u32_e64 s1, s2, v6
	v_add_nc_u32_e32 v29, v41, v2
	s_delay_alu instid0(VALU_DEP_4) | instskip(NEXT) | instid1(VALU_DEP_4)
	v_add_nc_u32_e32 v30, v0, v3
	v_and_b32_e32 v4, -2, v4
	s_delay_alu instid0(VALU_DEP_4) | instskip(SKIP_2) | instid1(VALU_DEP_3)
	v_cndmask_b32_e64 v6, v6, v31, s1
	v_cmp_le_u32_e64 s1, s2, v17
	v_add_nc_u32_e32 v31, v41, v3
	v_and_b32_e32 v6, -2, v6
	s_delay_alu instid0(VALU_DEP_3) | instskip(SKIP_2) | instid1(VALU_DEP_4)
	v_cndmask_b32_e64 v17, v17, v32, s1
	v_cmp_le_u32_e64 s1, s2, v26
	v_add_nc_u32_e32 v32, v0, v4
	v_add_nc_u32_e32 v35, v41, v6
	s_delay_alu instid0(VALU_DEP_4) | instskip(NEXT) | instid1(VALU_DEP_4)
	v_and_b32_e32 v17, -2, v17
	v_cndmask_b32_e64 v26, v26, v33, s1
	v_cmp_le_u32_e64 s1, s2, v7
	v_add_nc_u32_e32 v33, v41, v4
	s_delay_alu instid0(VALU_DEP_4) | instskip(NEXT) | instid1(VALU_DEP_4)
	v_add_nc_u32_e32 v36, v0, v17
	v_and_b32_e32 v39, -2, v26
	s_delay_alu instid0(VALU_DEP_4)
	v_cndmask_b32_e64 v7, v7, v34, s1
	v_add_nc_u32_e32 v26, v0, v1
	v_add_nc_u32_e32 v34, v0, v6
	;; [unrolled: 1-line block ×4, first 2 shown]
	v_and_b32_e32 v7, -2, v7
	v_add_nc_u32_e32 v39, v41, v39
	s_delay_alu instid0(VALU_DEP_2)
	v_add_nc_u32_e32 v40, v0, v7
	v_add_nc_u32_e32 v41, v41, v7
	s_waitcnt vmcnt(1)
	v_lshrrev_b32_e32 v42, 16, v8
	v_lshrrev_b32_e32 v43, 16, v9
	;; [unrolled: 1-line block ×4, first 2 shown]
	s_waitcnt vmcnt(0)
	v_lshrrev_b32_e32 v46, 16, v12
	v_lshrrev_b32_e32 v47, 16, v13
	;; [unrolled: 1-line block ×4, first 2 shown]
	s_branch .LBB131_10
.LBB131_9:                              ;   in Loop: Header=BB131_10 Depth=1
	s_or_b32 exec_lo, exec_lo, s2
	v_ashrrev_i32_e32 v17, 31, v16
	s_add_i32 s4, s4, 1
	v_perm_b32 v3, v58, v57, 0x7060302
	v_cmp_ge_i32_e64 s1, s4, v19
	v_perm_b32 v2, v56, v55, 0x7060302
	v_lshlrev_b64 v[4:5], 1, v[16:17]
	v_perm_b32 v1, v54, v53, 0x7060302
	v_perm_b32 v0, v52, v51, 0x7060302
	v_add_nc_u32_e32 v16, 0x100, v16
	v_add_nc_u32_e32 v50, 0x200, v50
	s_or_b32 s3, s1, s3
	v_add_co_u32 v4, s2, s12, v4
	s_delay_alu instid0(VALU_DEP_1)
	v_add_co_ci_u32_e64 v5, s2, s13, v5, s2
	global_store_b128 v[4:5], v[0:3], off
	s_and_not1_b32 exec_lo, exec_lo, s3
	s_cbranch_execz .LBB131_44
.LBB131_10:                             ; =>This Inner Loop Header: Depth=1
	ds_load_b128 v[0:3], v50
	s_waitcnt lgkmcnt(0)
	v_lshlrev_b32_e32 v6, 16, v1
	v_and_b32_e32 v4, 0xffff0000, v0
	v_and_b32_e32 v7, 0xffff0000, v1
	v_lshlrev_b32_e32 v0, 16, v0
	v_and_b32_e32 v53, 0xffff0000, v3
	s_delay_alu instid0(VALU_DEP_4) | instskip(SKIP_2) | instid1(VALU_DEP_3)
	v_dual_mul_f32 v5, v4, v4 :: v_dual_lshlrev_b32 v52, 16, v3
	v_add_nc_u32_e32 v3, s4, v18
	v_lshlrev_b32_e32 v17, 16, v2
	v_fmac_f32_e32 v5, v0, v0
	s_delay_alu instid0(VALU_DEP_3) | instskip(NEXT) | instid1(VALU_DEP_2)
	v_cmp_gt_i32_e64 s2, s16, v3
	v_fmac_f32_e32 v5, v6, v6
	s_delay_alu instid0(VALU_DEP_2) | instskip(SKIP_3) | instid1(VALU_DEP_4)
	v_cndmask_b32_e64 v56, v48, v44, s2
	v_cndmask_b32_e64 v54, v47, v43, s2
	;; [unrolled: 1-line block ×4, first 2 shown]
	v_dual_fmac_f32 v5, v7, v7 :: v_dual_lshlrev_b32 v56, 16, v56
	v_and_b32_e32 v51, 0xffff0000, v2
	v_cndmask_b32_e64 v55, v14, v10, s2
	v_cndmask_b32_e64 v57, v15, v11, s2
	s_delay_alu instid0(VALU_DEP_4) | instskip(NEXT) | instid1(VALU_DEP_2)
	v_dual_fmac_f32 v5, v17, v17 :: v_dual_lshlrev_b32 v54, 16, v54
	v_lshlrev_b32_e32 v57, 16, v57
	s_delay_alu instid0(VALU_DEP_2) | instskip(NEXT) | instid1(VALU_DEP_1)
	v_fmac_f32_e32 v5, v51, v51
	v_fmac_f32_e32 v5, v52, v52
	s_delay_alu instid0(VALU_DEP_1)
	v_fmac_f32_e32 v5, v53, v53
	ds_bpermute_b32 v1, v20, v5
	s_waitcnt lgkmcnt(0)
	v_add_f32_e32 v1, v5, v1
	v_cndmask_b32_e64 v5, v13, v9, s2
	ds_bpermute_b32 v2, v21, v1
	v_lshlrev_b32_e32 v5, 16, v5
	s_waitcnt lgkmcnt(0)
	v_add_f32_e32 v1, v1, v2
	ds_bpermute_b32 v2, v22, v1
	s_waitcnt lgkmcnt(0)
	v_add_f32_e32 v1, v1, v2
	ds_bpermute_b32 v2, v23, v1
	;; [unrolled: 3-line block ×3, first 2 shown]
	s_waitcnt lgkmcnt(0)
	v_add_f32_e32 v1, v1, v2
	s_delay_alu instid0(VALU_DEP_1) | instskip(NEXT) | instid1(VALU_DEP_1)
	v_fma_f32 v1, 0x3b800000, v1, s19
	v_mul_f32_e32 v2, 0x4b800000, v1
	v_cmp_gt_f32_e64 s1, 0x800000, v1
	s_delay_alu instid0(VALU_DEP_1) | instskip(SKIP_1) | instid1(VALU_DEP_2)
	v_cndmask_b32_e64 v1, v1, v2, s1
	v_cndmask_b32_e64 v2, v12, v8, s2
	v_rsq_f32_e32 v1, v1
	s_delay_alu instid0(VALU_DEP_1) | instskip(SKIP_2) | instid1(VALU_DEP_1)
	v_lshlrev_b32_e32 v2, 16, v2
	s_waitcnt_depctr 0xfff
	v_mul_f32_e32 v58, 0x45800000, v1
	v_cndmask_b32_e64 v1, v1, v58, s1
	v_lshlrev_b32_e32 v58, 16, v59
	s_delay_alu instid0(VALU_DEP_2) | instskip(NEXT) | instid1(VALU_DEP_2)
	v_dual_mul_f32 v2, v1, v2 :: v_dual_lshlrev_b32 v3, 16, v3
	v_mul_f32_e32 v58, v1, v58
	v_mul_f32_e32 v5, v1, v5
	v_lshlrev_b32_e32 v55, 16, v55
	s_delay_alu instid0(VALU_DEP_4)
	v_mul_f32_e32 v3, v1, v3
	v_mul_f32_e32 v54, v1, v54
	;; [unrolled: 1-line block ×3, first 2 shown]
	v_dual_mul_f32 v57, v1, v57 :: v_dual_mul_f32 v0, v2, v0
	v_mul_f32_e32 v2, v5, v6
	v_mul_f32_e32 v55, v1, v55
	;; [unrolled: 1-line block ×4, first 2 shown]
	v_dual_mul_f32 v5, v56, v51 :: v_dual_mul_f32 v6, v57, v52
	s_delay_alu instid0(VALU_DEP_4)
	v_mul_f32_e32 v4, v55, v17
	v_mul_f32_e32 v7, v58, v53
	s_and_saveexec_b32 s1, vcc_lo
	s_cbranch_execz .LBB131_12
; %bb.11:                               ;   in Loop: Header=BB131_10 Depth=1
	; wave barrier
	ds_load_u16 v51, v26
	ds_load_u16 v52, v27
	ds_bpermute_b32 v53, v25, v1
	ds_load_u16 v54, v28
	ds_load_u16 v55, v29
	ds_bpermute_b32 v17, v25, v0
	ds_bpermute_b32 v56, v25, v2
	ds_load_u16 v57, v31
	ds_load_u16 v58, v30
	;; [unrolled: 1-line block ×4, first 2 shown]
	ds_bpermute_b32 v62, v25, v4
	ds_bpermute_b32 v65, v25, v6
	;; [unrolled: 1-line block ×4, first 2 shown]
	s_waitcnt lgkmcnt(14)
	v_lshlrev_b32_e32 v63, 16, v51
	s_waitcnt lgkmcnt(13)
	v_lshlrev_b32_e32 v51, 16, v52
	s_waitcnt lgkmcnt(12)
	v_cndmask_b32_e64 v52, v53, -v53, s0
	s_waitcnt lgkmcnt(11)
	v_lshlrev_b32_e32 v53, 16, v54
	s_waitcnt lgkmcnt(10)
	v_lshlrev_b32_e32 v54, 16, v55
	s_waitcnt lgkmcnt(9)
	v_cndmask_b32_e64 v17, v17, -v17, s0
	s_waitcnt lgkmcnt(8)
	v_cndmask_b32_e64 v55, v56, -v56, s0
	ds_load_u16 v56, v34
	ds_load_u16 v64, v35
	;; [unrolled: 1-line block ×8, first 2 shown]
	v_mul_f32_e32 v52, v52, v54
	; wave barrier
	s_delay_alu instid0(VALU_DEP_1)
	v_fmac_f32_e32 v52, v1, v53
	v_mul_f32_e32 v51, v17, v51
	s_waitcnt lgkmcnt(15)
	v_lshlrev_b32_e32 v17, 16, v57
	ds_bpermute_b32 v57, v25, v5
	s_waitcnt lgkmcnt(10)
	v_cndmask_b32_e64 v1, v59, -v59, s0
	s_waitcnt lgkmcnt(9)
	v_cndmask_b32_e64 v59, v66, -v66, s0
	v_dual_fmac_f32 v51, v0, v63 :: v_dual_lshlrev_b32 v0, 16, v58
	v_mul_f32_e32 v53, v55, v17
	v_cndmask_b32_e64 v55, v62, -v62, s0
	s_waitcnt lgkmcnt(7)
	v_lshlrev_b32_e32 v58, 16, v64
	s_delay_alu instid0(VALU_DEP_3) | instskip(NEXT) | instid1(VALU_DEP_2)
	v_fmac_f32_e32 v53, v2, v0
	v_dual_mul_f32 v55, v55, v58 :: v_dual_lshlrev_b32 v0, 16, v60
	s_waitcnt lgkmcnt(3)
	v_lshlrev_b32_e32 v58, 16, v70
	s_waitcnt lgkmcnt(0)
	v_cndmask_b32_e64 v2, v57, -v57, s0
	v_cndmask_b32_e64 v57, v65, -v65, s0
	s_delay_alu instid0(VALU_DEP_1) | instskip(NEXT) | instid1(VALU_DEP_1)
	v_dual_mul_f32 v57, v57, v58 :: v_dual_lshlrev_b32 v60, 16, v72
	v_dual_mul_f32 v58, v59, v60 :: v_dual_lshlrev_b32 v17, 16, v61
	s_delay_alu instid0(VALU_DEP_1) | instskip(NEXT) | instid1(VALU_DEP_1)
	v_dual_mul_f32 v54, v1, v17 :: v_dual_lshlrev_b32 v17, 16, v67
	v_fmac_f32_e32 v54, v3, v0
	v_lshlrev_b32_e32 v1, 16, v56
	v_lshlrev_b32_e32 v56, 16, v68
	s_delay_alu instid0(VALU_DEP_1) | instskip(NEXT) | instid1(VALU_DEP_1)
	v_mul_f32_e32 v56, v2, v56
	v_fmac_f32_e32 v56, v5, v17
	s_delay_alu instid0(VALU_DEP_4) | instskip(SKIP_1) | instid1(VALU_DEP_1)
	v_fmac_f32_e32 v55, v4, v1
	v_lshlrev_b32_e32 v61, 16, v71
	v_fmac_f32_e32 v58, v7, v61
	v_lshlrev_b32_e32 v2, 16, v69
	s_delay_alu instid0(VALU_DEP_1) | instskip(SKIP_3) | instid1(VALU_DEP_4)
	v_fmac_f32_e32 v57, v6, v2
	v_dual_mov_b32 v0, v51 :: v_dual_mov_b32 v1, v52
	v_dual_mov_b32 v2, v53 :: v_dual_mov_b32 v3, v54
	;; [unrolled: 1-line block ×4, first 2 shown]
.LBB131_12:                             ;   in Loop: Header=BB131_10 Depth=1
	s_or_b32 exec_lo, exec_lo, s1
	v_and_b32_e32 v17, 0x7f800000, v0
                                        ; implicit-def: $vgpr51
	s_delay_alu instid0(VALU_DEP_1) | instskip(NEXT) | instid1(VALU_DEP_1)
	v_cmp_ne_u32_e64 s1, 0x7f800000, v17
	s_and_saveexec_b32 s2, s1
	s_delay_alu instid0(SALU_CYCLE_1)
	s_xor_b32 s1, exec_lo, s2
; %bb.13:                               ;   in Loop: Header=BB131_10 Depth=1
	v_bfe_u32 v17, v0, 16, 1
	s_delay_alu instid0(VALU_DEP_1)
	v_add3_u32 v51, v0, v17, 0x7fff
; %bb.14:                               ;   in Loop: Header=BB131_10 Depth=1
	s_and_not1_saveexec_b32 s2, s1
; %bb.15:                               ;   in Loop: Header=BB131_10 Depth=1
	v_and_b32_e32 v17, 0xffff, v0
	v_or_b32_e32 v51, 0x10000, v0
	s_delay_alu instid0(VALU_DEP_2) | instskip(NEXT) | instid1(VALU_DEP_1)
	v_cmp_eq_u32_e64 s1, 0, v17
	v_cndmask_b32_e64 v51, v51, v0, s1
; %bb.16:                               ;   in Loop: Header=BB131_10 Depth=1
	s_or_b32 exec_lo, exec_lo, s2
	v_and_b32_e32 v0, 0x7f800000, v1
                                        ; implicit-def: $vgpr52
	s_delay_alu instid0(VALU_DEP_1) | instskip(NEXT) | instid1(VALU_DEP_1)
	v_cmp_ne_u32_e64 s1, 0x7f800000, v0
	s_and_saveexec_b32 s2, s1
	s_delay_alu instid0(SALU_CYCLE_1)
	s_xor_b32 s1, exec_lo, s2
; %bb.17:                               ;   in Loop: Header=BB131_10 Depth=1
	v_bfe_u32 v0, v1, 16, 1
	s_delay_alu instid0(VALU_DEP_1)
	v_add3_u32 v52, v1, v0, 0x7fff
; %bb.18:                               ;   in Loop: Header=BB131_10 Depth=1
	s_and_not1_saveexec_b32 s2, s1
; %bb.19:                               ;   in Loop: Header=BB131_10 Depth=1
	v_and_b32_e32 v0, 0xffff, v1
	v_or_b32_e32 v17, 0x10000, v1
	s_delay_alu instid0(VALU_DEP_2) | instskip(NEXT) | instid1(VALU_DEP_1)
	v_cmp_eq_u32_e64 s1, 0, v0
	v_cndmask_b32_e64 v52, v17, v1, s1
; %bb.20:                               ;   in Loop: Header=BB131_10 Depth=1
	s_or_b32 exec_lo, exec_lo, s2
	v_and_b32_e32 v0, 0x7f800000, v2
                                        ; implicit-def: $vgpr53
	s_delay_alu instid0(VALU_DEP_1) | instskip(NEXT) | instid1(VALU_DEP_1)
	v_cmp_ne_u32_e64 s1, 0x7f800000, v0
	s_and_saveexec_b32 s2, s1
	s_delay_alu instid0(SALU_CYCLE_1)
	s_xor_b32 s1, exec_lo, s2
; %bb.21:                               ;   in Loop: Header=BB131_10 Depth=1
	v_bfe_u32 v0, v2, 16, 1
	s_delay_alu instid0(VALU_DEP_1)
	v_add3_u32 v53, v2, v0, 0x7fff
; %bb.22:                               ;   in Loop: Header=BB131_10 Depth=1
	s_and_not1_saveexec_b32 s2, s1
; %bb.23:                               ;   in Loop: Header=BB131_10 Depth=1
	v_and_b32_e32 v0, 0xffff, v2
	v_or_b32_e32 v1, 0x10000, v2
	s_delay_alu instid0(VALU_DEP_2) | instskip(NEXT) | instid1(VALU_DEP_1)
	v_cmp_eq_u32_e64 s1, 0, v0
	v_cndmask_b32_e64 v53, v1, v2, s1
; %bb.24:                               ;   in Loop: Header=BB131_10 Depth=1
	s_or_b32 exec_lo, exec_lo, s2
	v_and_b32_e32 v0, 0x7f800000, v3
                                        ; implicit-def: $vgpr54
	s_delay_alu instid0(VALU_DEP_1) | instskip(NEXT) | instid1(VALU_DEP_1)
	v_cmp_ne_u32_e64 s1, 0x7f800000, v0
	s_and_saveexec_b32 s2, s1
	s_delay_alu instid0(SALU_CYCLE_1)
	s_xor_b32 s1, exec_lo, s2
; %bb.25:                               ;   in Loop: Header=BB131_10 Depth=1
	v_bfe_u32 v0, v3, 16, 1
	s_delay_alu instid0(VALU_DEP_1)
	v_add3_u32 v54, v3, v0, 0x7fff
; %bb.26:                               ;   in Loop: Header=BB131_10 Depth=1
	s_and_not1_saveexec_b32 s2, s1
; %bb.27:                               ;   in Loop: Header=BB131_10 Depth=1
	v_and_b32_e32 v0, 0xffff, v3
	v_or_b32_e32 v1, 0x10000, v3
	s_delay_alu instid0(VALU_DEP_2) | instskip(NEXT) | instid1(VALU_DEP_1)
	v_cmp_eq_u32_e64 s1, 0, v0
	v_cndmask_b32_e64 v54, v1, v3, s1
; %bb.28:                               ;   in Loop: Header=BB131_10 Depth=1
	s_or_b32 exec_lo, exec_lo, s2
	v_and_b32_e32 v0, 0x7f800000, v4
                                        ; implicit-def: $vgpr55
	s_delay_alu instid0(VALU_DEP_1) | instskip(NEXT) | instid1(VALU_DEP_1)
	v_cmp_ne_u32_e64 s1, 0x7f800000, v0
	s_and_saveexec_b32 s2, s1
	s_delay_alu instid0(SALU_CYCLE_1)
	s_xor_b32 s1, exec_lo, s2
; %bb.29:                               ;   in Loop: Header=BB131_10 Depth=1
	v_bfe_u32 v0, v4, 16, 1
	s_delay_alu instid0(VALU_DEP_1)
	v_add3_u32 v55, v4, v0, 0x7fff
; %bb.30:                               ;   in Loop: Header=BB131_10 Depth=1
	s_and_not1_saveexec_b32 s2, s1
; %bb.31:                               ;   in Loop: Header=BB131_10 Depth=1
	v_and_b32_e32 v0, 0xffff, v4
	v_or_b32_e32 v1, 0x10000, v4
	s_delay_alu instid0(VALU_DEP_2) | instskip(NEXT) | instid1(VALU_DEP_1)
	v_cmp_eq_u32_e64 s1, 0, v0
	v_cndmask_b32_e64 v55, v1, v4, s1
; %bb.32:                               ;   in Loop: Header=BB131_10 Depth=1
	s_or_b32 exec_lo, exec_lo, s2
	v_and_b32_e32 v0, 0x7f800000, v5
                                        ; implicit-def: $vgpr56
	s_delay_alu instid0(VALU_DEP_1) | instskip(NEXT) | instid1(VALU_DEP_1)
	v_cmp_ne_u32_e64 s1, 0x7f800000, v0
	s_and_saveexec_b32 s2, s1
	s_delay_alu instid0(SALU_CYCLE_1)
	s_xor_b32 s1, exec_lo, s2
; %bb.33:                               ;   in Loop: Header=BB131_10 Depth=1
	v_bfe_u32 v0, v5, 16, 1
	s_delay_alu instid0(VALU_DEP_1)
	v_add3_u32 v56, v5, v0, 0x7fff
; %bb.34:                               ;   in Loop: Header=BB131_10 Depth=1
	s_and_not1_saveexec_b32 s2, s1
; %bb.35:                               ;   in Loop: Header=BB131_10 Depth=1
	v_and_b32_e32 v0, 0xffff, v5
	v_or_b32_e32 v1, 0x10000, v5
	s_delay_alu instid0(VALU_DEP_2) | instskip(NEXT) | instid1(VALU_DEP_1)
	v_cmp_eq_u32_e64 s1, 0, v0
	v_cndmask_b32_e64 v56, v1, v5, s1
; %bb.36:                               ;   in Loop: Header=BB131_10 Depth=1
	s_or_b32 exec_lo, exec_lo, s2
	v_and_b32_e32 v0, 0x7f800000, v6
                                        ; implicit-def: $vgpr57
	s_delay_alu instid0(VALU_DEP_1) | instskip(NEXT) | instid1(VALU_DEP_1)
	v_cmp_ne_u32_e64 s1, 0x7f800000, v0
	s_and_saveexec_b32 s2, s1
	s_delay_alu instid0(SALU_CYCLE_1)
	s_xor_b32 s1, exec_lo, s2
; %bb.37:                               ;   in Loop: Header=BB131_10 Depth=1
	v_bfe_u32 v0, v6, 16, 1
	s_delay_alu instid0(VALU_DEP_1)
	v_add3_u32 v57, v6, v0, 0x7fff
; %bb.38:                               ;   in Loop: Header=BB131_10 Depth=1
	s_and_not1_saveexec_b32 s2, s1
; %bb.39:                               ;   in Loop: Header=BB131_10 Depth=1
	v_and_b32_e32 v0, 0xffff, v6
	v_or_b32_e32 v1, 0x10000, v6
	s_delay_alu instid0(VALU_DEP_2) | instskip(NEXT) | instid1(VALU_DEP_1)
	v_cmp_eq_u32_e64 s1, 0, v0
	v_cndmask_b32_e64 v57, v1, v6, s1
; %bb.40:                               ;   in Loop: Header=BB131_10 Depth=1
	s_or_b32 exec_lo, exec_lo, s2
	v_and_b32_e32 v0, 0x7f800000, v7
                                        ; implicit-def: $vgpr58
	s_delay_alu instid0(VALU_DEP_1) | instskip(NEXT) | instid1(VALU_DEP_1)
	v_cmp_ne_u32_e64 s1, 0x7f800000, v0
	s_and_saveexec_b32 s2, s1
	s_delay_alu instid0(SALU_CYCLE_1)
	s_xor_b32 s1, exec_lo, s2
; %bb.41:                               ;   in Loop: Header=BB131_10 Depth=1
	v_bfe_u32 v0, v7, 16, 1
	s_delay_alu instid0(VALU_DEP_1)
	v_add3_u32 v58, v7, v0, 0x7fff
                                        ; implicit-def: $vgpr0_vgpr1_vgpr2_vgpr3_vgpr4_vgpr5_vgpr6_vgpr7
; %bb.42:                               ;   in Loop: Header=BB131_10 Depth=1
	s_and_not1_saveexec_b32 s2, s1
	s_cbranch_execz .LBB131_9
; %bb.43:                               ;   in Loop: Header=BB131_10 Depth=1
	v_and_b32_e32 v0, 0xffff, v7
	v_or_b32_e32 v1, 0x10000, v7
	s_delay_alu instid0(VALU_DEP_2) | instskip(NEXT) | instid1(VALU_DEP_1)
	v_cmp_eq_u32_e64 s1, 0, v0
	v_cndmask_b32_e64 v58, v1, v7, s1
	s_branch .LBB131_9
.LBB131_44:
	s_nop 0
	s_sendmsg sendmsg(MSG_DEALLOC_VGPRS)
	s_endpgm
	.section	.rodata,"a",@progbits
	.p2align	6, 0x0
	.amdhsa_kernel _ZN12tensorrt_llm7kernels32fusedQKNormRopeKernelNTokenHeadsIN3c108BFloat16ES3_Li256ELb0ELi2EEEvPviiifPKvS6_S6_PKlii
		.amdhsa_group_segment_fixed_size 0
		.amdhsa_private_segment_fixed_size 0
		.amdhsa_kernarg_size 320
		.amdhsa_user_sgpr_count 15
		.amdhsa_user_sgpr_dispatch_ptr 0
		.amdhsa_user_sgpr_queue_ptr 0
		.amdhsa_user_sgpr_kernarg_segment_ptr 1
		.amdhsa_user_sgpr_dispatch_id 0
		.amdhsa_user_sgpr_private_segment_size 0
		.amdhsa_wavefront_size32 1
		.amdhsa_uses_dynamic_stack 0
		.amdhsa_enable_private_segment 0
		.amdhsa_system_sgpr_workgroup_id_x 1
		.amdhsa_system_sgpr_workgroup_id_y 0
		.amdhsa_system_sgpr_workgroup_id_z 0
		.amdhsa_system_sgpr_workgroup_info 0
		.amdhsa_system_vgpr_workitem_id 0
		.amdhsa_next_free_vgpr 73
		.amdhsa_next_free_sgpr 21
		.amdhsa_reserve_vcc 1
		.amdhsa_float_round_mode_32 0
		.amdhsa_float_round_mode_16_64 0
		.amdhsa_float_denorm_mode_32 3
		.amdhsa_float_denorm_mode_16_64 3
		.amdhsa_dx10_clamp 1
		.amdhsa_ieee_mode 1
		.amdhsa_fp16_overflow 0
		.amdhsa_workgroup_processor_mode 1
		.amdhsa_memory_ordered 1
		.amdhsa_forward_progress 0
		.amdhsa_shared_vgpr_count 0
		.amdhsa_exception_fp_ieee_invalid_op 0
		.amdhsa_exception_fp_denorm_src 0
		.amdhsa_exception_fp_ieee_div_zero 0
		.amdhsa_exception_fp_ieee_overflow 0
		.amdhsa_exception_fp_ieee_underflow 0
		.amdhsa_exception_fp_ieee_inexact 0
		.amdhsa_exception_int_div_zero 0
	.end_amdhsa_kernel
	.section	.text._ZN12tensorrt_llm7kernels32fusedQKNormRopeKernelNTokenHeadsIN3c108BFloat16ES3_Li256ELb0ELi2EEEvPviiifPKvS6_S6_PKlii,"axG",@progbits,_ZN12tensorrt_llm7kernels32fusedQKNormRopeKernelNTokenHeadsIN3c108BFloat16ES3_Li256ELb0ELi2EEEvPviiifPKvS6_S6_PKlii,comdat
.Lfunc_end131:
	.size	_ZN12tensorrt_llm7kernels32fusedQKNormRopeKernelNTokenHeadsIN3c108BFloat16ES3_Li256ELb0ELi2EEEvPviiifPKvS6_S6_PKlii, .Lfunc_end131-_ZN12tensorrt_llm7kernels32fusedQKNormRopeKernelNTokenHeadsIN3c108BFloat16ES3_Li256ELb0ELi2EEEvPviiifPKvS6_S6_PKlii
                                        ; -- End function
	.section	.AMDGPU.csdata,"",@progbits
; Kernel info:
; codeLenInByte = 3868
; NumSgprs: 23
; NumVgprs: 73
; ScratchSize: 0
; MemoryBound: 0
; FloatMode: 240
; IeeeMode: 1
; LDSByteSize: 0 bytes/workgroup (compile time only)
; SGPRBlocks: 2
; VGPRBlocks: 9
; NumSGPRsForWavesPerEU: 23
; NumVGPRsForWavesPerEU: 73
; Occupancy: 16
; WaveLimiterHint : 0
; COMPUTE_PGM_RSRC2:SCRATCH_EN: 0
; COMPUTE_PGM_RSRC2:USER_SGPR: 15
; COMPUTE_PGM_RSRC2:TRAP_HANDLER: 0
; COMPUTE_PGM_RSRC2:TGID_X_EN: 1
; COMPUTE_PGM_RSRC2:TGID_Y_EN: 0
; COMPUTE_PGM_RSRC2:TGID_Z_EN: 0
; COMPUTE_PGM_RSRC2:TIDIG_COMP_CNT: 0
	.section	.text._ZN12tensorrt_llm7kernels32fusedQKNormRopeKernelNTokenHeadsIN3c108BFloat16ES3_Li64ELb1ELi4EEEvPviiifPKvS6_S6_PKlii,"axG",@progbits,_ZN12tensorrt_llm7kernels32fusedQKNormRopeKernelNTokenHeadsIN3c108BFloat16ES3_Li64ELb1ELi4EEEvPviiifPKvS6_S6_PKlii,comdat
	.protected	_ZN12tensorrt_llm7kernels32fusedQKNormRopeKernelNTokenHeadsIN3c108BFloat16ES3_Li64ELb1ELi4EEEvPviiifPKvS6_S6_PKlii ; -- Begin function _ZN12tensorrt_llm7kernels32fusedQKNormRopeKernelNTokenHeadsIN3c108BFloat16ES3_Li64ELb1ELi4EEEvPviiifPKvS6_S6_PKlii
	.globl	_ZN12tensorrt_llm7kernels32fusedQKNormRopeKernelNTokenHeadsIN3c108BFloat16ES3_Li64ELb1ELi4EEEvPviiifPKvS6_S6_PKlii
	.p2align	8
	.type	_ZN12tensorrt_llm7kernels32fusedQKNormRopeKernelNTokenHeadsIN3c108BFloat16ES3_Li64ELb1ELi4EEEvPviiifPKvS6_S6_PKlii,@function
_ZN12tensorrt_llm7kernels32fusedQKNormRopeKernelNTokenHeadsIN3c108BFloat16ES3_Li64ELb1ELi4EEEvPviiifPKvS6_S6_PKlii: ; @_ZN12tensorrt_llm7kernels32fusedQKNormRopeKernelNTokenHeadsIN3c108BFloat16ES3_Li64ELb1ELi4EEEvPviiifPKvS6_S6_PKlii
; %bb.0:
	s_clause 0x1
	s_load_b128 s[16:19], s[0:1], 0x8
	s_load_b64 s[2:3], s[0:1], 0x38
	v_lshrrev_b32_e32 v2, 5, v0
	s_waitcnt lgkmcnt(0)
	s_add_i32 s4, s17, s16
	s_delay_alu instid0(SALU_CYCLE_1) | instskip(NEXT) | instid1(SALU_CYCLE_1)
	s_add_i32 s5, s4, 3
	s_ashr_i32 s6, s5, 31
	s_delay_alu instid0(SALU_CYCLE_1) | instskip(NEXT) | instid1(SALU_CYCLE_1)
	s_lshr_b32 s6, s6, 30
	s_add_i32 s5, s5, s6
	s_delay_alu instid0(SALU_CYCLE_1) | instskip(SKIP_2) | instid1(SALU_CYCLE_1)
	s_ashr_i32 s14, s5, 2
	s_load_b32 s5, s[0:1], 0x4c
	s_abs_i32 s6, s14
	v_cvt_f32_u32_e32 v1, s6
	s_sub_i32 s7, 0, s6
	s_delay_alu instid0(VALU_DEP_1) | instskip(SKIP_4) | instid1(SALU_CYCLE_1)
	v_rcp_iflag_f32_e32 v1, v1
	s_waitcnt_depctr 0xfff
	v_mul_f32_e32 v1, 0x4f7ffffe, v1
	s_waitcnt lgkmcnt(0)
	s_bfe_u32 s5, s5, 0xb0005
	v_mad_u64_u32 v[3:4], null, s15, s5, v[2:3]
	s_delay_alu instid0(VALU_DEP_2) | instskip(NEXT) | instid1(VALU_DEP_1)
	v_cvt_u32_f32_e32 v1, v1
	v_mul_lo_u32 v5, s7, v1
	s_delay_alu instid0(VALU_DEP_1) | instskip(NEXT) | instid1(VALU_DEP_4)
	v_mul_hi_u32 v4, v1, v5
	v_sub_nc_u32_e32 v5, 0, v3
	s_delay_alu instid0(VALU_DEP_1) | instskip(NEXT) | instid1(VALU_DEP_3)
	v_max_i32_e32 v5, v3, v5
	v_add_nc_u32_e32 v1, v1, v4
	s_delay_alu instid0(VALU_DEP_1) | instskip(NEXT) | instid1(VALU_DEP_1)
	v_mul_hi_u32 v1, v5, v1
	v_mul_lo_u32 v4, v1, s6
	s_delay_alu instid0(VALU_DEP_1) | instskip(SKIP_1) | instid1(VALU_DEP_2)
	v_sub_nc_u32_e32 v4, v5, v4
	v_add_nc_u32_e32 v5, 1, v1
	v_subrev_nc_u32_e32 v6, s6, v4
	v_cmp_le_u32_e32 vcc_lo, s6, v4
	s_delay_alu instid0(VALU_DEP_2) | instskip(SKIP_1) | instid1(VALU_DEP_2)
	v_dual_cndmask_b32 v4, v4, v6 :: v_dual_cndmask_b32 v1, v1, v5
	v_xor_b32_e32 v5, s14, v3
	v_cmp_le_u32_e32 vcc_lo, s6, v4
	s_delay_alu instid0(VALU_DEP_3) | instskip(NEXT) | instid1(VALU_DEP_3)
	v_add_nc_u32_e32 v6, 1, v1
	v_ashrrev_i32_e32 v5, 31, v5
	s_delay_alu instid0(VALU_DEP_2) | instskip(NEXT) | instid1(VALU_DEP_1)
	v_cndmask_b32_e32 v1, v1, v6, vcc_lo
	v_xor_b32_e32 v1, v1, v5
	s_delay_alu instid0(VALU_DEP_1) | instskip(NEXT) | instid1(VALU_DEP_1)
	v_sub_nc_u32_e32 v1, v1, v5
	v_cmp_gt_i32_e32 vcc_lo, s2, v1
	s_and_saveexec_b32 s2, vcc_lo
	s_cbranch_execz .LBB132_20
; %bb.1:
	v_mul_lo_u32 v4, v1, s14
	s_load_b64 s[12:13], s[0:1], 0x0
	v_and_b32_e32 v7, 31, v0
	v_lshlrev_b32_e32 v8, 9, v2
	v_lshlrev_b32_e32 v0, 8, v3
	s_lshl_b32 s20, s3, 1
	s_delay_alu instid0(VALU_DEP_3) | instskip(SKIP_2) | instid1(VALU_DEP_1)
	v_lshlrev_b32_e32 v9, 2, v7
	v_sub_nc_u32_e32 v4, v3, v4
	s_mul_i32 s15, s20, s5
	v_lshlrev_b32_e32 v5, 2, v4
	s_delay_alu instid0(VALU_DEP_1) | instskip(SKIP_1) | instid1(VALU_DEP_2)
	v_add_nc_u32_e32 v4, 4, v5
	v_sub_nc_u32_e32 v6, s4, v5
	v_cmp_lt_i32_e32 vcc_lo, s4, v4
	s_delay_alu instid0(VALU_DEP_2) | instskip(NEXT) | instid1(VALU_DEP_1)
	v_cndmask_b32_e32 v6, 4, v6, vcc_lo
	v_cmp_lt_i32_e32 vcc_lo, 0, v6
	s_and_saveexec_b32 s4, vcc_lo
	s_cbranch_execz .LBB132_4
; %bb.2:
	s_add_i32 s2, s18, s17
	s_lshl_b32 s5, s14, 2
	s_add_i32 s2, s2, s16
	s_mov_b32 s6, 0
	s_sub_i32 s2, s2, s5
	s_mov_b32 s5, 0
	v_mul_lo_u32 v3, s2, v1
	s_add_i32 s2, s15, 0
	s_delay_alu instid0(SALU_CYCLE_1) | instskip(NEXT) | instid1(VALU_DEP_2)
	v_add3_u32 v10, s2, v8, v9
	v_lshl_add_u32 v3, v3, 6, v0
	s_delay_alu instid0(VALU_DEP_1)
	v_lshl_or_b32 v3, v7, 1, v3
	.p2align	6
.LBB132_3:                              ; =>This Inner Loop Header: Depth=1
	s_delay_alu instid0(VALU_DEP_1) | instskip(SKIP_1) | instid1(VALU_DEP_1)
	v_ashrrev_i32_e32 v4, 31, v3
	s_add_i32 s6, s6, 1
	v_lshlrev_b64 v[11:12], 1, v[3:4]
	v_add_nc_u32_e32 v3, 64, v3
	s_waitcnt lgkmcnt(0)
	s_delay_alu instid0(VALU_DEP_2) | instskip(NEXT) | instid1(VALU_DEP_1)
	v_add_co_u32 v11, s2, s12, v11
	v_add_co_ci_u32_e64 v12, s2, s13, v12, s2
	v_cmp_ge_i32_e64 s2, s6, v6
	global_load_b32 v4, v[11:12], off
	s_or_b32 s5, s2, s5
	s_waitcnt vmcnt(0)
	ds_store_b32 v10, v4
	v_add_nc_u32_e32 v10, 0x80, v10
	s_and_not1_b32 exec_lo, exec_lo, s5
	s_cbranch_execnz .LBB132_3
.LBB132_4:
	s_or_b32 exec_lo, exec_lo, s4
	s_load_b256 s[4:11], s[0:1], 0x18
	v_mul_lo_u32 v2, v2, s3
	s_add_i32 s0, s20, 15
	s_mov_b32 s20, exec_lo
	s_ashr_i32 s1, s0, 31
	s_delay_alu instid0(SALU_CYCLE_1) | instskip(NEXT) | instid1(SALU_CYCLE_1)
	s_lshr_b32 s1, s1, 28
	s_add_i32 s0, s0, s1
	s_delay_alu instid0(VALU_DEP_1) | instskip(SKIP_1) | instid1(SALU_CYCLE_1)
	v_lshlrev_b32_e32 v10, 1, v2
	s_ashr_i32 s2, s0, 4
	v_cmpx_gt_i32_e64 s2, v7
	s_cbranch_execz .LBB132_7
; %bb.5:
	v_ashrrev_i32_e32 v2, 31, v1
	s_delay_alu instid0(VALU_DEP_1) | instskip(SKIP_1) | instid1(VALU_DEP_1)
	v_lshlrev_b64 v[2:3], 3, v[1:2]
	s_waitcnt lgkmcnt(0)
	v_add_co_u32 v2, s0, s10, v2
	s_delay_alu instid0(VALU_DEP_1)
	v_add_co_ci_u32_e64 v3, s0, s11, v3, s0
	s_ashr_i32 s0, s3, 31
	global_load_b64 v[2:3], v[2:3], off
	s_waitcnt vmcnt(0)
	v_mul_lo_u32 v11, v3, s3
	v_mul_lo_u32 v12, v2, s0
	v_mad_u64_u32 v[3:4], null, v2, s3, 0
	s_delay_alu instid0(VALU_DEP_1) | instskip(SKIP_1) | instid1(VALU_DEP_2)
	v_add3_u32 v4, v4, v12, v11
	v_mov_b32_e32 v11, v7
	v_lshlrev_b64 v[2:3], 1, v[3:4]
	v_lshlrev_b32_e32 v4, 4, v7
	s_delay_alu instid0(VALU_DEP_1) | instskip(NEXT) | instid1(VALU_DEP_1)
	v_add_co_u32 v2, s0, v2, v4
	v_add_co_ci_u32_e64 v3, s0, 0, v3, s0
	v_add3_u32 v4, v10, v4, 0
	s_delay_alu instid0(VALU_DEP_3) | instskip(NEXT) | instid1(VALU_DEP_1)
	v_add_co_u32 v2, s0, s8, v2
	v_add_co_ci_u32_e64 v3, s0, s9, v3, s0
	s_mov_b32 s8, 0
	.p2align	6
.LBB132_6:                              ; =>This Inner Loop Header: Depth=1
	global_load_b128 v[12:15], v[2:3], off
	v_add_nc_u32_e32 v11, 32, v11
	v_add_co_u32 v2, s0, 0x200, v2
	s_delay_alu instid0(VALU_DEP_1) | instskip(NEXT) | instid1(VALU_DEP_3)
	v_add_co_ci_u32_e64 v3, s0, 0, v3, s0
	v_cmp_le_i32_e64 s1, s2, v11
	s_delay_alu instid0(VALU_DEP_1)
	s_or_b32 s8, s1, s8
	s_waitcnt vmcnt(0)
	ds_store_b128 v4, v[12:15]
	v_add_nc_u32_e32 v4, 0x200, v4
	s_and_not1_b32 exec_lo, exec_lo, s8
	s_cbranch_execnz .LBB132_6
.LBB132_7:
	s_or_b32 exec_lo, exec_lo, s20
	s_delay_alu instid0(SALU_CYCLE_1)
	s_and_b32 exec_lo, exec_lo, vcc_lo
	s_cbranch_execz .LBB132_20
; %bb.8:
	s_waitcnt lgkmcnt(0)
	s_clause 0x1
	global_load_b32 v3, v9, s[4:5]
	global_load_b32 v4, v9, s[6:7]
	v_mbcnt_lo_u32_b32 v11, -1, 0
	s_lshr_b32 s0, s3, 31
	s_add_i32 s1, s18, s17
	s_lshl_b32 s2, s14, 2
	s_add_i32 s0, s3, s0
	v_xor_b32_e32 v13, 16, v11
	s_add_i32 s1, s1, s16
	s_ashr_i32 s3, s0, 1
	s_and_b32 s4, s0, -2
	s_sub_i32 s0, s1, s2
	v_lshlrev_b32_e32 v2, 1, v7
	v_xor_b32_e32 v14, 8, v11
	v_mul_lo_u32 v1, s0, v1
	v_cmp_gt_i32_e64 s0, 32, v13
	v_add_nc_u32_e32 v12, s15, v8
	v_xor_b32_e32 v15, 4, v11
	v_add3_u32 v8, 0, v10, v2
	v_xor_b32_e32 v16, 2, v11
	v_cndmask_b32_e64 v10, v11, v13, s0
	v_cmp_gt_i32_e64 s0, 32, v14
	v_add3_u32 v9, v12, v9, 0
	v_xor_b32_e32 v17, 1, v11
	v_lshl_add_u32 v0, v1, 6, v0
	v_cmp_le_i32_e32 vcc_lo, s3, v7
	v_cndmask_b32_e64 v12, v11, v14, s0
	v_cmp_gt_i32_e64 s0, 32, v15
	v_add_nc_u32_e32 v7, s4, v8
	v_lshlrev_b32_e32 v10, 2, v10
	v_or_b32_e32 v0, v0, v2
	s_mov_b32 s2, 0
	v_cndmask_b32_e64 v13, v11, v15, s0
	v_cmp_gt_i32_e64 s0, 32, v16
	s_mov_b32 s3, 0
	s_delay_alu instid0(VALU_DEP_1) | instskip(SKIP_1) | instid1(VALU_DEP_1)
	v_cndmask_b32_e64 v14, v11, v16, s0
	v_cmp_gt_i32_e64 s0, 32, v17
	v_cndmask_b32_e64 v15, v11, v17, s0
	v_lshlrev_b32_e32 v11, 2, v12
	v_lshlrev_b32_e32 v12, 2, v13
	v_lshlrev_b32_e32 v13, 2, v14
	s_delay_alu instid0(VALU_DEP_4)
	v_lshlrev_b32_e32 v14, 2, v15
	s_waitcnt vmcnt(1)
	v_lshrrev_b32_e32 v15, 16, v3
	s_waitcnt vmcnt(0)
	v_lshrrev_b32_e32 v16, 16, v4
	s_branch .LBB132_10
.LBB132_9:                              ;   in Loop: Header=BB132_10 Depth=1
	s_or_b32 exec_lo, exec_lo, s1
	v_ashrrev_i32_e32 v1, 31, v0
	v_lshrrev_b32_e32 v17, 16, v17
	s_add_i32 s3, s3, 1
	v_add_nc_u32_e32 v9, 0x80, v9
	v_cmp_ge_i32_e64 s0, s3, v6
	v_lshlrev_b64 v[1:2], 1, v[0:1]
	v_and_or_b32 v17, 0xffff0000, v18, v17
	v_add_nc_u32_e32 v0, 64, v0
	s_delay_alu instid0(VALU_DEP_4) | instskip(NEXT) | instid1(VALU_DEP_3)
	s_or_b32 s2, s0, s2
	v_add_co_u32 v1, s1, s12, v1
	s_delay_alu instid0(VALU_DEP_1)
	v_add_co_ci_u32_e64 v2, s1, s13, v2, s1
	global_store_b32 v[1:2], v17, off
	s_and_not1_b32 exec_lo, exec_lo, s2
	s_cbranch_execz .LBB132_20
.LBB132_10:                             ; =>This Inner Loop Header: Depth=1
	ds_load_b32 v1, v9
	s_waitcnt lgkmcnt(0)
	v_lshlrev_b32_e32 v17, 16, v1
	v_and_b32_e32 v1, 0xffff0000, v1
	s_delay_alu instid0(VALU_DEP_2) | instskip(NEXT) | instid1(VALU_DEP_1)
	v_mul_f32_e32 v2, v17, v17
	v_fmac_f32_e32 v2, v1, v1
	ds_bpermute_b32 v18, v10, v2
	s_waitcnt lgkmcnt(0)
	v_add_f32_e32 v2, v2, v18
	ds_bpermute_b32 v18, v11, v2
	s_waitcnt lgkmcnt(0)
	v_add_f32_e32 v2, v2, v18
	;; [unrolled: 3-line block ×5, first 2 shown]
	s_delay_alu instid0(VALU_DEP_1) | instskip(NEXT) | instid1(VALU_DEP_1)
	v_fma_f32 v2, 0x3c800000, v2, s19
	v_mul_f32_e32 v18, 0x4b800000, v2
	v_cmp_gt_f32_e64 s0, 0x800000, v2
	s_delay_alu instid0(VALU_DEP_1) | instskip(NEXT) | instid1(VALU_DEP_1)
	v_cndmask_b32_e64 v2, v2, v18, s0
	v_rsq_f32_e32 v2, v2
	s_waitcnt_depctr 0xfff
	v_dual_mul_f32 v19, 0x45800000, v2 :: v_dual_add_nc_u32 v18, s3, v5
	s_delay_alu instid0(VALU_DEP_1) | instskip(NEXT) | instid1(VALU_DEP_2)
	v_cmp_gt_i32_e64 s1, s16, v18
	v_cndmask_b32_e64 v2, v2, v19, s0
	s_delay_alu instid0(VALU_DEP_2) | instskip(SKIP_1) | instid1(VALU_DEP_2)
	v_cndmask_b32_e64 v18, v16, v15, s1
	v_cndmask_b32_e64 v20, v4, v3, s1
	v_lshlrev_b32_e32 v18, 16, v18
	s_delay_alu instid0(VALU_DEP_1) | instskip(NEXT) | instid1(VALU_DEP_1)
	v_dual_mul_f32 v18, v2, v18 :: v_dual_lshlrev_b32 v19, 16, v20
	v_mul_f32_e32 v19, v2, v19
	s_delay_alu instid0(VALU_DEP_2) | instskip(NEXT) | instid1(VALU_DEP_2)
	v_mul_f32_e32 v2, v18, v1
	v_mul_f32_e32 v1, v19, v17
	s_and_saveexec_b32 s0, vcc_lo
	s_delay_alu instid0(SALU_CYCLE_1) | instskip(NEXT) | instid1(SALU_CYCLE_1)
	s_xor_b32 s0, exec_lo, s0
	s_and_not1_saveexec_b32 s0, s0
	s_cbranch_execz .LBB132_12
; %bb.11:                               ;   in Loop: Header=BB132_10 Depth=1
	ds_load_u16 v17, v7
	ds_load_u16 v18, v8
	s_waitcnt lgkmcnt(1)
	v_lshlrev_b32_e32 v19, 16, v17
	s_waitcnt lgkmcnt(0)
	s_delay_alu instid0(VALU_DEP_1) | instskip(NEXT) | instid1(VALU_DEP_1)
	v_dual_mul_f32 v20, v2, v19 :: v_dual_lshlrev_b32 v17, 16, v18
	v_mul_f32_e32 v18, v2, v17
	s_delay_alu instid0(VALU_DEP_2) | instskip(NEXT) | instid1(VALU_DEP_2)
	v_fma_f32 v17, v1, v17, -v20
	v_fmac_f32_e32 v18, v1, v19
	s_delay_alu instid0(VALU_DEP_1)
	v_dual_mov_b32 v1, v17 :: v_dual_mov_b32 v2, v18
.LBB132_12:                             ;   in Loop: Header=BB132_10 Depth=1
	s_or_b32 exec_lo, exec_lo, s0
	s_delay_alu instid0(VALU_DEP_1) | instskip(NEXT) | instid1(VALU_DEP_1)
	v_and_b32_e32 v17, 0x7f800000, v1
	v_cmp_ne_u32_e64 s0, 0x7f800000, v17
                                        ; implicit-def: $vgpr17
	s_delay_alu instid0(VALU_DEP_1) | instskip(NEXT) | instid1(SALU_CYCLE_1)
	s_and_saveexec_b32 s1, s0
	s_xor_b32 s0, exec_lo, s1
; %bb.13:                               ;   in Loop: Header=BB132_10 Depth=1
	v_bfe_u32 v17, v1, 16, 1
	s_delay_alu instid0(VALU_DEP_1)
	v_add3_u32 v17, v1, v17, 0x7fff
; %bb.14:                               ;   in Loop: Header=BB132_10 Depth=1
	s_and_not1_saveexec_b32 s1, s0
; %bb.15:                               ;   in Loop: Header=BB132_10 Depth=1
	v_and_b32_e32 v17, 0xffff, v1
	v_or_b32_e32 v18, 0x10000, v1
	s_delay_alu instid0(VALU_DEP_2) | instskip(NEXT) | instid1(VALU_DEP_1)
	v_cmp_eq_u32_e64 s0, 0, v17
	v_cndmask_b32_e64 v17, v18, v1, s0
; %bb.16:                               ;   in Loop: Header=BB132_10 Depth=1
	s_or_b32 exec_lo, exec_lo, s1
	v_and_b32_e32 v1, 0x7f800000, v2
                                        ; implicit-def: $vgpr18
	s_delay_alu instid0(VALU_DEP_1) | instskip(NEXT) | instid1(VALU_DEP_1)
	v_cmp_ne_u32_e64 s0, 0x7f800000, v1
	s_and_saveexec_b32 s1, s0
	s_delay_alu instid0(SALU_CYCLE_1)
	s_xor_b32 s0, exec_lo, s1
; %bb.17:                               ;   in Loop: Header=BB132_10 Depth=1
	v_bfe_u32 v1, v2, 16, 1
	s_delay_alu instid0(VALU_DEP_1)
	v_add3_u32 v18, v2, v1, 0x7fff
                                        ; implicit-def: $vgpr1_vgpr2
; %bb.18:                               ;   in Loop: Header=BB132_10 Depth=1
	s_and_not1_saveexec_b32 s1, s0
	s_cbranch_execz .LBB132_9
; %bb.19:                               ;   in Loop: Header=BB132_10 Depth=1
	v_and_b32_e32 v1, 0xffff, v2
	v_or_b32_e32 v18, 0x10000, v2
	s_delay_alu instid0(VALU_DEP_2) | instskip(NEXT) | instid1(VALU_DEP_1)
	v_cmp_eq_u32_e64 s0, 0, v1
	v_cndmask_b32_e64 v18, v18, v2, s0
	s_branch .LBB132_9
.LBB132_20:
	s_nop 0
	s_sendmsg sendmsg(MSG_DEALLOC_VGPRS)
	s_endpgm
	.section	.rodata,"a",@progbits
	.p2align	6, 0x0
	.amdhsa_kernel _ZN12tensorrt_llm7kernels32fusedQKNormRopeKernelNTokenHeadsIN3c108BFloat16ES3_Li64ELb1ELi4EEEvPviiifPKvS6_S6_PKlii
		.amdhsa_group_segment_fixed_size 0
		.amdhsa_private_segment_fixed_size 0
		.amdhsa_kernarg_size 320
		.amdhsa_user_sgpr_count 15
		.amdhsa_user_sgpr_dispatch_ptr 0
		.amdhsa_user_sgpr_queue_ptr 0
		.amdhsa_user_sgpr_kernarg_segment_ptr 1
		.amdhsa_user_sgpr_dispatch_id 0
		.amdhsa_user_sgpr_private_segment_size 0
		.amdhsa_wavefront_size32 1
		.amdhsa_uses_dynamic_stack 0
		.amdhsa_enable_private_segment 0
		.amdhsa_system_sgpr_workgroup_id_x 1
		.amdhsa_system_sgpr_workgroup_id_y 0
		.amdhsa_system_sgpr_workgroup_id_z 0
		.amdhsa_system_sgpr_workgroup_info 0
		.amdhsa_system_vgpr_workitem_id 0
		.amdhsa_next_free_vgpr 21
		.amdhsa_next_free_sgpr 21
		.amdhsa_reserve_vcc 1
		.amdhsa_float_round_mode_32 0
		.amdhsa_float_round_mode_16_64 0
		.amdhsa_float_denorm_mode_32 3
		.amdhsa_float_denorm_mode_16_64 3
		.amdhsa_dx10_clamp 1
		.amdhsa_ieee_mode 1
		.amdhsa_fp16_overflow 0
		.amdhsa_workgroup_processor_mode 1
		.amdhsa_memory_ordered 1
		.amdhsa_forward_progress 0
		.amdhsa_shared_vgpr_count 0
		.amdhsa_exception_fp_ieee_invalid_op 0
		.amdhsa_exception_fp_denorm_src 0
		.amdhsa_exception_fp_ieee_div_zero 0
		.amdhsa_exception_fp_ieee_overflow 0
		.amdhsa_exception_fp_ieee_underflow 0
		.amdhsa_exception_fp_ieee_inexact 0
		.amdhsa_exception_int_div_zero 0
	.end_amdhsa_kernel
	.section	.text._ZN12tensorrt_llm7kernels32fusedQKNormRopeKernelNTokenHeadsIN3c108BFloat16ES3_Li64ELb1ELi4EEEvPviiifPKvS6_S6_PKlii,"axG",@progbits,_ZN12tensorrt_llm7kernels32fusedQKNormRopeKernelNTokenHeadsIN3c108BFloat16ES3_Li64ELb1ELi4EEEvPviiifPKvS6_S6_PKlii,comdat
.Lfunc_end132:
	.size	_ZN12tensorrt_llm7kernels32fusedQKNormRopeKernelNTokenHeadsIN3c108BFloat16ES3_Li64ELb1ELi4EEEvPviiifPKvS6_S6_PKlii, .Lfunc_end132-_ZN12tensorrt_llm7kernels32fusedQKNormRopeKernelNTokenHeadsIN3c108BFloat16ES3_Li64ELb1ELi4EEEvPviiifPKvS6_S6_PKlii
                                        ; -- End function
	.section	.AMDGPU.csdata,"",@progbits
; Kernel info:
; codeLenInByte = 1796
; NumSgprs: 23
; NumVgprs: 21
; ScratchSize: 0
; MemoryBound: 0
; FloatMode: 240
; IeeeMode: 1
; LDSByteSize: 0 bytes/workgroup (compile time only)
; SGPRBlocks: 2
; VGPRBlocks: 2
; NumSGPRsForWavesPerEU: 23
; NumVGPRsForWavesPerEU: 21
; Occupancy: 16
; WaveLimiterHint : 0
; COMPUTE_PGM_RSRC2:SCRATCH_EN: 0
; COMPUTE_PGM_RSRC2:USER_SGPR: 15
; COMPUTE_PGM_RSRC2:TRAP_HANDLER: 0
; COMPUTE_PGM_RSRC2:TGID_X_EN: 1
; COMPUTE_PGM_RSRC2:TGID_Y_EN: 0
; COMPUTE_PGM_RSRC2:TGID_Z_EN: 0
; COMPUTE_PGM_RSRC2:TIDIG_COMP_CNT: 0
	.section	.text._ZN12tensorrt_llm7kernels32fusedQKNormRopeKernelNTokenHeadsIN3c108BFloat16ES3_Li64ELb0ELi4EEEvPviiifPKvS6_S6_PKlii,"axG",@progbits,_ZN12tensorrt_llm7kernels32fusedQKNormRopeKernelNTokenHeadsIN3c108BFloat16ES3_Li64ELb0ELi4EEEvPviiifPKvS6_S6_PKlii,comdat
	.protected	_ZN12tensorrt_llm7kernels32fusedQKNormRopeKernelNTokenHeadsIN3c108BFloat16ES3_Li64ELb0ELi4EEEvPviiifPKvS6_S6_PKlii ; -- Begin function _ZN12tensorrt_llm7kernels32fusedQKNormRopeKernelNTokenHeadsIN3c108BFloat16ES3_Li64ELb0ELi4EEEvPviiifPKvS6_S6_PKlii
	.globl	_ZN12tensorrt_llm7kernels32fusedQKNormRopeKernelNTokenHeadsIN3c108BFloat16ES3_Li64ELb0ELi4EEEvPviiifPKvS6_S6_PKlii
	.p2align	8
	.type	_ZN12tensorrt_llm7kernels32fusedQKNormRopeKernelNTokenHeadsIN3c108BFloat16ES3_Li64ELb0ELi4EEEvPviiifPKvS6_S6_PKlii,@function
_ZN12tensorrt_llm7kernels32fusedQKNormRopeKernelNTokenHeadsIN3c108BFloat16ES3_Li64ELb0ELi4EEEvPviiifPKvS6_S6_PKlii: ; @_ZN12tensorrt_llm7kernels32fusedQKNormRopeKernelNTokenHeadsIN3c108BFloat16ES3_Li64ELb0ELi4EEEvPviiifPKvS6_S6_PKlii
; %bb.0:
	s_clause 0x1
	s_load_b128 s[16:19], s[0:1], 0x8
	s_load_b64 s[2:3], s[0:1], 0x38
	v_lshrrev_b32_e32 v2, 5, v0
	s_waitcnt lgkmcnt(0)
	s_add_i32 s4, s17, s16
	s_delay_alu instid0(SALU_CYCLE_1) | instskip(NEXT) | instid1(SALU_CYCLE_1)
	s_add_i32 s5, s4, 3
	s_ashr_i32 s6, s5, 31
	s_delay_alu instid0(SALU_CYCLE_1) | instskip(NEXT) | instid1(SALU_CYCLE_1)
	s_lshr_b32 s6, s6, 30
	s_add_i32 s5, s5, s6
	s_delay_alu instid0(SALU_CYCLE_1) | instskip(SKIP_2) | instid1(SALU_CYCLE_1)
	s_ashr_i32 s14, s5, 2
	s_load_b32 s5, s[0:1], 0x4c
	s_abs_i32 s6, s14
	v_cvt_f32_u32_e32 v1, s6
	s_sub_i32 s7, 0, s6
	s_delay_alu instid0(VALU_DEP_1) | instskip(SKIP_4) | instid1(SALU_CYCLE_1)
	v_rcp_iflag_f32_e32 v1, v1
	s_waitcnt_depctr 0xfff
	v_mul_f32_e32 v1, 0x4f7ffffe, v1
	s_waitcnt lgkmcnt(0)
	s_bfe_u32 s5, s5, 0xb0005
	v_mad_u64_u32 v[3:4], null, s15, s5, v[2:3]
	s_delay_alu instid0(VALU_DEP_2) | instskip(NEXT) | instid1(VALU_DEP_1)
	v_cvt_u32_f32_e32 v1, v1
	v_mul_lo_u32 v5, s7, v1
	s_delay_alu instid0(VALU_DEP_1) | instskip(NEXT) | instid1(VALU_DEP_4)
	v_mul_hi_u32 v4, v1, v5
	v_sub_nc_u32_e32 v5, 0, v3
	s_delay_alu instid0(VALU_DEP_1) | instskip(NEXT) | instid1(VALU_DEP_3)
	v_max_i32_e32 v5, v3, v5
	v_add_nc_u32_e32 v1, v1, v4
	s_delay_alu instid0(VALU_DEP_1) | instskip(NEXT) | instid1(VALU_DEP_1)
	v_mul_hi_u32 v1, v5, v1
	v_mul_lo_u32 v4, v1, s6
	s_delay_alu instid0(VALU_DEP_1) | instskip(SKIP_1) | instid1(VALU_DEP_2)
	v_sub_nc_u32_e32 v4, v5, v4
	v_add_nc_u32_e32 v5, 1, v1
	v_subrev_nc_u32_e32 v6, s6, v4
	v_cmp_le_u32_e32 vcc_lo, s6, v4
	s_delay_alu instid0(VALU_DEP_2) | instskip(SKIP_1) | instid1(VALU_DEP_2)
	v_dual_cndmask_b32 v4, v4, v6 :: v_dual_cndmask_b32 v1, v1, v5
	v_xor_b32_e32 v5, s14, v3
	v_cmp_le_u32_e32 vcc_lo, s6, v4
	s_delay_alu instid0(VALU_DEP_3) | instskip(NEXT) | instid1(VALU_DEP_3)
	v_add_nc_u32_e32 v6, 1, v1
	v_ashrrev_i32_e32 v5, 31, v5
	s_delay_alu instid0(VALU_DEP_2) | instskip(NEXT) | instid1(VALU_DEP_1)
	v_cndmask_b32_e32 v1, v1, v6, vcc_lo
	v_xor_b32_e32 v1, v1, v5
	s_delay_alu instid0(VALU_DEP_1) | instskip(NEXT) | instid1(VALU_DEP_1)
	v_sub_nc_u32_e32 v1, v1, v5
	v_cmp_gt_i32_e32 vcc_lo, s2, v1
	s_and_saveexec_b32 s2, vcc_lo
	s_cbranch_execz .LBB133_20
; %bb.1:
	v_mul_lo_u32 v4, v1, s14
	s_load_b64 s[12:13], s[0:1], 0x0
	v_and_b32_e32 v0, 31, v0
	v_lshlrev_b32_e32 v9, 9, v2
	v_lshlrev_b32_e32 v8, 8, v3
	s_lshl_b32 s20, s3, 1
	s_delay_alu instid0(VALU_DEP_3) | instskip(SKIP_2) | instid1(VALU_DEP_1)
	v_lshlrev_b32_e32 v7, 2, v0
	v_sub_nc_u32_e32 v4, v3, v4
	s_mul_i32 s15, s20, s5
	v_lshlrev_b32_e32 v5, 2, v4
	s_delay_alu instid0(VALU_DEP_1) | instskip(SKIP_1) | instid1(VALU_DEP_2)
	v_add_nc_u32_e32 v4, 4, v5
	v_sub_nc_u32_e32 v6, s4, v5
	v_cmp_lt_i32_e32 vcc_lo, s4, v4
	s_delay_alu instid0(VALU_DEP_2) | instskip(NEXT) | instid1(VALU_DEP_1)
	v_cndmask_b32_e32 v6, 4, v6, vcc_lo
	v_cmp_lt_i32_e32 vcc_lo, 0, v6
	s_and_saveexec_b32 s4, vcc_lo
	s_cbranch_execz .LBB133_4
; %bb.2:
	s_add_i32 s2, s18, s17
	s_lshl_b32 s5, s14, 2
	s_add_i32 s2, s2, s16
	s_mov_b32 s6, 0
	s_sub_i32 s2, s2, s5
	s_mov_b32 s5, 0
	v_mul_lo_u32 v3, s2, v1
	s_add_i32 s2, s15, 0
	s_delay_alu instid0(SALU_CYCLE_1) | instskip(NEXT) | instid1(VALU_DEP_2)
	v_add3_u32 v10, s2, v9, v7
	v_lshl_add_u32 v3, v3, 6, v8
	s_delay_alu instid0(VALU_DEP_1)
	v_lshl_or_b32 v3, v0, 1, v3
	.p2align	6
.LBB133_3:                              ; =>This Inner Loop Header: Depth=1
	s_delay_alu instid0(VALU_DEP_1) | instskip(SKIP_1) | instid1(VALU_DEP_1)
	v_ashrrev_i32_e32 v4, 31, v3
	s_add_i32 s6, s6, 1
	v_lshlrev_b64 v[11:12], 1, v[3:4]
	v_add_nc_u32_e32 v3, 64, v3
	s_waitcnt lgkmcnt(0)
	s_delay_alu instid0(VALU_DEP_2) | instskip(NEXT) | instid1(VALU_DEP_1)
	v_add_co_u32 v11, s2, s12, v11
	v_add_co_ci_u32_e64 v12, s2, s13, v12, s2
	v_cmp_ge_i32_e64 s2, s6, v6
	global_load_b32 v4, v[11:12], off
	s_or_b32 s5, s2, s5
	s_waitcnt vmcnt(0)
	ds_store_b32 v10, v4
	v_add_nc_u32_e32 v10, 0x80, v10
	s_and_not1_b32 exec_lo, exec_lo, s5
	s_cbranch_execnz .LBB133_3
.LBB133_4:
	s_or_b32 exec_lo, exec_lo, s4
	s_load_b256 s[4:11], s[0:1], 0x18
	s_add_i32 s0, s20, 15
	v_mul_lo_u32 v10, v2, s3
	s_ashr_i32 s1, s0, 31
	s_mov_b32 s20, exec_lo
	s_lshr_b32 s1, s1, 28
	s_delay_alu instid0(SALU_CYCLE_1) | instskip(NEXT) | instid1(SALU_CYCLE_1)
	s_add_i32 s0, s0, s1
	s_ashr_i32 s2, s0, 4
	s_delay_alu instid0(SALU_CYCLE_1)
	v_cmpx_gt_i32_e64 s2, v0
	s_cbranch_execz .LBB133_7
; %bb.5:
	v_ashrrev_i32_e32 v2, 31, v1
	s_delay_alu instid0(VALU_DEP_1) | instskip(SKIP_1) | instid1(VALU_DEP_1)
	v_lshlrev_b64 v[2:3], 3, v[1:2]
	s_waitcnt lgkmcnt(0)
	v_add_co_u32 v2, s0, s10, v2
	s_delay_alu instid0(VALU_DEP_1)
	v_add_co_ci_u32_e64 v3, s0, s11, v3, s0
	s_ashr_i32 s0, s3, 31
	global_load_b64 v[2:3], v[2:3], off
	s_waitcnt vmcnt(0)
	v_mul_lo_u32 v11, v3, s3
	v_mul_lo_u32 v12, v2, s0
	v_mad_u64_u32 v[3:4], null, v2, s3, 0
	s_delay_alu instid0(VALU_DEP_1) | instskip(SKIP_1) | instid1(VALU_DEP_2)
	v_add3_u32 v4, v4, v12, v11
	v_lshlrev_b32_e32 v11, 1, v10
	v_lshlrev_b64 v[2:3], 1, v[3:4]
	v_lshlrev_b32_e32 v4, 4, v0
	s_delay_alu instid0(VALU_DEP_1) | instskip(NEXT) | instid1(VALU_DEP_1)
	v_add_co_u32 v2, s0, v2, v4
	v_add_co_ci_u32_e64 v3, s0, 0, v3, s0
	v_add3_u32 v4, v11, v4, 0
	v_mov_b32_e32 v11, v0
	s_delay_alu instid0(VALU_DEP_4) | instskip(NEXT) | instid1(VALU_DEP_1)
	v_add_co_u32 v2, s0, s8, v2
	v_add_co_ci_u32_e64 v3, s0, s9, v3, s0
	s_mov_b32 s8, 0
	.p2align	6
.LBB133_6:                              ; =>This Inner Loop Header: Depth=1
	global_load_b128 v[12:15], v[2:3], off
	v_add_nc_u32_e32 v11, 32, v11
	v_add_co_u32 v2, s0, 0x200, v2
	s_delay_alu instid0(VALU_DEP_1) | instskip(NEXT) | instid1(VALU_DEP_3)
	v_add_co_ci_u32_e64 v3, s0, 0, v3, s0
	v_cmp_le_i32_e64 s1, s2, v11
	s_delay_alu instid0(VALU_DEP_1)
	s_or_b32 s8, s1, s8
	s_waitcnt vmcnt(0)
	ds_store_b128 v4, v[12:15]
	v_add_nc_u32_e32 v4, 0x200, v4
	s_and_not1_b32 exec_lo, exec_lo, s8
	s_cbranch_execnz .LBB133_6
.LBB133_7:
	s_or_b32 exec_lo, exec_lo, s20
	s_delay_alu instid0(SALU_CYCLE_1)
	s_and_b32 exec_lo, exec_lo, vcc_lo
	s_cbranch_execz .LBB133_20
; %bb.8:
	s_waitcnt lgkmcnt(0)
	s_clause 0x1
	global_load_b32 v3, v7, s[4:5]
	global_load_b32 v4, v7, s[6:7]
	s_abs_i32 s2, s3
	v_lshl_add_u32 v16, v10, 1, 0
	v_cvt_f32_u32_e32 v2, s2
	s_sub_i32 s0, 0, s2
	v_mbcnt_lo_u32_b32 v10, -1, 0
	v_or_b32_e32 v12, 2, v7
	s_add_i32 s1, s18, s17
	v_rcp_iflag_f32_e32 v2, v2
	v_add_nc_u32_e32 v20, s15, v9
	v_xor_b32_e32 v9, 16, v10
	s_lshl_b32 s4, s14, 2
	s_add_i32 s1, s1, s16
	v_xor_b32_e32 v13, 4, v10
	s_sub_i32 s1, s1, s4
	v_xor_b32_e32 v15, 2, v10
	v_mul_lo_u32 v1, s1, v1
	v_cmp_gt_i32_e64 s1, 32, v9
	v_mul_f32_e32 v2, 0x4f7ffffe, v2
	v_xor_b32_e32 v17, 1, v10
	s_mov_b32 s4, 0
	s_delay_alu instid0(VALU_DEP_3) | instskip(NEXT) | instid1(VALU_DEP_3)
	v_cndmask_b32_e64 v9, v10, v9, s1
	v_cvt_u32_f32_e32 v2, v2
	v_lshl_add_u32 v1, v1, 6, v8
	s_delay_alu instid0(VALU_DEP_3) | instskip(NEXT) | instid1(VALU_DEP_3)
	v_lshlrev_b32_e32 v8, 2, v9
	v_mul_lo_u32 v11, s0, v2
	s_lshr_b32 s0, s3, 31
	s_delay_alu instid0(SALU_CYCLE_1) | instskip(NEXT) | instid1(SALU_CYCLE_1)
	s_add_i32 s0, s3, s0
	s_ashr_i32 s3, s0, 1
	s_and_b32 s0, s0, -2
	v_cmp_gt_i32_e32 vcc_lo, s3, v0
	s_delay_alu instid0(VALU_DEP_2)
	v_mul_hi_u32 v11, v2, v11
	v_add_nc_u32_e32 v18, s0, v16
	s_lshr_b32 s0, s3, 1
	s_mov_b32 s3, 0
	v_xor_b32_e32 v19, s0, v10
	v_cmp_gt_u32_e64 s0, s0, v0
	v_lshl_or_b32 v0, v0, 1, v1
	v_add_nc_u32_e32 v2, v2, v11
	v_xor_b32_e32 v11, 8, v10
	s_delay_alu instid0(VALU_DEP_2) | instskip(SKIP_1) | instid1(VALU_DEP_3)
	v_mul_hi_u32 v14, v7, v2
	v_mul_hi_u32 v2, v12, v2
	v_cmp_gt_i32_e64 s1, 32, v11
	s_delay_alu instid0(VALU_DEP_1) | instskip(SKIP_1) | instid1(VALU_DEP_4)
	v_cndmask_b32_e64 v11, v10, v11, s1
	v_cmp_gt_i32_e64 s1, 32, v13
	v_mul_lo_u32 v2, v2, s2
	v_mul_lo_u32 v14, v14, s2
	s_delay_alu instid0(VALU_DEP_4) | instskip(NEXT) | instid1(VALU_DEP_3)
	v_lshlrev_b32_e32 v9, 2, v11
	v_sub_nc_u32_e32 v2, v12, v2
	v_cndmask_b32_e64 v12, v10, v13, s1
	v_cmp_gt_i32_e64 s1, 32, v15
	v_sub_nc_u32_e32 v14, v7, v14
	v_add3_u32 v7, v20, v7, 0
	v_subrev_nc_u32_e32 v21, s2, v2
	s_delay_alu instid0(VALU_DEP_4) | instskip(SKIP_2) | instid1(VALU_DEP_3)
	v_cndmask_b32_e64 v13, v10, v15, s1
	v_cmp_gt_i32_e64 s1, 32, v17
	v_subrev_nc_u32_e32 v15, s2, v14
	v_lshlrev_b32_e32 v11, 2, v13
	s_delay_alu instid0(VALU_DEP_3) | instskip(SKIP_1) | instid1(VALU_DEP_1)
	v_cndmask_b32_e64 v17, v10, v17, s1
	v_cmp_le_u32_e64 s1, s2, v14
	v_cndmask_b32_e64 v14, v14, v15, s1
	v_cmp_le_u32_e64 s1, s2, v2
	s_delay_alu instid0(VALU_DEP_1) | instskip(SKIP_1) | instid1(VALU_DEP_1)
	v_cndmask_b32_e64 v2, v2, v21, s1
	v_cmp_gt_i32_e64 s1, 32, v19
	v_cndmask_b32_e64 v15, v10, v19, s1
	v_subrev_nc_u32_e32 v10, s2, v14
	v_cmp_le_u32_e64 s1, s2, v14
	v_subrev_nc_u32_e32 v19, s2, v2
	s_delay_alu instid0(VALU_DEP_4) | instskip(NEXT) | instid1(VALU_DEP_3)
	v_lshlrev_b32_e32 v13, 2, v15
	v_cndmask_b32_e64 v14, v14, v10, s1
	v_cmp_le_u32_e64 s1, s2, v2
	v_lshlrev_b32_e32 v10, 2, v12
	v_lshlrev_b32_e32 v12, 2, v17
	s_delay_alu instid0(VALU_DEP_3) | instskip(SKIP_1) | instid1(VALU_DEP_2)
	v_cndmask_b32_e64 v2, v2, v19, s1
	v_and_b32_e32 v19, -2, v14
	v_and_b32_e32 v2, -2, v2
	s_delay_alu instid0(VALU_DEP_2) | instskip(SKIP_1) | instid1(VALU_DEP_3)
	v_add_nc_u32_e32 v14, v16, v19
	v_add_nc_u32_e32 v15, v18, v19
	;; [unrolled: 1-line block ×4, first 2 shown]
	s_waitcnt vmcnt(1)
	v_lshrrev_b32_e32 v18, 16, v3
	s_waitcnt vmcnt(0)
	v_lshrrev_b32_e32 v19, 16, v4
	s_branch .LBB133_10
.LBB133_9:                              ;   in Loop: Header=BB133_10 Depth=1
	s_or_b32 exec_lo, exec_lo, s2
	v_ashrrev_i32_e32 v1, 31, v0
	v_lshrrev_b32_e32 v20, 16, v20
	s_add_i32 s4, s4, 1
	v_add_nc_u32_e32 v7, 0x80, v7
	v_cmp_ge_i32_e64 s1, s4, v6
	v_lshlrev_b64 v[1:2], 1, v[0:1]
	v_and_or_b32 v20, 0xffff0000, v21, v20
	v_add_nc_u32_e32 v0, 64, v0
	s_delay_alu instid0(VALU_DEP_4) | instskip(NEXT) | instid1(VALU_DEP_3)
	s_or_b32 s3, s1, s3
	v_add_co_u32 v1, s2, s12, v1
	s_delay_alu instid0(VALU_DEP_1)
	v_add_co_ci_u32_e64 v2, s2, s13, v2, s2
	global_store_b32 v[1:2], v20, off
	s_and_not1_b32 exec_lo, exec_lo, s3
	s_cbranch_execz .LBB133_20
.LBB133_10:                             ; =>This Inner Loop Header: Depth=1
	ds_load_b32 v1, v7
	s_waitcnt lgkmcnt(0)
	v_and_b32_e32 v20, 0xffff0000, v1
	v_lshlrev_b32_e32 v2, 16, v1
	s_delay_alu instid0(VALU_DEP_1) | instskip(NEXT) | instid1(VALU_DEP_1)
	v_mul_f32_e32 v1, v2, v2
	v_fmac_f32_e32 v1, v20, v20
	ds_bpermute_b32 v21, v8, v1
	s_waitcnt lgkmcnt(0)
	v_add_f32_e32 v1, v1, v21
	ds_bpermute_b32 v21, v9, v1
	s_waitcnt lgkmcnt(0)
	v_add_f32_e32 v1, v1, v21
	;; [unrolled: 3-line block ×5, first 2 shown]
	s_delay_alu instid0(VALU_DEP_1) | instskip(NEXT) | instid1(VALU_DEP_1)
	v_fma_f32 v1, 0x3c800000, v1, s19
	v_mul_f32_e32 v21, 0x4b800000, v1
	v_cmp_gt_f32_e64 s1, 0x800000, v1
	s_delay_alu instid0(VALU_DEP_1) | instskip(SKIP_1) | instid1(VALU_DEP_2)
	v_cndmask_b32_e64 v1, v1, v21, s1
	v_add_nc_u32_e32 v21, s4, v5
	v_rsq_f32_e32 v1, v1
	s_delay_alu instid0(VALU_DEP_1) | instskip(NEXT) | instid1(VALU_DEP_1)
	v_cmp_gt_i32_e64 s2, s16, v21
	v_cndmask_b32_e64 v21, v4, v3, s2
	v_cndmask_b32_e64 v23, v19, v18, s2
	s_waitcnt_depctr 0xfff
	v_mul_f32_e32 v22, 0x45800000, v1
	v_lshlrev_b32_e32 v21, 16, v21
	s_delay_alu instid0(VALU_DEP_2) | instskip(NEXT) | instid1(VALU_DEP_1)
	v_cndmask_b32_e64 v1, v1, v22, s1
	v_dual_mul_f32 v21, v1, v21 :: v_dual_lshlrev_b32 v22, 16, v23
	s_delay_alu instid0(VALU_DEP_1) | instskip(NEXT) | instid1(VALU_DEP_1)
	v_mul_f32_e32 v22, v1, v22
	v_dual_mul_f32 v1, v21, v2 :: v_dual_mul_f32 v2, v22, v20
	s_and_saveexec_b32 s1, vcc_lo
	s_cbranch_execz .LBB133_12
; %bb.11:                               ;   in Loop: Header=BB133_10 Depth=1
	; wave barrier
	ds_bpermute_b32 v20, v13, v1
	ds_load_u16 v21, v15
	ds_bpermute_b32 v22, v13, v2
	ds_load_u16 v23, v17
	ds_load_u16 v24, v14
	;; [unrolled: 1-line block ×3, first 2 shown]
	; wave barrier
	s_waitcnt lgkmcnt(5)
	v_cndmask_b32_e64 v20, v20, -v20, s0
	s_waitcnt lgkmcnt(3)
	v_cndmask_b32_e64 v22, v22, -v22, s0
	s_waitcnt lgkmcnt(1)
	v_lshlrev_b32_e32 v24, 16, v24
	v_lshlrev_b32_e32 v21, 16, v21
	s_delay_alu instid0(VALU_DEP_1) | instskip(NEXT) | instid1(VALU_DEP_1)
	v_dual_mul_f32 v20, v20, v21 :: v_dual_lshlrev_b32 v23, 16, v23
	v_dual_mul_f32 v21, v22, v23 :: v_dual_fmac_f32 v20, v1, v24
	s_waitcnt lgkmcnt(0)
	v_lshlrev_b32_e32 v25, 16, v25
	s_delay_alu instid0(VALU_DEP_1) | instskip(NEXT) | instid1(VALU_DEP_1)
	v_fmac_f32_e32 v21, v2, v25
	v_dual_mov_b32 v1, v20 :: v_dual_mov_b32 v2, v21
.LBB133_12:                             ;   in Loop: Header=BB133_10 Depth=1
	s_or_b32 exec_lo, exec_lo, s1
	s_delay_alu instid0(VALU_DEP_1) | instskip(NEXT) | instid1(VALU_DEP_1)
	v_and_b32_e32 v20, 0x7f800000, v1
	v_cmp_ne_u32_e64 s1, 0x7f800000, v20
                                        ; implicit-def: $vgpr20
	s_delay_alu instid0(VALU_DEP_1) | instskip(NEXT) | instid1(SALU_CYCLE_1)
	s_and_saveexec_b32 s2, s1
	s_xor_b32 s1, exec_lo, s2
; %bb.13:                               ;   in Loop: Header=BB133_10 Depth=1
	v_bfe_u32 v20, v1, 16, 1
	s_delay_alu instid0(VALU_DEP_1)
	v_add3_u32 v20, v1, v20, 0x7fff
; %bb.14:                               ;   in Loop: Header=BB133_10 Depth=1
	s_and_not1_saveexec_b32 s2, s1
; %bb.15:                               ;   in Loop: Header=BB133_10 Depth=1
	v_and_b32_e32 v20, 0xffff, v1
	v_or_b32_e32 v21, 0x10000, v1
	s_delay_alu instid0(VALU_DEP_2) | instskip(NEXT) | instid1(VALU_DEP_1)
	v_cmp_eq_u32_e64 s1, 0, v20
	v_cndmask_b32_e64 v20, v21, v1, s1
; %bb.16:                               ;   in Loop: Header=BB133_10 Depth=1
	s_or_b32 exec_lo, exec_lo, s2
	v_and_b32_e32 v1, 0x7f800000, v2
                                        ; implicit-def: $vgpr21
	s_delay_alu instid0(VALU_DEP_1) | instskip(NEXT) | instid1(VALU_DEP_1)
	v_cmp_ne_u32_e64 s1, 0x7f800000, v1
	s_and_saveexec_b32 s2, s1
	s_delay_alu instid0(SALU_CYCLE_1)
	s_xor_b32 s1, exec_lo, s2
; %bb.17:                               ;   in Loop: Header=BB133_10 Depth=1
	v_bfe_u32 v1, v2, 16, 1
	s_delay_alu instid0(VALU_DEP_1)
	v_add3_u32 v21, v2, v1, 0x7fff
                                        ; implicit-def: $vgpr1_vgpr2
; %bb.18:                               ;   in Loop: Header=BB133_10 Depth=1
	s_and_not1_saveexec_b32 s2, s1
	s_cbranch_execz .LBB133_9
; %bb.19:                               ;   in Loop: Header=BB133_10 Depth=1
	v_and_b32_e32 v1, 0xffff, v2
	v_or_b32_e32 v21, 0x10000, v2
	s_delay_alu instid0(VALU_DEP_2) | instskip(NEXT) | instid1(VALU_DEP_1)
	v_cmp_eq_u32_e64 s1, 0, v1
	v_cndmask_b32_e64 v21, v21, v2, s1
	s_branch .LBB133_9
.LBB133_20:
	s_nop 0
	s_sendmsg sendmsg(MSG_DEALLOC_VGPRS)
	s_endpgm
	.section	.rodata,"a",@progbits
	.p2align	6, 0x0
	.amdhsa_kernel _ZN12tensorrt_llm7kernels32fusedQKNormRopeKernelNTokenHeadsIN3c108BFloat16ES3_Li64ELb0ELi4EEEvPviiifPKvS6_S6_PKlii
		.amdhsa_group_segment_fixed_size 0
		.amdhsa_private_segment_fixed_size 0
		.amdhsa_kernarg_size 320
		.amdhsa_user_sgpr_count 15
		.amdhsa_user_sgpr_dispatch_ptr 0
		.amdhsa_user_sgpr_queue_ptr 0
		.amdhsa_user_sgpr_kernarg_segment_ptr 1
		.amdhsa_user_sgpr_dispatch_id 0
		.amdhsa_user_sgpr_private_segment_size 0
		.amdhsa_wavefront_size32 1
		.amdhsa_uses_dynamic_stack 0
		.amdhsa_enable_private_segment 0
		.amdhsa_system_sgpr_workgroup_id_x 1
		.amdhsa_system_sgpr_workgroup_id_y 0
		.amdhsa_system_sgpr_workgroup_id_z 0
		.amdhsa_system_sgpr_workgroup_info 0
		.amdhsa_system_vgpr_workitem_id 0
		.amdhsa_next_free_vgpr 26
		.amdhsa_next_free_sgpr 21
		.amdhsa_reserve_vcc 1
		.amdhsa_float_round_mode_32 0
		.amdhsa_float_round_mode_16_64 0
		.amdhsa_float_denorm_mode_32 3
		.amdhsa_float_denorm_mode_16_64 3
		.amdhsa_dx10_clamp 1
		.amdhsa_ieee_mode 1
		.amdhsa_fp16_overflow 0
		.amdhsa_workgroup_processor_mode 1
		.amdhsa_memory_ordered 1
		.amdhsa_forward_progress 0
		.amdhsa_shared_vgpr_count 0
		.amdhsa_exception_fp_ieee_invalid_op 0
		.amdhsa_exception_fp_denorm_src 0
		.amdhsa_exception_fp_ieee_div_zero 0
		.amdhsa_exception_fp_ieee_overflow 0
		.amdhsa_exception_fp_ieee_underflow 0
		.amdhsa_exception_fp_ieee_inexact 0
		.amdhsa_exception_int_div_zero 0
	.end_amdhsa_kernel
	.section	.text._ZN12tensorrt_llm7kernels32fusedQKNormRopeKernelNTokenHeadsIN3c108BFloat16ES3_Li64ELb0ELi4EEEvPviiifPKvS6_S6_PKlii,"axG",@progbits,_ZN12tensorrt_llm7kernels32fusedQKNormRopeKernelNTokenHeadsIN3c108BFloat16ES3_Li64ELb0ELi4EEEvPviiifPKvS6_S6_PKlii,comdat
.Lfunc_end133:
	.size	_ZN12tensorrt_llm7kernels32fusedQKNormRopeKernelNTokenHeadsIN3c108BFloat16ES3_Li64ELb0ELi4EEEvPviiifPKvS6_S6_PKlii, .Lfunc_end133-_ZN12tensorrt_llm7kernels32fusedQKNormRopeKernelNTokenHeadsIN3c108BFloat16ES3_Li64ELb0ELi4EEEvPviiifPKvS6_S6_PKlii
                                        ; -- End function
	.section	.AMDGPU.csdata,"",@progbits
; Kernel info:
; codeLenInByte = 2112
; NumSgprs: 23
; NumVgprs: 26
; ScratchSize: 0
; MemoryBound: 0
; FloatMode: 240
; IeeeMode: 1
; LDSByteSize: 0 bytes/workgroup (compile time only)
; SGPRBlocks: 2
; VGPRBlocks: 3
; NumSGPRsForWavesPerEU: 23
; NumVGPRsForWavesPerEU: 26
; Occupancy: 16
; WaveLimiterHint : 0
; COMPUTE_PGM_RSRC2:SCRATCH_EN: 0
; COMPUTE_PGM_RSRC2:USER_SGPR: 15
; COMPUTE_PGM_RSRC2:TRAP_HANDLER: 0
; COMPUTE_PGM_RSRC2:TGID_X_EN: 1
; COMPUTE_PGM_RSRC2:TGID_Y_EN: 0
; COMPUTE_PGM_RSRC2:TGID_Z_EN: 0
; COMPUTE_PGM_RSRC2:TIDIG_COMP_CNT: 0
	.section	.text._ZN12tensorrt_llm7kernels32fusedQKNormRopeKernelNTokenHeadsIN3c108BFloat16ES3_Li128ELb1ELi4EEEvPviiifPKvS6_S6_PKlii,"axG",@progbits,_ZN12tensorrt_llm7kernels32fusedQKNormRopeKernelNTokenHeadsIN3c108BFloat16ES3_Li128ELb1ELi4EEEvPviiifPKvS6_S6_PKlii,comdat
	.protected	_ZN12tensorrt_llm7kernels32fusedQKNormRopeKernelNTokenHeadsIN3c108BFloat16ES3_Li128ELb1ELi4EEEvPviiifPKvS6_S6_PKlii ; -- Begin function _ZN12tensorrt_llm7kernels32fusedQKNormRopeKernelNTokenHeadsIN3c108BFloat16ES3_Li128ELb1ELi4EEEvPviiifPKvS6_S6_PKlii
	.globl	_ZN12tensorrt_llm7kernels32fusedQKNormRopeKernelNTokenHeadsIN3c108BFloat16ES3_Li128ELb1ELi4EEEvPviiifPKvS6_S6_PKlii
	.p2align	8
	.type	_ZN12tensorrt_llm7kernels32fusedQKNormRopeKernelNTokenHeadsIN3c108BFloat16ES3_Li128ELb1ELi4EEEvPviiifPKvS6_S6_PKlii,@function
_ZN12tensorrt_llm7kernels32fusedQKNormRopeKernelNTokenHeadsIN3c108BFloat16ES3_Li128ELb1ELi4EEEvPviiifPKvS6_S6_PKlii: ; @_ZN12tensorrt_llm7kernels32fusedQKNormRopeKernelNTokenHeadsIN3c108BFloat16ES3_Li128ELb1ELi4EEEvPviiifPKvS6_S6_PKlii
; %bb.0:
	s_clause 0x1
	s_load_b128 s[16:19], s[0:1], 0x8
	s_load_b64 s[2:3], s[0:1], 0x38
	v_lshrrev_b32_e32 v2, 5, v0
	s_waitcnt lgkmcnt(0)
	s_add_i32 s4, s17, s16
	s_delay_alu instid0(SALU_CYCLE_1) | instskip(NEXT) | instid1(SALU_CYCLE_1)
	s_add_i32 s5, s4, 3
	s_ashr_i32 s6, s5, 31
	s_delay_alu instid0(SALU_CYCLE_1) | instskip(NEXT) | instid1(SALU_CYCLE_1)
	s_lshr_b32 s6, s6, 30
	s_add_i32 s5, s5, s6
	s_delay_alu instid0(SALU_CYCLE_1) | instskip(SKIP_2) | instid1(SALU_CYCLE_1)
	s_ashr_i32 s14, s5, 2
	s_load_b32 s5, s[0:1], 0x4c
	s_abs_i32 s6, s14
	v_cvt_f32_u32_e32 v1, s6
	s_sub_i32 s7, 0, s6
	s_delay_alu instid0(VALU_DEP_1) | instskip(SKIP_4) | instid1(SALU_CYCLE_1)
	v_rcp_iflag_f32_e32 v1, v1
	s_waitcnt_depctr 0xfff
	v_mul_f32_e32 v1, 0x4f7ffffe, v1
	s_waitcnt lgkmcnt(0)
	s_bfe_u32 s5, s5, 0xb0005
	v_mad_u64_u32 v[3:4], null, s15, s5, v[2:3]
	s_delay_alu instid0(VALU_DEP_2) | instskip(NEXT) | instid1(VALU_DEP_1)
	v_cvt_u32_f32_e32 v1, v1
	v_mul_lo_u32 v5, s7, v1
	s_delay_alu instid0(VALU_DEP_1) | instskip(NEXT) | instid1(VALU_DEP_4)
	v_mul_hi_u32 v4, v1, v5
	v_sub_nc_u32_e32 v5, 0, v3
	s_delay_alu instid0(VALU_DEP_1) | instskip(NEXT) | instid1(VALU_DEP_3)
	v_max_i32_e32 v5, v3, v5
	v_add_nc_u32_e32 v1, v1, v4
	s_delay_alu instid0(VALU_DEP_1) | instskip(NEXT) | instid1(VALU_DEP_1)
	v_mul_hi_u32 v1, v5, v1
	v_mul_lo_u32 v4, v1, s6
	s_delay_alu instid0(VALU_DEP_1) | instskip(SKIP_1) | instid1(VALU_DEP_2)
	v_sub_nc_u32_e32 v4, v5, v4
	v_add_nc_u32_e32 v5, 1, v1
	v_subrev_nc_u32_e32 v6, s6, v4
	v_cmp_le_u32_e32 vcc_lo, s6, v4
	s_delay_alu instid0(VALU_DEP_2) | instskip(SKIP_1) | instid1(VALU_DEP_2)
	v_dual_cndmask_b32 v4, v4, v6 :: v_dual_cndmask_b32 v1, v1, v5
	v_xor_b32_e32 v5, s14, v3
	v_cmp_le_u32_e32 vcc_lo, s6, v4
	s_delay_alu instid0(VALU_DEP_3) | instskip(NEXT) | instid1(VALU_DEP_3)
	v_add_nc_u32_e32 v6, 1, v1
	v_ashrrev_i32_e32 v5, 31, v5
	s_delay_alu instid0(VALU_DEP_2) | instskip(NEXT) | instid1(VALU_DEP_1)
	v_cndmask_b32_e32 v1, v1, v6, vcc_lo
	v_xor_b32_e32 v1, v1, v5
	s_delay_alu instid0(VALU_DEP_1) | instskip(NEXT) | instid1(VALU_DEP_1)
	v_sub_nc_u32_e32 v1, v1, v5
	v_cmp_gt_i32_e32 vcc_lo, s2, v1
	s_and_saveexec_b32 s2, vcc_lo
	s_cbranch_execz .LBB134_28
; %bb.1:
	v_mul_lo_u32 v4, v1, s14
	s_load_b64 s[12:13], s[0:1], 0x0
	v_and_b32_e32 v8, 31, v0
	v_lshlrev_b32_e32 v12, 10, v2
	v_lshlrev_b32_e32 v0, 9, v3
	s_lshl_b32 s20, s3, 1
	s_delay_alu instid0(VALU_DEP_3) | instskip(SKIP_2) | instid1(VALU_DEP_1)
	v_lshlrev_b32_e32 v9, 3, v8
	v_sub_nc_u32_e32 v4, v3, v4
	s_mul_i32 s15, s20, s5
	v_lshlrev_b32_e32 v10, 2, v4
	s_delay_alu instid0(VALU_DEP_1) | instskip(SKIP_1) | instid1(VALU_DEP_2)
	v_add_nc_u32_e32 v4, 4, v10
	v_sub_nc_u32_e32 v5, s4, v10
	v_cmp_lt_i32_e32 vcc_lo, s4, v4
	s_delay_alu instid0(VALU_DEP_2) | instskip(NEXT) | instid1(VALU_DEP_1)
	v_cndmask_b32_e32 v11, 4, v5, vcc_lo
	v_cmp_lt_i32_e32 vcc_lo, 0, v11
	s_and_saveexec_b32 s4, vcc_lo
	s_cbranch_execz .LBB134_4
; %bb.2:
	s_add_i32 s2, s18, s17
	s_lshl_b32 s5, s14, 2
	s_add_i32 s2, s2, s16
	s_mov_b32 s6, 0
	s_sub_i32 s2, s2, s5
	s_mov_b32 s5, 0
	v_mul_lo_u32 v3, s2, v1
	s_add_i32 s2, s15, 0
	s_delay_alu instid0(SALU_CYCLE_1) | instskip(NEXT) | instid1(VALU_DEP_2)
	v_add3_u32 v5, s2, v12, v9
	v_lshl_add_u32 v3, v3, 7, v0
	s_delay_alu instid0(VALU_DEP_1)
	v_lshl_or_b32 v3, v8, 2, v3
	.p2align	6
.LBB134_3:                              ; =>This Inner Loop Header: Depth=1
	s_delay_alu instid0(VALU_DEP_1) | instskip(SKIP_1) | instid1(VALU_DEP_1)
	v_ashrrev_i32_e32 v4, 31, v3
	s_add_i32 s6, s6, 1
	v_lshlrev_b64 v[6:7], 1, v[3:4]
	v_add_nc_u32_e32 v3, 0x80, v3
	s_waitcnt lgkmcnt(0)
	s_delay_alu instid0(VALU_DEP_2) | instskip(NEXT) | instid1(VALU_DEP_1)
	v_add_co_u32 v6, s2, s12, v6
	v_add_co_ci_u32_e64 v7, s2, s13, v7, s2
	v_cmp_ge_i32_e64 s2, s6, v11
	global_load_b64 v[6:7], v[6:7], off
	s_or_b32 s5, s2, s5
	s_waitcnt vmcnt(0)
	ds_store_b64 v5, v[6:7]
	v_add_nc_u32_e32 v5, 0x100, v5
	s_and_not1_b32 exec_lo, exec_lo, s5
	s_cbranch_execnz .LBB134_3
.LBB134_4:
	s_or_b32 exec_lo, exec_lo, s4
	s_load_b256 s[4:11], s[0:1], 0x18
	v_mul_lo_u32 v2, v2, s3
	s_add_i32 s0, s20, 15
	s_mov_b32 s20, exec_lo
	s_ashr_i32 s1, s0, 31
	s_delay_alu instid0(SALU_CYCLE_1) | instskip(NEXT) | instid1(SALU_CYCLE_1)
	s_lshr_b32 s1, s1, 28
	s_add_i32 s0, s0, s1
	s_delay_alu instid0(VALU_DEP_1) | instskip(SKIP_1) | instid1(SALU_CYCLE_1)
	v_lshlrev_b32_e32 v13, 1, v2
	s_ashr_i32 s2, s0, 4
	v_cmpx_gt_i32_e64 s2, v8
	s_cbranch_execz .LBB134_7
; %bb.5:
	v_ashrrev_i32_e32 v2, 31, v1
	s_delay_alu instid0(VALU_DEP_1) | instskip(SKIP_1) | instid1(VALU_DEP_1)
	v_lshlrev_b64 v[2:3], 3, v[1:2]
	s_waitcnt lgkmcnt(0)
	v_add_co_u32 v2, s0, s10, v2
	s_delay_alu instid0(VALU_DEP_1)
	v_add_co_ci_u32_e64 v3, s0, s11, v3, s0
	s_ashr_i32 s0, s3, 31
	global_load_b64 v[2:3], v[2:3], off
	s_waitcnt vmcnt(0)
	v_mul_lo_u32 v5, v3, s3
	v_mul_lo_u32 v6, v2, s0
	v_mad_u64_u32 v[3:4], null, v2, s3, 0
	s_delay_alu instid0(VALU_DEP_1) | instskip(SKIP_1) | instid1(VALU_DEP_2)
	v_add3_u32 v4, v4, v6, v5
	v_mov_b32_e32 v5, v8
	v_lshlrev_b64 v[2:3], 1, v[3:4]
	v_lshlrev_b32_e32 v4, 4, v8
	s_delay_alu instid0(VALU_DEP_1) | instskip(NEXT) | instid1(VALU_DEP_1)
	v_add_co_u32 v2, s0, v2, v4
	v_add_co_ci_u32_e64 v3, s0, 0, v3, s0
	v_add3_u32 v4, v13, v4, 0
	s_delay_alu instid0(VALU_DEP_3) | instskip(NEXT) | instid1(VALU_DEP_1)
	v_add_co_u32 v2, s0, s8, v2
	v_add_co_ci_u32_e64 v3, s0, s9, v3, s0
	s_mov_b32 s8, 0
	.p2align	6
.LBB134_6:                              ; =>This Inner Loop Header: Depth=1
	global_load_b128 v[14:17], v[2:3], off
	v_add_nc_u32_e32 v5, 32, v5
	v_add_co_u32 v2, s0, 0x200, v2
	s_delay_alu instid0(VALU_DEP_1) | instskip(NEXT) | instid1(VALU_DEP_3)
	v_add_co_ci_u32_e64 v3, s0, 0, v3, s0
	v_cmp_le_i32_e64 s1, s2, v5
	s_delay_alu instid0(VALU_DEP_1)
	s_or_b32 s8, s1, s8
	s_waitcnt vmcnt(0)
	ds_store_b128 v4, v[14:17]
	v_add_nc_u32_e32 v4, 0x200, v4
	s_and_not1_b32 exec_lo, exec_lo, s8
	s_cbranch_execnz .LBB134_6
.LBB134_7:
	s_or_b32 exec_lo, exec_lo, s20
	s_delay_alu instid0(SALU_CYCLE_1)
	s_and_b32 exec_lo, exec_lo, vcc_lo
	s_cbranch_execz .LBB134_28
; %bb.8:
	s_waitcnt lgkmcnt(0)
	s_clause 0x1
	global_load_b64 v[4:5], v9, s[4:5]
	global_load_b64 v[6:7], v9, s[6:7]
	v_mbcnt_lo_u32_b32 v3, -1, 0
	s_lshr_b32 s0, s3, 31
	s_ashr_i32 s1, s3, 31
	s_add_i32 s0, s3, s0
	s_lshr_b32 s1, s1, 30
	v_xor_b32_e32 v15, 16, v3
	s_and_b32 s5, s0, -2
	s_add_i32 s0, s3, s1
	v_xor_b32_e32 v16, 8, v3
	s_ashr_i32 s0, s0, 2
	v_lshlrev_b32_e32 v2, 2, v8
	v_cmp_le_i32_e32 vcc_lo, s0, v8
	v_cmp_gt_i32_e64 s0, 32, v15
	v_add_nc_u32_e32 v14, s15, v12
	v_xor_b32_e32 v17, 4, v3
	v_xor_b32_e32 v18, 2, v3
	v_add3_u32 v12, 0, v13, v2
	v_cndmask_b32_e64 v8, v3, v15, s0
	v_cmp_gt_i32_e64 s0, 32, v16
	v_add3_u32 v13, v14, v9, 0
	s_add_i32 s2, s18, s17
	s_lshl_b32 s4, s14, 2
	s_add_i32 s2, s2, s16
	v_cndmask_b32_e64 v9, v3, v16, s0
	v_cmp_gt_i32_e64 s0, 32, v17
	s_sub_i32 s1, s2, s4
	v_xor_b32_e32 v19, 1, v3
	v_mul_lo_u32 v1, s1, v1
	v_add_nc_u32_e32 v14, s5, v12
	v_cndmask_b32_e64 v17, v3, v17, s0
	v_cmp_gt_i32_e64 s0, 32, v18
	v_lshlrev_b32_e32 v15, 2, v8
	v_lshlrev_b32_e32 v16, 2, v9
	s_mov_b32 s2, 0
	v_lshlrev_b32_e32 v17, 2, v17
	v_cndmask_b32_e64 v18, v3, v18, s0
	v_cmp_gt_i32_e64 s0, 32, v19
	v_lshl_add_u32 v0, v1, 7, v0
	s_mov_b32 s3, 0
	s_delay_alu instid0(VALU_DEP_3) | instskip(NEXT) | instid1(VALU_DEP_3)
	v_lshlrev_b32_e32 v18, 2, v18
	v_cndmask_b32_e64 v3, v3, v19, s0
	s_delay_alu instid0(VALU_DEP_3) | instskip(NEXT) | instid1(VALU_DEP_2)
	v_or_b32_e32 v8, v0, v2
	v_lshlrev_b32_e32 v19, 2, v3
	s_waitcnt vmcnt(1)
	v_lshrrev_b32_e32 v20, 16, v4
	s_waitcnt vmcnt(0)
	v_lshrrev_b32_e32 v21, 16, v6
	v_lshrrev_b32_e32 v22, 16, v5
	;; [unrolled: 1-line block ×3, first 2 shown]
	s_branch .LBB134_10
.LBB134_9:                              ;   in Loop: Header=BB134_10 Depth=1
	s_or_b32 exec_lo, exec_lo, s1
	v_ashrrev_i32_e32 v9, 31, v8
	v_lshrrev_b32_e32 v2, 16, v26
	v_and_b32_e32 v3, 0xffff0000, v27
	s_add_i32 s3, s3, 1
	v_add_nc_u32_e32 v13, 0x100, v13
	v_lshlrev_b64 v[0:1], 1, v[8:9]
	v_lshrrev_b32_e32 v9, 16, v24
	v_cmp_ge_i32_e64 s0, s3, v11
	v_or_b32_e32 v2, v3, v2
	v_add_nc_u32_e32 v8, 0x80, v8
	v_add_co_u32 v26, s1, s12, v0
	s_delay_alu instid0(VALU_DEP_1)
	v_add_co_ci_u32_e64 v27, s1, s13, v1, s1
	v_and_or_b32 v1, 0xffff0000, v25, v9
	s_or_b32 s2, s0, s2
	global_store_b64 v[26:27], v[1:2], off
	s_and_not1_b32 exec_lo, exec_lo, s2
	s_cbranch_execz .LBB134_28
.LBB134_10:                             ; =>This Inner Loop Header: Depth=1
	ds_load_b64 v[0:1], v13
	s_waitcnt lgkmcnt(0)
	v_alignbit_b32 v3, v1, v0, 16
	s_delay_alu instid0(VALU_DEP_1) | instskip(SKIP_2) | instid1(VALU_DEP_1)
	v_and_b32_e32 v24, 0xffff0000, v3
	v_and_b32_e32 v3, 0xffff0000, v1
	;; [unrolled: 1-line block ×3, first 2 shown]
	v_dual_mul_f32 v9, v2, v2 :: v_dual_lshlrev_b32 v0, 16, v0
	s_delay_alu instid0(VALU_DEP_1) | instskip(NEXT) | instid1(VALU_DEP_1)
	v_fmac_f32_e32 v9, v0, v0
	v_fmac_f32_e32 v9, v24, v24
	s_delay_alu instid0(VALU_DEP_1)
	v_fmac_f32_e32 v9, v3, v3
	ds_bpermute_b32 v1, v15, v9
	s_waitcnt lgkmcnt(0)
	v_add_f32_e32 v1, v9, v1
	ds_bpermute_b32 v9, v16, v1
	s_waitcnt lgkmcnt(0)
	v_add_f32_e32 v1, v1, v9
	;; [unrolled: 3-line block ×5, first 2 shown]
	s_delay_alu instid0(VALU_DEP_1) | instskip(NEXT) | instid1(VALU_DEP_1)
	v_fma_f32 v1, 0x3c000000, v1, s19
	v_mul_f32_e32 v9, 0x4b800000, v1
	v_cmp_gt_f32_e64 s0, 0x800000, v1
	s_delay_alu instid0(VALU_DEP_1) | instskip(SKIP_1) | instid1(VALU_DEP_2)
	v_cndmask_b32_e64 v1, v1, v9, s0
	v_add_nc_u32_e32 v9, s3, v10
	v_rsq_f32_e32 v1, v1
	s_delay_alu instid0(VALU_DEP_1) | instskip(NEXT) | instid1(VALU_DEP_1)
	v_cmp_gt_i32_e64 s1, s16, v9
	v_cndmask_b32_e64 v9, v21, v20, s1
	v_cndmask_b32_e64 v26, v6, v4, s1
	;; [unrolled: 1-line block ×4, first 2 shown]
	s_waitcnt_depctr 0xfff
	v_mul_f32_e32 v25, 0x45800000, v1
	v_lshlrev_b32_e32 v9, 16, v9
	s_delay_alu instid0(VALU_DEP_2) | instskip(SKIP_3) | instid1(VALU_DEP_4)
	v_cndmask_b32_e64 v1, v1, v25, s0
	v_lshlrev_b32_e32 v25, 16, v26
	v_lshlrev_b32_e32 v26, 16, v27
	;; [unrolled: 1-line block ×3, first 2 shown]
	v_mul_f32_e32 v9, v1, v9
	s_delay_alu instid0(VALU_DEP_4) | instskip(NEXT) | instid1(VALU_DEP_4)
	v_mul_f32_e32 v25, v1, v25
	v_mul_f32_e32 v26, v1, v26
	s_delay_alu instid0(VALU_DEP_4) | instskip(NEXT) | instid1(VALU_DEP_4)
	v_mul_f32_e32 v27, v1, v27
	v_mul_f32_e32 v1, v9, v2
	s_delay_alu instid0(VALU_DEP_3) | instskip(NEXT) | instid1(VALU_DEP_3)
	v_dual_mul_f32 v0, v25, v0 :: v_dual_mul_f32 v3, v26, v3
	v_mul_f32_e32 v2, v27, v24
	s_and_saveexec_b32 s0, vcc_lo
	s_delay_alu instid0(SALU_CYCLE_1) | instskip(NEXT) | instid1(SALU_CYCLE_1)
	s_xor_b32 s0, exec_lo, s0
	s_and_not1_saveexec_b32 s0, s0
	s_cbranch_execz .LBB134_12
; %bb.11:                               ;   in Loop: Header=BB134_10 Depth=1
	ds_load_u16 v9, v14
	ds_load_u16 v24, v12
	ds_load_u16 v25, v14 offset:2
	ds_load_u16 v26, v12 offset:2
	s_waitcnt lgkmcnt(1)
	v_lshlrev_b32_e32 v28, 16, v25
	s_waitcnt lgkmcnt(0)
	v_lshlrev_b32_e32 v26, 16, v26
	s_delay_alu instid0(VALU_DEP_1) | instskip(NEXT) | instid1(VALU_DEP_1)
	v_mul_f32_e32 v27, v3, v26
	v_fmac_f32_e32 v27, v2, v28
	v_lshlrev_b32_e32 v9, 16, v9
	s_delay_alu instid0(VALU_DEP_1) | instskip(NEXT) | instid1(VALU_DEP_1)
	v_dual_mul_f32 v29, v1, v9 :: v_dual_lshlrev_b32 v24, 16, v24
	v_mul_f32_e32 v25, v1, v24
	v_mul_f32_e32 v1, v3, v28
	s_delay_alu instid0(VALU_DEP_3) | instskip(NEXT) | instid1(VALU_DEP_3)
	v_fma_f32 v24, v0, v24, -v29
	v_fmac_f32_e32 v25, v0, v9
	s_delay_alu instid0(VALU_DEP_3) | instskip(NEXT) | instid1(VALU_DEP_2)
	v_fma_f32 v26, v2, v26, -v1
	v_dual_mov_b32 v0, v24 :: v_dual_mov_b32 v1, v25
	s_delay_alu instid0(VALU_DEP_2)
	v_dual_mov_b32 v2, v26 :: v_dual_mov_b32 v3, v27
.LBB134_12:                             ;   in Loop: Header=BB134_10 Depth=1
	s_or_b32 exec_lo, exec_lo, s0
	s_delay_alu instid0(VALU_DEP_2) | instskip(NEXT) | instid1(VALU_DEP_1)
	v_and_b32_e32 v9, 0x7f800000, v0
                                        ; implicit-def: $vgpr24
	v_cmp_ne_u32_e64 s0, 0x7f800000, v9
	s_delay_alu instid0(VALU_DEP_1) | instskip(NEXT) | instid1(SALU_CYCLE_1)
	s_and_saveexec_b32 s1, s0
	s_xor_b32 s0, exec_lo, s1
; %bb.13:                               ;   in Loop: Header=BB134_10 Depth=1
	v_bfe_u32 v9, v0, 16, 1
	s_delay_alu instid0(VALU_DEP_1)
	v_add3_u32 v24, v0, v9, 0x7fff
; %bb.14:                               ;   in Loop: Header=BB134_10 Depth=1
	s_and_not1_saveexec_b32 s1, s0
; %bb.15:                               ;   in Loop: Header=BB134_10 Depth=1
	v_and_b32_e32 v9, 0xffff, v0
	v_or_b32_e32 v24, 0x10000, v0
	s_delay_alu instid0(VALU_DEP_2) | instskip(NEXT) | instid1(VALU_DEP_1)
	v_cmp_eq_u32_e64 s0, 0, v9
	v_cndmask_b32_e64 v24, v24, v0, s0
; %bb.16:                               ;   in Loop: Header=BB134_10 Depth=1
	s_or_b32 exec_lo, exec_lo, s1
	v_and_b32_e32 v0, 0x7f800000, v1
                                        ; implicit-def: $vgpr25
	s_delay_alu instid0(VALU_DEP_1) | instskip(NEXT) | instid1(VALU_DEP_1)
	v_cmp_ne_u32_e64 s0, 0x7f800000, v0
	s_and_saveexec_b32 s1, s0
	s_delay_alu instid0(SALU_CYCLE_1)
	s_xor_b32 s0, exec_lo, s1
; %bb.17:                               ;   in Loop: Header=BB134_10 Depth=1
	v_bfe_u32 v0, v1, 16, 1
	s_delay_alu instid0(VALU_DEP_1)
	v_add3_u32 v25, v1, v0, 0x7fff
; %bb.18:                               ;   in Loop: Header=BB134_10 Depth=1
	s_and_not1_saveexec_b32 s1, s0
; %bb.19:                               ;   in Loop: Header=BB134_10 Depth=1
	v_and_b32_e32 v0, 0xffff, v1
	v_or_b32_e32 v9, 0x10000, v1
	s_delay_alu instid0(VALU_DEP_2) | instskip(NEXT) | instid1(VALU_DEP_1)
	v_cmp_eq_u32_e64 s0, 0, v0
	v_cndmask_b32_e64 v25, v9, v1, s0
; %bb.20:                               ;   in Loop: Header=BB134_10 Depth=1
	s_or_b32 exec_lo, exec_lo, s1
	v_and_b32_e32 v0, 0x7f800000, v2
                                        ; implicit-def: $vgpr26
	s_delay_alu instid0(VALU_DEP_1) | instskip(NEXT) | instid1(VALU_DEP_1)
	v_cmp_ne_u32_e64 s0, 0x7f800000, v0
	s_and_saveexec_b32 s1, s0
	s_delay_alu instid0(SALU_CYCLE_1)
	s_xor_b32 s0, exec_lo, s1
; %bb.21:                               ;   in Loop: Header=BB134_10 Depth=1
	v_bfe_u32 v0, v2, 16, 1
	s_delay_alu instid0(VALU_DEP_1)
	v_add3_u32 v26, v2, v0, 0x7fff
; %bb.22:                               ;   in Loop: Header=BB134_10 Depth=1
	s_and_not1_saveexec_b32 s1, s0
; %bb.23:                               ;   in Loop: Header=BB134_10 Depth=1
	v_and_b32_e32 v0, 0xffff, v2
	v_or_b32_e32 v1, 0x10000, v2
	s_delay_alu instid0(VALU_DEP_2) | instskip(NEXT) | instid1(VALU_DEP_1)
	v_cmp_eq_u32_e64 s0, 0, v0
	v_cndmask_b32_e64 v26, v1, v2, s0
; %bb.24:                               ;   in Loop: Header=BB134_10 Depth=1
	s_or_b32 exec_lo, exec_lo, s1
	v_and_b32_e32 v0, 0x7f800000, v3
                                        ; implicit-def: $vgpr27
	s_delay_alu instid0(VALU_DEP_1) | instskip(NEXT) | instid1(VALU_DEP_1)
	v_cmp_ne_u32_e64 s0, 0x7f800000, v0
	s_and_saveexec_b32 s1, s0
	s_delay_alu instid0(SALU_CYCLE_1)
	s_xor_b32 s0, exec_lo, s1
; %bb.25:                               ;   in Loop: Header=BB134_10 Depth=1
	v_bfe_u32 v0, v3, 16, 1
	s_delay_alu instid0(VALU_DEP_1)
	v_add3_u32 v27, v3, v0, 0x7fff
                                        ; implicit-def: $vgpr0_vgpr1_vgpr2_vgpr3
; %bb.26:                               ;   in Loop: Header=BB134_10 Depth=1
	s_and_not1_saveexec_b32 s1, s0
	s_cbranch_execz .LBB134_9
; %bb.27:                               ;   in Loop: Header=BB134_10 Depth=1
	v_and_b32_e32 v0, 0xffff, v3
	v_or_b32_e32 v1, 0x10000, v3
	s_delay_alu instid0(VALU_DEP_2) | instskip(NEXT) | instid1(VALU_DEP_1)
	v_cmp_eq_u32_e64 s0, 0, v0
	v_cndmask_b32_e64 v27, v1, v3, s0
	s_branch .LBB134_9
.LBB134_28:
	s_nop 0
	s_sendmsg sendmsg(MSG_DEALLOC_VGPRS)
	s_endpgm
	.section	.rodata,"a",@progbits
	.p2align	6, 0x0
	.amdhsa_kernel _ZN12tensorrt_llm7kernels32fusedQKNormRopeKernelNTokenHeadsIN3c108BFloat16ES3_Li128ELb1ELi4EEEvPviiifPKvS6_S6_PKlii
		.amdhsa_group_segment_fixed_size 0
		.amdhsa_private_segment_fixed_size 0
		.amdhsa_kernarg_size 320
		.amdhsa_user_sgpr_count 15
		.amdhsa_user_sgpr_dispatch_ptr 0
		.amdhsa_user_sgpr_queue_ptr 0
		.amdhsa_user_sgpr_kernarg_segment_ptr 1
		.amdhsa_user_sgpr_dispatch_id 0
		.amdhsa_user_sgpr_private_segment_size 0
		.amdhsa_wavefront_size32 1
		.amdhsa_uses_dynamic_stack 0
		.amdhsa_enable_private_segment 0
		.amdhsa_system_sgpr_workgroup_id_x 1
		.amdhsa_system_sgpr_workgroup_id_y 0
		.amdhsa_system_sgpr_workgroup_id_z 0
		.amdhsa_system_sgpr_workgroup_info 0
		.amdhsa_system_vgpr_workitem_id 0
		.amdhsa_next_free_vgpr 30
		.amdhsa_next_free_sgpr 21
		.amdhsa_reserve_vcc 1
		.amdhsa_float_round_mode_32 0
		.amdhsa_float_round_mode_16_64 0
		.amdhsa_float_denorm_mode_32 3
		.amdhsa_float_denorm_mode_16_64 3
		.amdhsa_dx10_clamp 1
		.amdhsa_ieee_mode 1
		.amdhsa_fp16_overflow 0
		.amdhsa_workgroup_processor_mode 1
		.amdhsa_memory_ordered 1
		.amdhsa_forward_progress 0
		.amdhsa_shared_vgpr_count 0
		.amdhsa_exception_fp_ieee_invalid_op 0
		.amdhsa_exception_fp_denorm_src 0
		.amdhsa_exception_fp_ieee_div_zero 0
		.amdhsa_exception_fp_ieee_overflow 0
		.amdhsa_exception_fp_ieee_underflow 0
		.amdhsa_exception_fp_ieee_inexact 0
		.amdhsa_exception_int_div_zero 0
	.end_amdhsa_kernel
	.section	.text._ZN12tensorrt_llm7kernels32fusedQKNormRopeKernelNTokenHeadsIN3c108BFloat16ES3_Li128ELb1ELi4EEEvPviiifPKvS6_S6_PKlii,"axG",@progbits,_ZN12tensorrt_llm7kernels32fusedQKNormRopeKernelNTokenHeadsIN3c108BFloat16ES3_Li128ELb1ELi4EEEvPviiifPKvS6_S6_PKlii,comdat
.Lfunc_end134:
	.size	_ZN12tensorrt_llm7kernels32fusedQKNormRopeKernelNTokenHeadsIN3c108BFloat16ES3_Li128ELb1ELi4EEEvPviiifPKvS6_S6_PKlii, .Lfunc_end134-_ZN12tensorrt_llm7kernels32fusedQKNormRopeKernelNTokenHeadsIN3c108BFloat16ES3_Li128ELb1ELi4EEEvPviiifPKvS6_S6_PKlii
                                        ; -- End function
	.section	.AMDGPU.csdata,"",@progbits
; Kernel info:
; codeLenInByte = 2188
; NumSgprs: 23
; NumVgprs: 30
; ScratchSize: 0
; MemoryBound: 0
; FloatMode: 240
; IeeeMode: 1
; LDSByteSize: 0 bytes/workgroup (compile time only)
; SGPRBlocks: 2
; VGPRBlocks: 3
; NumSGPRsForWavesPerEU: 23
; NumVGPRsForWavesPerEU: 30
; Occupancy: 16
; WaveLimiterHint : 0
; COMPUTE_PGM_RSRC2:SCRATCH_EN: 0
; COMPUTE_PGM_RSRC2:USER_SGPR: 15
; COMPUTE_PGM_RSRC2:TRAP_HANDLER: 0
; COMPUTE_PGM_RSRC2:TGID_X_EN: 1
; COMPUTE_PGM_RSRC2:TGID_Y_EN: 0
; COMPUTE_PGM_RSRC2:TGID_Z_EN: 0
; COMPUTE_PGM_RSRC2:TIDIG_COMP_CNT: 0
	.section	.text._ZN12tensorrt_llm7kernels32fusedQKNormRopeKernelNTokenHeadsIN3c108BFloat16ES3_Li128ELb0ELi4EEEvPviiifPKvS6_S6_PKlii,"axG",@progbits,_ZN12tensorrt_llm7kernels32fusedQKNormRopeKernelNTokenHeadsIN3c108BFloat16ES3_Li128ELb0ELi4EEEvPviiifPKvS6_S6_PKlii,comdat
	.protected	_ZN12tensorrt_llm7kernels32fusedQKNormRopeKernelNTokenHeadsIN3c108BFloat16ES3_Li128ELb0ELi4EEEvPviiifPKvS6_S6_PKlii ; -- Begin function _ZN12tensorrt_llm7kernels32fusedQKNormRopeKernelNTokenHeadsIN3c108BFloat16ES3_Li128ELb0ELi4EEEvPviiifPKvS6_S6_PKlii
	.globl	_ZN12tensorrt_llm7kernels32fusedQKNormRopeKernelNTokenHeadsIN3c108BFloat16ES3_Li128ELb0ELi4EEEvPviiifPKvS6_S6_PKlii
	.p2align	8
	.type	_ZN12tensorrt_llm7kernels32fusedQKNormRopeKernelNTokenHeadsIN3c108BFloat16ES3_Li128ELb0ELi4EEEvPviiifPKvS6_S6_PKlii,@function
_ZN12tensorrt_llm7kernels32fusedQKNormRopeKernelNTokenHeadsIN3c108BFloat16ES3_Li128ELb0ELi4EEEvPviiifPKvS6_S6_PKlii: ; @_ZN12tensorrt_llm7kernels32fusedQKNormRopeKernelNTokenHeadsIN3c108BFloat16ES3_Li128ELb0ELi4EEEvPviiifPKvS6_S6_PKlii
; %bb.0:
	s_clause 0x1
	s_load_b128 s[16:19], s[0:1], 0x8
	s_load_b64 s[2:3], s[0:1], 0x38
	v_lshrrev_b32_e32 v2, 5, v0
	s_waitcnt lgkmcnt(0)
	s_add_i32 s4, s17, s16
	s_delay_alu instid0(SALU_CYCLE_1) | instskip(NEXT) | instid1(SALU_CYCLE_1)
	s_add_i32 s5, s4, 3
	s_ashr_i32 s6, s5, 31
	s_delay_alu instid0(SALU_CYCLE_1) | instskip(NEXT) | instid1(SALU_CYCLE_1)
	s_lshr_b32 s6, s6, 30
	s_add_i32 s5, s5, s6
	s_delay_alu instid0(SALU_CYCLE_1) | instskip(SKIP_2) | instid1(SALU_CYCLE_1)
	s_ashr_i32 s14, s5, 2
	s_load_b32 s5, s[0:1], 0x4c
	s_abs_i32 s6, s14
	v_cvt_f32_u32_e32 v1, s6
	s_sub_i32 s7, 0, s6
	s_delay_alu instid0(VALU_DEP_1) | instskip(SKIP_4) | instid1(SALU_CYCLE_1)
	v_rcp_iflag_f32_e32 v1, v1
	s_waitcnt_depctr 0xfff
	v_mul_f32_e32 v1, 0x4f7ffffe, v1
	s_waitcnt lgkmcnt(0)
	s_bfe_u32 s5, s5, 0xb0005
	v_mad_u64_u32 v[3:4], null, s15, s5, v[2:3]
	s_delay_alu instid0(VALU_DEP_2) | instskip(NEXT) | instid1(VALU_DEP_1)
	v_cvt_u32_f32_e32 v1, v1
	v_mul_lo_u32 v5, s7, v1
	s_delay_alu instid0(VALU_DEP_1) | instskip(NEXT) | instid1(VALU_DEP_4)
	v_mul_hi_u32 v4, v1, v5
	v_sub_nc_u32_e32 v5, 0, v3
	s_delay_alu instid0(VALU_DEP_1) | instskip(NEXT) | instid1(VALU_DEP_3)
	v_max_i32_e32 v5, v3, v5
	v_add_nc_u32_e32 v1, v1, v4
	s_delay_alu instid0(VALU_DEP_1) | instskip(NEXT) | instid1(VALU_DEP_1)
	v_mul_hi_u32 v1, v5, v1
	v_mul_lo_u32 v4, v1, s6
	s_delay_alu instid0(VALU_DEP_1) | instskip(SKIP_1) | instid1(VALU_DEP_2)
	v_sub_nc_u32_e32 v4, v5, v4
	v_add_nc_u32_e32 v5, 1, v1
	v_subrev_nc_u32_e32 v6, s6, v4
	v_cmp_le_u32_e32 vcc_lo, s6, v4
	s_delay_alu instid0(VALU_DEP_2) | instskip(SKIP_1) | instid1(VALU_DEP_2)
	v_dual_cndmask_b32 v4, v4, v6 :: v_dual_cndmask_b32 v1, v1, v5
	v_xor_b32_e32 v5, s14, v3
	v_cmp_le_u32_e32 vcc_lo, s6, v4
	s_delay_alu instid0(VALU_DEP_3) | instskip(NEXT) | instid1(VALU_DEP_3)
	v_add_nc_u32_e32 v6, 1, v1
	v_ashrrev_i32_e32 v5, 31, v5
	s_delay_alu instid0(VALU_DEP_2) | instskip(NEXT) | instid1(VALU_DEP_1)
	v_cndmask_b32_e32 v1, v1, v6, vcc_lo
	v_xor_b32_e32 v1, v1, v5
	s_delay_alu instid0(VALU_DEP_1) | instskip(NEXT) | instid1(VALU_DEP_1)
	v_sub_nc_u32_e32 v1, v1, v5
	v_cmp_gt_i32_e32 vcc_lo, s2, v1
	s_and_saveexec_b32 s2, vcc_lo
	s_cbranch_execz .LBB135_28
; %bb.1:
	v_mul_lo_u32 v4, v1, s14
	s_load_b64 s[12:13], s[0:1], 0x0
	v_and_b32_e32 v8, 31, v0
	v_lshlrev_b32_e32 v12, 10, v2
	v_lshlrev_b32_e32 v9, 9, v3
	s_lshl_b32 s20, s3, 1
	s_delay_alu instid0(VALU_DEP_3) | instskip(SKIP_2) | instid1(VALU_DEP_1)
	v_lshlrev_b32_e32 v0, 3, v8
	v_sub_nc_u32_e32 v4, v3, v4
	s_mul_i32 s15, s20, s5
	v_lshlrev_b32_e32 v10, 2, v4
	s_delay_alu instid0(VALU_DEP_1) | instskip(SKIP_1) | instid1(VALU_DEP_2)
	v_add_nc_u32_e32 v4, 4, v10
	v_sub_nc_u32_e32 v5, s4, v10
	v_cmp_lt_i32_e32 vcc_lo, s4, v4
	s_delay_alu instid0(VALU_DEP_2) | instskip(NEXT) | instid1(VALU_DEP_1)
	v_cndmask_b32_e32 v11, 4, v5, vcc_lo
	v_cmp_lt_i32_e32 vcc_lo, 0, v11
	s_and_saveexec_b32 s4, vcc_lo
	s_cbranch_execz .LBB135_4
; %bb.2:
	s_add_i32 s2, s18, s17
	s_lshl_b32 s5, s14, 2
	s_add_i32 s2, s2, s16
	s_mov_b32 s6, 0
	s_sub_i32 s2, s2, s5
	s_mov_b32 s5, 0
	v_mul_lo_u32 v3, s2, v1
	s_add_i32 s2, s15, 0
	s_delay_alu instid0(SALU_CYCLE_1) | instskip(NEXT) | instid1(VALU_DEP_2)
	v_add3_u32 v5, s2, v12, v0
	v_lshl_add_u32 v3, v3, 7, v9
	s_delay_alu instid0(VALU_DEP_1)
	v_lshl_or_b32 v3, v8, 2, v3
	.p2align	6
.LBB135_3:                              ; =>This Inner Loop Header: Depth=1
	s_delay_alu instid0(VALU_DEP_1) | instskip(SKIP_1) | instid1(VALU_DEP_1)
	v_ashrrev_i32_e32 v4, 31, v3
	s_add_i32 s6, s6, 1
	v_lshlrev_b64 v[6:7], 1, v[3:4]
	v_add_nc_u32_e32 v3, 0x80, v3
	s_waitcnt lgkmcnt(0)
	s_delay_alu instid0(VALU_DEP_2) | instskip(NEXT) | instid1(VALU_DEP_1)
	v_add_co_u32 v6, s2, s12, v6
	v_add_co_ci_u32_e64 v7, s2, s13, v7, s2
	v_cmp_ge_i32_e64 s2, s6, v11
	global_load_b64 v[6:7], v[6:7], off
	s_or_b32 s5, s2, s5
	s_waitcnt vmcnt(0)
	ds_store_b64 v5, v[6:7]
	v_add_nc_u32_e32 v5, 0x100, v5
	s_and_not1_b32 exec_lo, exec_lo, s5
	s_cbranch_execnz .LBB135_3
.LBB135_4:
	s_or_b32 exec_lo, exec_lo, s4
	s_load_b256 s[4:11], s[0:1], 0x18
	s_add_i32 s0, s20, 15
	v_mul_lo_u32 v13, v2, s3
	s_ashr_i32 s1, s0, 31
	s_mov_b32 s20, exec_lo
	s_lshr_b32 s1, s1, 28
	s_delay_alu instid0(SALU_CYCLE_1) | instskip(NEXT) | instid1(SALU_CYCLE_1)
	s_add_i32 s0, s0, s1
	s_ashr_i32 s2, s0, 4
	s_delay_alu instid0(SALU_CYCLE_1)
	v_cmpx_gt_i32_e64 s2, v8
	s_cbranch_execz .LBB135_7
; %bb.5:
	v_ashrrev_i32_e32 v2, 31, v1
	s_delay_alu instid0(VALU_DEP_1) | instskip(SKIP_1) | instid1(VALU_DEP_1)
	v_lshlrev_b64 v[2:3], 3, v[1:2]
	s_waitcnt lgkmcnt(0)
	v_add_co_u32 v2, s0, s10, v2
	s_delay_alu instid0(VALU_DEP_1)
	v_add_co_ci_u32_e64 v3, s0, s11, v3, s0
	s_ashr_i32 s0, s3, 31
	global_load_b64 v[2:3], v[2:3], off
	s_waitcnt vmcnt(0)
	v_mul_lo_u32 v5, v3, s3
	v_mul_lo_u32 v6, v2, s0
	v_mad_u64_u32 v[3:4], null, v2, s3, 0
	s_delay_alu instid0(VALU_DEP_1) | instskip(SKIP_1) | instid1(VALU_DEP_2)
	v_add3_u32 v4, v4, v6, v5
	v_lshlrev_b32_e32 v5, 1, v13
	v_lshlrev_b64 v[2:3], 1, v[3:4]
	v_lshlrev_b32_e32 v4, 4, v8
	s_delay_alu instid0(VALU_DEP_1) | instskip(NEXT) | instid1(VALU_DEP_1)
	v_add_co_u32 v2, s0, v2, v4
	v_add_co_ci_u32_e64 v3, s0, 0, v3, s0
	v_add3_u32 v4, v5, v4, 0
	v_mov_b32_e32 v5, v8
	s_delay_alu instid0(VALU_DEP_4) | instskip(NEXT) | instid1(VALU_DEP_1)
	v_add_co_u32 v2, s0, s8, v2
	v_add_co_ci_u32_e64 v3, s0, s9, v3, s0
	s_mov_b32 s8, 0
	.p2align	6
.LBB135_6:                              ; =>This Inner Loop Header: Depth=1
	global_load_b128 v[14:17], v[2:3], off
	v_add_nc_u32_e32 v5, 32, v5
	v_add_co_u32 v2, s0, 0x200, v2
	s_delay_alu instid0(VALU_DEP_1) | instskip(NEXT) | instid1(VALU_DEP_3)
	v_add_co_ci_u32_e64 v3, s0, 0, v3, s0
	v_cmp_le_i32_e64 s1, s2, v5
	s_delay_alu instid0(VALU_DEP_1)
	s_or_b32 s8, s1, s8
	s_waitcnt vmcnt(0)
	ds_store_b128 v4, v[14:17]
	v_add_nc_u32_e32 v4, 0x200, v4
	s_and_not1_b32 exec_lo, exec_lo, s8
	s_cbranch_execnz .LBB135_6
.LBB135_7:
	s_or_b32 exec_lo, exec_lo, s20
	s_delay_alu instid0(SALU_CYCLE_1)
	s_and_b32 exec_lo, exec_lo, vcc_lo
	s_cbranch_execz .LBB135_28
; %bb.8:
	s_waitcnt lgkmcnt(0)
	s_clause 0x1
	global_load_b64 v[4:5], v0, s[4:5]
	global_load_b64 v[6:7], v0, s[6:7]
	s_abs_i32 s2, s3
	s_lshr_b32 s0, s3, 31
	v_cvt_f32_u32_e32 v2, s2
	s_add_i32 s0, s3, s0
	v_lshl_add_u32 v3, v13, 1, 0
	s_and_b32 s0, s0, -2
	v_mbcnt_lo_u32_b32 v13, -1, 0
	v_rcp_iflag_f32_e32 v2, v2
	s_ashr_i32 s1, s3, 31
	v_add_nc_u32_e32 v30, s15, v12
	s_lshr_b32 s6, s1, 30
	s_lshr_b32 s1, s1, 29
	v_xor_b32_e32 v12, 16, v13
	s_add_i32 s6, s3, s6
	s_add_i32 s1, s3, s1
	s_sub_i32 s7, 0, s2
	s_waitcnt_depctr 0xfff
	v_dual_mul_f32 v2, 0x4f7ffffe, v2 :: v_dual_add_nc_u32 v25, s0, v3
	s_ashr_i32 s0, s6, 2
	s_ashr_i32 s1, s1, 3
	v_xor_b32_e32 v14, 8, v13
	v_cmp_gt_i32_e32 vcc_lo, s0, v8
	v_cvt_u32_f32_e32 v2, v2
	v_xor_b32_e32 v22, s1, v13
	v_cmp_gt_i32_e64 s0, s1, v8
	v_cmp_gt_i32_e64 s1, 32, v12
	v_xor_b32_e32 v19, 4, v13
	v_mul_lo_u32 v15, s7, v2
	v_xor_b32_e32 v20, 2, v13
	s_add_i32 s4, s18, s17
	v_cndmask_b32_e64 v12, v13, v12, s1
	v_cmp_gt_i32_e64 s1, 32, v14
	s_lshl_b32 s5, s14, 2
	s_add_i32 s4, s4, s16
	v_or_b32_e32 v16, 2, v0
	v_mul_hi_u32 v15, v2, v15
	v_cndmask_b32_e64 v14, v13, v14, s1
	v_cmp_gt_i32_e64 s1, 32, v19
	s_sub_i32 s3, s4, s5
	v_or_b32_e32 v17, 4, v0
	v_or_b32_e32 v18, 6, v0
	v_mul_lo_u32 v1, s3, v1
	v_xor_b32_e32 v21, 1, v13
	v_add_nc_u32_e32 v2, v2, v15
	v_cndmask_b32_e64 v15, v13, v19, s1
	v_cmp_gt_i32_e64 s1, 32, v20
	v_lshlrev_b32_e32 v12, 2, v12
	v_add3_u32 v30, v30, v0, 0
	v_mul_hi_u32 v23, v16, v2
	v_mul_hi_u32 v24, v17, v2
	v_cndmask_b32_e64 v19, v13, v20, s1
	v_mul_hi_u32 v20, v0, v2
	v_mul_hi_u32 v2, v18, v2
	v_lshl_add_u32 v1, v1, 7, v9
	v_cmp_gt_i32_e64 s1, 32, v21
	s_mov_b32 s3, 0
	s_mov_b32 s4, 0
	s_delay_alu instid0(VALU_DEP_2)
	v_lshl_or_b32 v8, v8, 2, v1
	v_mul_lo_u32 v9, v20, s2
	v_mul_lo_u32 v20, v23, s2
	;; [unrolled: 1-line block ×3, first 2 shown]
	v_cndmask_b32_e64 v21, v13, v21, s1
	v_cmp_gt_i32_e64 s1, 32, v22
	v_mul_lo_u32 v23, v24, s2
	v_sub_nc_u32_e32 v9, v0, v9
	s_delay_alu instid0(VALU_DEP_3)
	v_cndmask_b32_e64 v22, v13, v22, s1
	v_lshlrev_b32_e32 v13, 2, v14
	v_lshlrev_b32_e32 v14, 2, v15
	v_lshlrev_b32_e32 v15, 2, v19
	v_sub_nc_u32_e32 v19, v16, v20
	v_sub_nc_u32_e32 v2, v18, v2
	v_subrev_nc_u32_e32 v18, s2, v9
	v_cmp_le_u32_e64 s1, s2, v9
	v_sub_nc_u32_e32 v17, v17, v23
	v_subrev_nc_u32_e32 v20, s2, v19
	v_lshlrev_b32_e32 v16, 2, v21
	v_subrev_nc_u32_e32 v23, s2, v2
	v_cndmask_b32_e64 v9, v9, v18, s1
	v_cmp_le_u32_e64 s1, s2, v19
	v_subrev_nc_u32_e32 v21, s2, v17
	s_delay_alu instid0(VALU_DEP_2) | instskip(SKIP_2) | instid1(VALU_DEP_2)
	v_cndmask_b32_e64 v18, v19, v20, s1
	v_cmp_le_u32_e64 s1, s2, v17
	v_subrev_nc_u32_e32 v20, s2, v9
	v_cndmask_b32_e64 v19, v17, v21, s1
	v_cmp_le_u32_e64 s1, s2, v2
	v_subrev_nc_u32_e32 v21, s2, v18
	v_lshlrev_b32_e32 v17, 2, v22
	s_delay_alu instid0(VALU_DEP_4) | instskip(NEXT) | instid1(VALU_DEP_4)
	v_subrev_nc_u32_e32 v22, s2, v19
	v_cndmask_b32_e64 v2, v2, v23, s1
	v_cmp_le_u32_e64 s1, s2, v9
	s_delay_alu instid0(VALU_DEP_2) | instskip(NEXT) | instid1(VALU_DEP_2)
	v_subrev_nc_u32_e32 v23, s2, v2
	v_cndmask_b32_e64 v9, v9, v20, s1
	v_cmp_le_u32_e64 s1, s2, v18
	s_delay_alu instid0(VALU_DEP_2) | instskip(NEXT) | instid1(VALU_DEP_2)
	v_and_b32_e32 v9, -2, v9
	v_cndmask_b32_e64 v18, v18, v21, s1
	v_cmp_le_u32_e64 s1, s2, v19
	s_delay_alu instid0(VALU_DEP_2) | instskip(NEXT) | instid1(VALU_DEP_2)
	v_and_b32_e32 v1, -2, v18
	v_cndmask_b32_e64 v19, v19, v22, s1
	v_cmp_le_u32_e64 s1, s2, v2
	v_add_nc_u32_e32 v18, v3, v9
	s_delay_alu instid0(VALU_DEP_4) | instskip(SKIP_1) | instid1(VALU_DEP_4)
	v_add_nc_u32_e32 v20, v3, v1
	v_add_nc_u32_e32 v21, v25, v1
	v_cndmask_b32_e64 v2, v2, v23, s1
	v_and_b32_e32 v23, -2, v19
	v_add_nc_u32_e32 v19, v25, v9
	s_delay_alu instid0(VALU_DEP_3) | instskip(NEXT) | instid1(VALU_DEP_3)
	v_and_b32_e32 v2, -2, v2
	v_add_nc_u32_e32 v22, v3, v23
	v_add_nc_u32_e32 v23, v25, v23
	s_delay_alu instid0(VALU_DEP_3)
	v_add_nc_u32_e32 v24, v3, v2
	v_add_nc_u32_e32 v25, v25, v2
	s_waitcnt vmcnt(1)
	v_lshrrev_b32_e32 v26, 16, v4
	v_lshrrev_b32_e32 v27, 16, v5
	s_waitcnt vmcnt(0)
	v_lshrrev_b32_e32 v28, 16, v6
	v_lshrrev_b32_e32 v29, 16, v7
	s_branch .LBB135_10
.LBB135_9:                              ;   in Loop: Header=BB135_10 Depth=1
	s_or_b32 exec_lo, exec_lo, s2
	v_ashrrev_i32_e32 v9, 31, v8
	v_lshrrev_b32_e32 v2, 16, v33
	v_and_b32_e32 v3, 0xffff0000, v34
	s_add_i32 s4, s4, 1
	v_add_nc_u32_e32 v30, 0x100, v30
	v_lshlrev_b64 v[0:1], 1, v[8:9]
	v_lshrrev_b32_e32 v9, 16, v31
	v_cmp_ge_i32_e64 s1, s4, v11
	v_or_b32_e32 v2, v3, v2
	v_add_nc_u32_e32 v8, 0x80, v8
	v_add_co_u32 v33, s2, s12, v0
	s_delay_alu instid0(VALU_DEP_1)
	v_add_co_ci_u32_e64 v34, s2, s13, v1, s2
	v_and_or_b32 v1, 0xffff0000, v32, v9
	s_or_b32 s3, s1, s3
	global_store_b64 v[33:34], v[1:2], off
	s_and_not1_b32 exec_lo, exec_lo, s3
	s_cbranch_execz .LBB135_28
.LBB135_10:                             ; =>This Inner Loop Header: Depth=1
	ds_load_b64 v[0:1], v30
	s_waitcnt lgkmcnt(0)
	v_lshlrev_b32_e32 v3, 16, v0
	v_and_b32_e32 v2, 0xffff0000, v0
	v_alignbit_b32 v0, v1, v0, 16
	s_delay_alu instid0(VALU_DEP_2) | instskip(NEXT) | instid1(VALU_DEP_2)
	v_dual_mul_f32 v9, v2, v2 :: v_dual_and_b32 v32, 0xffff0000, v1
	v_and_b32_e32 v31, 0xffff0000, v0
	s_delay_alu instid0(VALU_DEP_2) | instskip(NEXT) | instid1(VALU_DEP_1)
	v_fmac_f32_e32 v9, v3, v3
	v_fmac_f32_e32 v9, v31, v31
	s_delay_alu instid0(VALU_DEP_1)
	v_fmac_f32_e32 v9, v32, v32
	ds_bpermute_b32 v0, v12, v9
	s_waitcnt lgkmcnt(0)
	v_add_f32_e32 v0, v9, v0
	ds_bpermute_b32 v1, v13, v0
	s_waitcnt lgkmcnt(0)
	v_add_f32_e32 v0, v0, v1
	;; [unrolled: 3-line block ×5, first 2 shown]
	s_delay_alu instid0(VALU_DEP_1) | instskip(NEXT) | instid1(VALU_DEP_1)
	v_fma_f32 v0, 0x3c000000, v0, s19
	v_mul_f32_e32 v1, 0x4b800000, v0
	v_cmp_gt_f32_e64 s1, 0x800000, v0
	s_delay_alu instid0(VALU_DEP_1) | instskip(SKIP_1) | instid1(VALU_DEP_2)
	v_cndmask_b32_e64 v0, v0, v1, s1
	v_add_nc_u32_e32 v1, s4, v10
	v_rsq_f32_e32 v0, v0
	s_delay_alu instid0(VALU_DEP_1) | instskip(NEXT) | instid1(VALU_DEP_1)
	v_cmp_gt_i32_e64 s2, s16, v1
	v_cndmask_b32_e64 v33, v28, v26, s2
	v_cndmask_b32_e64 v34, v7, v5, s2
	;; [unrolled: 1-line block ×4, first 2 shown]
	s_waitcnt_depctr 0xfff
	v_mul_f32_e32 v9, 0x45800000, v0
	s_delay_alu instid0(VALU_DEP_1) | instskip(SKIP_2) | instid1(VALU_DEP_2)
	v_cndmask_b32_e64 v0, v0, v9, s1
	v_lshlrev_b32_e32 v9, 16, v33
	v_lshlrev_b32_e32 v33, 16, v34
	v_dual_mul_f32 v9, v0, v9 :: v_dual_lshlrev_b32 v34, 16, v35
	s_delay_alu instid0(VALU_DEP_2) | instskip(NEXT) | instid1(VALU_DEP_2)
	v_mul_f32_e32 v33, v0, v33
	v_dual_mul_f32 v34, v0, v34 :: v_dual_lshlrev_b32 v1, 16, v1
	s_delay_alu instid0(VALU_DEP_1) | instskip(NEXT) | instid1(VALU_DEP_1)
	v_mul_f32_e32 v1, v0, v1
	v_mul_f32_e32 v0, v1, v3
	;; [unrolled: 1-line block ×3, first 2 shown]
	s_delay_alu instid0(VALU_DEP_4)
	v_dual_mul_f32 v2, v33, v31 :: v_dual_mul_f32 v3, v34, v32
	s_and_saveexec_b32 s1, vcc_lo
	s_cbranch_execz .LBB135_12
; %bb.11:                               ;   in Loop: Header=BB135_10 Depth=1
	; wave barrier
	ds_load_u16 v31, v18
	ds_load_u16 v32, v19
	ds_bpermute_b32 v33, v17, v1
	ds_load_u16 v34, v20
	ds_load_u16 v35, v21
	ds_bpermute_b32 v9, v17, v0
	ds_bpermute_b32 v36, v17, v2
	ds_load_u16 v37, v23
	ds_bpermute_b32 v38, v17, v3
	ds_load_u16 v39, v25
	ds_load_u16 v40, v22
	;; [unrolled: 1-line block ×3, first 2 shown]
	; wave barrier
	s_waitcnt lgkmcnt(11)
	v_lshlrev_b32_e32 v42, 16, v31
	s_waitcnt lgkmcnt(10)
	v_lshlrev_b32_e32 v31, 16, v32
	s_waitcnt lgkmcnt(9)
	v_cndmask_b32_e64 v32, v33, -v33, s0
	s_waitcnt lgkmcnt(7)
	v_lshlrev_b32_e32 v33, 16, v35
	s_waitcnt lgkmcnt(6)
	v_cndmask_b32_e64 v9, v9, -v9, s0
	s_delay_alu instid0(VALU_DEP_2)
	v_mul_f32_e32 v32, v32, v33
	s_waitcnt lgkmcnt(4)
	v_lshlrev_b32_e32 v35, 16, v37
	s_waitcnt lgkmcnt(2)
	v_lshlrev_b32_e32 v37, 16, v39
	v_lshlrev_b32_e32 v43, 16, v34
	v_cndmask_b32_e64 v34, v36, -v36, s0
	v_cndmask_b32_e64 v36, v38, -v38, s0
	v_mul_f32_e32 v31, v9, v31
	s_delay_alu instid0(VALU_DEP_2) | instskip(SKIP_2) | instid1(VALU_DEP_1)
	v_dual_mul_f32 v33, v34, v35 :: v_dual_mul_f32 v34, v36, v37
	s_waitcnt lgkmcnt(0)
	v_dual_fmac_f32 v32, v1, v43 :: v_dual_lshlrev_b32 v35, 16, v41
	v_dual_fmac_f32 v34, v3, v35 :: v_dual_lshlrev_b32 v9, 16, v40
	s_delay_alu instid0(VALU_DEP_1) | instskip(SKIP_1) | instid1(VALU_DEP_1)
	v_fmac_f32_e32 v33, v2, v9
	v_fmac_f32_e32 v31, v0, v42
	v_dual_mov_b32 v0, v31 :: v_dual_mov_b32 v1, v32
	s_delay_alu instid0(VALU_DEP_3)
	v_dual_mov_b32 v2, v33 :: v_dual_mov_b32 v3, v34
.LBB135_12:                             ;   in Loop: Header=BB135_10 Depth=1
	s_or_b32 exec_lo, exec_lo, s1
	s_delay_alu instid0(VALU_DEP_2) | instskip(NEXT) | instid1(VALU_DEP_1)
	v_and_b32_e32 v9, 0x7f800000, v0
                                        ; implicit-def: $vgpr31
	v_cmp_ne_u32_e64 s1, 0x7f800000, v9
	s_delay_alu instid0(VALU_DEP_1) | instskip(NEXT) | instid1(SALU_CYCLE_1)
	s_and_saveexec_b32 s2, s1
	s_xor_b32 s1, exec_lo, s2
; %bb.13:                               ;   in Loop: Header=BB135_10 Depth=1
	v_bfe_u32 v9, v0, 16, 1
	s_delay_alu instid0(VALU_DEP_1)
	v_add3_u32 v31, v0, v9, 0x7fff
; %bb.14:                               ;   in Loop: Header=BB135_10 Depth=1
	s_and_not1_saveexec_b32 s2, s1
; %bb.15:                               ;   in Loop: Header=BB135_10 Depth=1
	v_and_b32_e32 v9, 0xffff, v0
	v_or_b32_e32 v31, 0x10000, v0
	s_delay_alu instid0(VALU_DEP_2) | instskip(NEXT) | instid1(VALU_DEP_1)
	v_cmp_eq_u32_e64 s1, 0, v9
	v_cndmask_b32_e64 v31, v31, v0, s1
; %bb.16:                               ;   in Loop: Header=BB135_10 Depth=1
	s_or_b32 exec_lo, exec_lo, s2
	v_and_b32_e32 v0, 0x7f800000, v1
                                        ; implicit-def: $vgpr32
	s_delay_alu instid0(VALU_DEP_1) | instskip(NEXT) | instid1(VALU_DEP_1)
	v_cmp_ne_u32_e64 s1, 0x7f800000, v0
	s_and_saveexec_b32 s2, s1
	s_delay_alu instid0(SALU_CYCLE_1)
	s_xor_b32 s1, exec_lo, s2
; %bb.17:                               ;   in Loop: Header=BB135_10 Depth=1
	v_bfe_u32 v0, v1, 16, 1
	s_delay_alu instid0(VALU_DEP_1)
	v_add3_u32 v32, v1, v0, 0x7fff
; %bb.18:                               ;   in Loop: Header=BB135_10 Depth=1
	s_and_not1_saveexec_b32 s2, s1
; %bb.19:                               ;   in Loop: Header=BB135_10 Depth=1
	v_and_b32_e32 v0, 0xffff, v1
	v_or_b32_e32 v9, 0x10000, v1
	s_delay_alu instid0(VALU_DEP_2) | instskip(NEXT) | instid1(VALU_DEP_1)
	v_cmp_eq_u32_e64 s1, 0, v0
	v_cndmask_b32_e64 v32, v9, v1, s1
; %bb.20:                               ;   in Loop: Header=BB135_10 Depth=1
	s_or_b32 exec_lo, exec_lo, s2
	v_and_b32_e32 v0, 0x7f800000, v2
                                        ; implicit-def: $vgpr33
	s_delay_alu instid0(VALU_DEP_1) | instskip(NEXT) | instid1(VALU_DEP_1)
	v_cmp_ne_u32_e64 s1, 0x7f800000, v0
	s_and_saveexec_b32 s2, s1
	s_delay_alu instid0(SALU_CYCLE_1)
	s_xor_b32 s1, exec_lo, s2
; %bb.21:                               ;   in Loop: Header=BB135_10 Depth=1
	v_bfe_u32 v0, v2, 16, 1
	s_delay_alu instid0(VALU_DEP_1)
	v_add3_u32 v33, v2, v0, 0x7fff
; %bb.22:                               ;   in Loop: Header=BB135_10 Depth=1
	s_and_not1_saveexec_b32 s2, s1
; %bb.23:                               ;   in Loop: Header=BB135_10 Depth=1
	v_and_b32_e32 v0, 0xffff, v2
	v_or_b32_e32 v1, 0x10000, v2
	s_delay_alu instid0(VALU_DEP_2) | instskip(NEXT) | instid1(VALU_DEP_1)
	v_cmp_eq_u32_e64 s1, 0, v0
	v_cndmask_b32_e64 v33, v1, v2, s1
; %bb.24:                               ;   in Loop: Header=BB135_10 Depth=1
	s_or_b32 exec_lo, exec_lo, s2
	v_and_b32_e32 v0, 0x7f800000, v3
                                        ; implicit-def: $vgpr34
	s_delay_alu instid0(VALU_DEP_1) | instskip(NEXT) | instid1(VALU_DEP_1)
	v_cmp_ne_u32_e64 s1, 0x7f800000, v0
	s_and_saveexec_b32 s2, s1
	s_delay_alu instid0(SALU_CYCLE_1)
	s_xor_b32 s1, exec_lo, s2
; %bb.25:                               ;   in Loop: Header=BB135_10 Depth=1
	v_bfe_u32 v0, v3, 16, 1
	s_delay_alu instid0(VALU_DEP_1)
	v_add3_u32 v34, v3, v0, 0x7fff
                                        ; implicit-def: $vgpr0_vgpr1_vgpr2_vgpr3
; %bb.26:                               ;   in Loop: Header=BB135_10 Depth=1
	s_and_not1_saveexec_b32 s2, s1
	s_cbranch_execz .LBB135_9
; %bb.27:                               ;   in Loop: Header=BB135_10 Depth=1
	v_and_b32_e32 v0, 0xffff, v3
	v_or_b32_e32 v1, 0x10000, v3
	s_delay_alu instid0(VALU_DEP_2) | instskip(NEXT) | instid1(VALU_DEP_1)
	v_cmp_eq_u32_e64 s1, 0, v0
	v_cndmask_b32_e64 v34, v1, v3, s1
	s_branch .LBB135_9
.LBB135_28:
	s_nop 0
	s_sendmsg sendmsg(MSG_DEALLOC_VGPRS)
	s_endpgm
	.section	.rodata,"a",@progbits
	.p2align	6, 0x0
	.amdhsa_kernel _ZN12tensorrt_llm7kernels32fusedQKNormRopeKernelNTokenHeadsIN3c108BFloat16ES3_Li128ELb0ELi4EEEvPviiifPKvS6_S6_PKlii
		.amdhsa_group_segment_fixed_size 0
		.amdhsa_private_segment_fixed_size 0
		.amdhsa_kernarg_size 320
		.amdhsa_user_sgpr_count 15
		.amdhsa_user_sgpr_dispatch_ptr 0
		.amdhsa_user_sgpr_queue_ptr 0
		.amdhsa_user_sgpr_kernarg_segment_ptr 1
		.amdhsa_user_sgpr_dispatch_id 0
		.amdhsa_user_sgpr_private_segment_size 0
		.amdhsa_wavefront_size32 1
		.amdhsa_uses_dynamic_stack 0
		.amdhsa_enable_private_segment 0
		.amdhsa_system_sgpr_workgroup_id_x 1
		.amdhsa_system_sgpr_workgroup_id_y 0
		.amdhsa_system_sgpr_workgroup_id_z 0
		.amdhsa_system_sgpr_workgroup_info 0
		.amdhsa_system_vgpr_workitem_id 0
		.amdhsa_next_free_vgpr 44
		.amdhsa_next_free_sgpr 21
		.amdhsa_reserve_vcc 1
		.amdhsa_float_round_mode_32 0
		.amdhsa_float_round_mode_16_64 0
		.amdhsa_float_denorm_mode_32 3
		.amdhsa_float_denorm_mode_16_64 3
		.amdhsa_dx10_clamp 1
		.amdhsa_ieee_mode 1
		.amdhsa_fp16_overflow 0
		.amdhsa_workgroup_processor_mode 1
		.amdhsa_memory_ordered 1
		.amdhsa_forward_progress 0
		.amdhsa_shared_vgpr_count 0
		.amdhsa_exception_fp_ieee_invalid_op 0
		.amdhsa_exception_fp_denorm_src 0
		.amdhsa_exception_fp_ieee_div_zero 0
		.amdhsa_exception_fp_ieee_overflow 0
		.amdhsa_exception_fp_ieee_underflow 0
		.amdhsa_exception_fp_ieee_inexact 0
		.amdhsa_exception_int_div_zero 0
	.end_amdhsa_kernel
	.section	.text._ZN12tensorrt_llm7kernels32fusedQKNormRopeKernelNTokenHeadsIN3c108BFloat16ES3_Li128ELb0ELi4EEEvPviiifPKvS6_S6_PKlii,"axG",@progbits,_ZN12tensorrt_llm7kernels32fusedQKNormRopeKernelNTokenHeadsIN3c108BFloat16ES3_Li128ELb0ELi4EEEvPviiifPKvS6_S6_PKlii,comdat
.Lfunc_end135:
	.size	_ZN12tensorrt_llm7kernels32fusedQKNormRopeKernelNTokenHeadsIN3c108BFloat16ES3_Li128ELb0ELi4EEEvPviiifPKvS6_S6_PKlii, .Lfunc_end135-_ZN12tensorrt_llm7kernels32fusedQKNormRopeKernelNTokenHeadsIN3c108BFloat16ES3_Li128ELb0ELi4EEEvPviiifPKvS6_S6_PKlii
                                        ; -- End function
	.section	.AMDGPU.csdata,"",@progbits
; Kernel info:
; codeLenInByte = 2728
; NumSgprs: 23
; NumVgprs: 44
; ScratchSize: 0
; MemoryBound: 0
; FloatMode: 240
; IeeeMode: 1
; LDSByteSize: 0 bytes/workgroup (compile time only)
; SGPRBlocks: 2
; VGPRBlocks: 5
; NumSGPRsForWavesPerEU: 23
; NumVGPRsForWavesPerEU: 44
; Occupancy: 16
; WaveLimiterHint : 0
; COMPUTE_PGM_RSRC2:SCRATCH_EN: 0
; COMPUTE_PGM_RSRC2:USER_SGPR: 15
; COMPUTE_PGM_RSRC2:TRAP_HANDLER: 0
; COMPUTE_PGM_RSRC2:TGID_X_EN: 1
; COMPUTE_PGM_RSRC2:TGID_Y_EN: 0
; COMPUTE_PGM_RSRC2:TGID_Z_EN: 0
; COMPUTE_PGM_RSRC2:TIDIG_COMP_CNT: 0
	.section	.text._ZN12tensorrt_llm7kernels32fusedQKNormRopeKernelNTokenHeadsIN3c108BFloat16ES3_Li256ELb1ELi4EEEvPviiifPKvS6_S6_PKlii,"axG",@progbits,_ZN12tensorrt_llm7kernels32fusedQKNormRopeKernelNTokenHeadsIN3c108BFloat16ES3_Li256ELb1ELi4EEEvPviiifPKvS6_S6_PKlii,comdat
	.protected	_ZN12tensorrt_llm7kernels32fusedQKNormRopeKernelNTokenHeadsIN3c108BFloat16ES3_Li256ELb1ELi4EEEvPviiifPKvS6_S6_PKlii ; -- Begin function _ZN12tensorrt_llm7kernels32fusedQKNormRopeKernelNTokenHeadsIN3c108BFloat16ES3_Li256ELb1ELi4EEEvPviiifPKvS6_S6_PKlii
	.globl	_ZN12tensorrt_llm7kernels32fusedQKNormRopeKernelNTokenHeadsIN3c108BFloat16ES3_Li256ELb1ELi4EEEvPviiifPKvS6_S6_PKlii
	.p2align	8
	.type	_ZN12tensorrt_llm7kernels32fusedQKNormRopeKernelNTokenHeadsIN3c108BFloat16ES3_Li256ELb1ELi4EEEvPviiifPKvS6_S6_PKlii,@function
_ZN12tensorrt_llm7kernels32fusedQKNormRopeKernelNTokenHeadsIN3c108BFloat16ES3_Li256ELb1ELi4EEEvPviiifPKvS6_S6_PKlii: ; @_ZN12tensorrt_llm7kernels32fusedQKNormRopeKernelNTokenHeadsIN3c108BFloat16ES3_Li256ELb1ELi4EEEvPviiifPKvS6_S6_PKlii
; %bb.0:
	s_clause 0x1
	s_load_b128 s[16:19], s[0:1], 0x8
	s_load_b64 s[2:3], s[0:1], 0x38
	v_lshrrev_b32_e32 v2, 5, v0
	s_waitcnt lgkmcnt(0)
	s_add_i32 s4, s17, s16
	s_delay_alu instid0(SALU_CYCLE_1) | instskip(NEXT) | instid1(SALU_CYCLE_1)
	s_add_i32 s5, s4, 3
	s_ashr_i32 s6, s5, 31
	s_delay_alu instid0(SALU_CYCLE_1) | instskip(NEXT) | instid1(SALU_CYCLE_1)
	s_lshr_b32 s6, s6, 30
	s_add_i32 s5, s5, s6
	s_delay_alu instid0(SALU_CYCLE_1) | instskip(SKIP_2) | instid1(SALU_CYCLE_1)
	s_ashr_i32 s14, s5, 2
	s_load_b32 s5, s[0:1], 0x4c
	s_abs_i32 s6, s14
	v_cvt_f32_u32_e32 v1, s6
	s_sub_i32 s7, 0, s6
	s_delay_alu instid0(VALU_DEP_1) | instskip(SKIP_4) | instid1(SALU_CYCLE_1)
	v_rcp_iflag_f32_e32 v1, v1
	s_waitcnt_depctr 0xfff
	v_mul_f32_e32 v1, 0x4f7ffffe, v1
	s_waitcnt lgkmcnt(0)
	s_bfe_u32 s5, s5, 0xb0005
	v_mad_u64_u32 v[3:4], null, s15, s5, v[2:3]
	s_delay_alu instid0(VALU_DEP_2) | instskip(NEXT) | instid1(VALU_DEP_1)
	v_cvt_u32_f32_e32 v1, v1
	v_mul_lo_u32 v5, s7, v1
	s_delay_alu instid0(VALU_DEP_1) | instskip(NEXT) | instid1(VALU_DEP_4)
	v_mul_hi_u32 v4, v1, v5
	v_sub_nc_u32_e32 v5, 0, v3
	s_delay_alu instid0(VALU_DEP_1) | instskip(NEXT) | instid1(VALU_DEP_3)
	v_max_i32_e32 v5, v3, v5
	v_add_nc_u32_e32 v1, v1, v4
	s_delay_alu instid0(VALU_DEP_1) | instskip(NEXT) | instid1(VALU_DEP_1)
	v_mul_hi_u32 v1, v5, v1
	v_mul_lo_u32 v4, v1, s6
	s_delay_alu instid0(VALU_DEP_1) | instskip(SKIP_1) | instid1(VALU_DEP_2)
	v_sub_nc_u32_e32 v4, v5, v4
	v_add_nc_u32_e32 v5, 1, v1
	v_subrev_nc_u32_e32 v6, s6, v4
	v_cmp_le_u32_e32 vcc_lo, s6, v4
	s_delay_alu instid0(VALU_DEP_2) | instskip(SKIP_1) | instid1(VALU_DEP_2)
	v_dual_cndmask_b32 v4, v4, v6 :: v_dual_cndmask_b32 v1, v1, v5
	v_xor_b32_e32 v5, s14, v3
	v_cmp_le_u32_e32 vcc_lo, s6, v4
	s_delay_alu instid0(VALU_DEP_3) | instskip(NEXT) | instid1(VALU_DEP_3)
	v_add_nc_u32_e32 v6, 1, v1
	v_ashrrev_i32_e32 v5, 31, v5
	s_delay_alu instid0(VALU_DEP_2) | instskip(NEXT) | instid1(VALU_DEP_1)
	v_cndmask_b32_e32 v1, v1, v6, vcc_lo
	v_xor_b32_e32 v1, v1, v5
	s_delay_alu instid0(VALU_DEP_1) | instskip(NEXT) | instid1(VALU_DEP_1)
	v_sub_nc_u32_e32 v1, v1, v5
	v_cmp_gt_i32_e32 vcc_lo, s2, v1
	s_and_saveexec_b32 s2, vcc_lo
	s_cbranch_execz .LBB136_44
; %bb.1:
	v_mul_lo_u32 v4, v1, s14
	s_load_b64 s[12:13], s[0:1], 0x0
	v_and_b32_e32 v6, 31, v0
	v_lshlrev_b32_e32 v12, 11, v2
	s_lshl_b32 s20, s3, 1
	s_delay_alu instid0(SALU_CYCLE_1) | instskip(NEXT) | instid1(VALU_DEP_2)
	s_mul_i32 s15, s20, s5
	v_lshlrev_b32_e32 v7, 4, v6
	s_delay_alu instid0(VALU_DEP_4) | instskip(NEXT) | instid1(VALU_DEP_1)
	v_sub_nc_u32_e32 v4, v3, v4
	v_lshlrev_b32_e32 v14, 2, v4
	s_delay_alu instid0(VALU_DEP_1) | instskip(SKIP_1) | instid1(VALU_DEP_2)
	v_add_nc_u32_e32 v4, 4, v14
	v_sub_nc_u32_e32 v5, s4, v14
	v_cmp_lt_i32_e32 vcc_lo, s4, v4
	s_delay_alu instid0(VALU_DEP_2) | instskip(SKIP_1) | instid1(VALU_DEP_2)
	v_cndmask_b32_e32 v15, 4, v5, vcc_lo
	v_lshlrev_b32_e32 v5, 10, v3
	v_cmp_lt_i32_e32 vcc_lo, 0, v15
	s_and_saveexec_b32 s4, vcc_lo
	s_cbranch_execz .LBB136_4
; %bb.2:
	s_add_i32 s2, s18, s17
	s_lshl_b32 s5, s14, 2
	s_add_i32 s2, s2, s16
	s_mov_b32 s6, 0
	s_sub_i32 s2, s2, s5
	s_mov_b32 s5, 0
	v_mul_lo_u32 v3, s2, v1
	s_add_i32 s2, s15, 0
	s_delay_alu instid0(SALU_CYCLE_1) | instskip(NEXT) | instid1(VALU_DEP_2)
	v_add3_u32 v8, s2, v12, v7
	v_lshl_add_u32 v3, v3, 8, v5
	s_delay_alu instid0(VALU_DEP_1)
	v_lshl_or_b32 v3, v6, 3, v3
	.p2align	6
.LBB136_3:                              ; =>This Inner Loop Header: Depth=1
	s_delay_alu instid0(VALU_DEP_1) | instskip(SKIP_1) | instid1(VALU_DEP_1)
	v_ashrrev_i32_e32 v4, 31, v3
	s_add_i32 s6, s6, 1
	v_lshlrev_b64 v[9:10], 1, v[3:4]
	v_add_nc_u32_e32 v3, 0x100, v3
	s_waitcnt lgkmcnt(0)
	s_delay_alu instid0(VALU_DEP_2) | instskip(NEXT) | instid1(VALU_DEP_1)
	v_add_co_u32 v9, s2, s12, v9
	v_add_co_ci_u32_e64 v10, s2, s13, v10, s2
	v_cmp_ge_i32_e64 s2, s6, v15
	global_load_b128 v[16:19], v[9:10], off
	s_or_b32 s5, s2, s5
	s_waitcnt vmcnt(0)
	ds_store_b128 v8, v[16:19]
	v_add_nc_u32_e32 v8, 0x200, v8
	s_and_not1_b32 exec_lo, exec_lo, s5
	s_cbranch_execnz .LBB136_3
.LBB136_4:
	s_or_b32 exec_lo, exec_lo, s4
	s_load_b256 s[4:11], s[0:1], 0x18
	v_mul_lo_u32 v2, v2, s3
	s_add_i32 s0, s20, 15
	s_mov_b32 s20, exec_lo
	s_ashr_i32 s1, s0, 31
	s_delay_alu instid0(SALU_CYCLE_1) | instskip(NEXT) | instid1(SALU_CYCLE_1)
	s_lshr_b32 s1, s1, 28
	s_add_i32 s0, s0, s1
	s_delay_alu instid0(VALU_DEP_1) | instskip(SKIP_1) | instid1(SALU_CYCLE_1)
	v_lshlrev_b32_e32 v4, 1, v2
	s_ashr_i32 s2, s0, 4
	v_cmpx_gt_i32_e64 s2, v6
	s_cbranch_execz .LBB136_7
; %bb.5:
	v_ashrrev_i32_e32 v2, 31, v1
	v_and_b32_e32 v0, 31, v0
	s_delay_alu instid0(VALU_DEP_2) | instskip(NEXT) | instid1(VALU_DEP_2)
	v_lshlrev_b64 v[2:3], 3, v[1:2]
	v_lshlrev_b32_e32 v0, 4, v0
	s_waitcnt lgkmcnt(0)
	s_delay_alu instid0(VALU_DEP_2) | instskip(NEXT) | instid1(VALU_DEP_1)
	v_add_co_u32 v2, s0, s10, v2
	v_add_co_ci_u32_e64 v3, s0, s11, v3, s0
	s_ashr_i32 s0, s3, 31
	global_load_b64 v[2:3], v[2:3], off
	s_waitcnt vmcnt(0)
	v_mul_lo_u32 v3, v3, s3
	v_mul_lo_u32 v10, v2, s0
	v_mad_u64_u32 v[8:9], null, v2, s3, 0
	s_delay_alu instid0(VALU_DEP_1) | instskip(NEXT) | instid1(VALU_DEP_1)
	v_add3_u32 v9, v9, v10, v3
	v_lshlrev_b64 v[2:3], 1, v[8:9]
	v_mov_b32_e32 v8, v6
	s_delay_alu instid0(VALU_DEP_2) | instskip(NEXT) | instid1(VALU_DEP_1)
	v_add_co_u32 v2, s0, v2, v0
	v_add_co_ci_u32_e64 v3, s0, 0, v3, s0
	v_add3_u32 v0, v4, v7, 0
	s_delay_alu instid0(VALU_DEP_3) | instskip(NEXT) | instid1(VALU_DEP_1)
	v_add_co_u32 v2, s0, s8, v2
	v_add_co_ci_u32_e64 v3, s0, s9, v3, s0
	s_mov_b32 s8, 0
	.p2align	6
.LBB136_6:                              ; =>This Inner Loop Header: Depth=1
	global_load_b128 v[16:19], v[2:3], off
	v_add_nc_u32_e32 v8, 32, v8
	v_add_co_u32 v2, s0, 0x200, v2
	s_delay_alu instid0(VALU_DEP_1) | instskip(NEXT) | instid1(VALU_DEP_3)
	v_add_co_ci_u32_e64 v3, s0, 0, v3, s0
	v_cmp_le_i32_e64 s1, s2, v8
	s_delay_alu instid0(VALU_DEP_1)
	s_or_b32 s8, s1, s8
	s_waitcnt vmcnt(0)
	ds_store_b128 v0, v[16:19]
	v_add_nc_u32_e32 v0, 0x200, v0
	s_and_not1_b32 exec_lo, exec_lo, s8
	s_cbranch_execnz .LBB136_6
.LBB136_7:
	s_or_b32 exec_lo, exec_lo, s20
	s_delay_alu instid0(SALU_CYCLE_1)
	s_and_b32 exec_lo, exec_lo, vcc_lo
	s_cbranch_execz .LBB136_44
; %bb.8:
	s_waitcnt lgkmcnt(0)
	s_clause 0x5
	global_load_b32 v16, v7, s[6:7] offset:2
	global_load_b64 v[8:9], v7, s[4:5] offset:8
	global_load_u16 v17, v7, s[4:5]
	global_load_u16 v18, v7, s[6:7]
	global_load_b32 v19, v7, s[4:5] offset:2
	global_load_b64 v[10:11], v7, s[6:7] offset:8
	v_mbcnt_lo_u32_b32 v2, -1, 0
	s_lshr_b32 s0, s3, 31
	s_ashr_i32 s1, s3, 31
	s_add_i32 s0, s3, s0
	s_lshr_b32 s1, s1, 29
	v_add_nc_u32_e32 v3, s15, v12
	v_xor_b32_e32 v12, 16, v2
	v_xor_b32_e32 v13, 8, v2
	v_lshlrev_b32_e32 v0, 3, v6
	v_xor_b32_e32 v22, 4, v2
	v_add3_u32 v21, v3, v7, 0
	v_xor_b32_e32 v23, 2, v2
	s_add_i32 s2, s18, s17
	v_add3_u32 v20, 0, v4, v0
	s_add_i32 s2, s2, s16
	v_xor_b32_e32 v24, 1, v2
	s_clause 0x1
	global_load_d16_hi_b16 v17, v7, s[4:5] offset:6
	global_load_d16_hi_b16 v18, v7, s[6:7] offset:6
	s_and_b32 s5, s0, -2
	s_add_i32 s0, s3, s1
	s_lshl_b32 s4, s14, 2
	s_ashr_i32 s0, s0, 3
	s_sub_i32 s1, s2, s4
	v_cmp_le_i32_e32 vcc_lo, s0, v6
	v_cmp_gt_i32_e64 s0, 32, v12
	v_mul_lo_u32 v1, s1, v1
	s_waitcnt vmcnt(3)
	v_lshrrev_b32_e32 v28, 16, v19
	v_lshrrev_b32_e32 v29, 16, v16
	;; [unrolled: 1-line block ×3, first 2 shown]
	v_cndmask_b32_e64 v3, v2, v12, s0
	v_cmp_gt_i32_e64 s0, 32, v13
	s_waitcnt vmcnt(2)
	v_lshrrev_b32_e32 v31, 16, v10
	v_lshrrev_b32_e32 v32, 16, v9
	v_lshl_add_u32 v1, v1, 8, v5
	v_lshrrev_b32_e32 v35, 16, v11
	v_cndmask_b32_e64 v4, v2, v13, s0
	v_cmp_gt_i32_e64 s0, 32, v22
	s_mov_b32 s2, 0
	v_or_b32_e32 v12, v1, v0
	s_mov_b32 s3, 0
	s_delay_alu instid0(VALU_DEP_2) | instskip(SKIP_2) | instid1(VALU_DEP_3)
	v_cndmask_b32_e64 v6, v2, v22, s0
	v_cmp_gt_i32_e64 s0, 32, v23
	v_add_nc_u32_e32 v22, s5, v20
	v_lshlrev_b32_e32 v25, 2, v6
	s_delay_alu instid0(VALU_DEP_3) | instskip(SKIP_2) | instid1(VALU_DEP_3)
	v_cndmask_b32_e64 v7, v2, v23, s0
	v_cmp_gt_i32_e64 s0, 32, v24
	v_lshlrev_b32_e32 v23, 2, v3
	v_lshlrev_b32_e32 v26, 2, v7
	s_delay_alu instid0(VALU_DEP_3) | instskip(SKIP_1) | instid1(VALU_DEP_2)
	v_cndmask_b32_e64 v2, v2, v24, s0
	v_lshlrev_b32_e32 v24, 2, v4
	v_lshlrev_b32_e32 v27, 2, v2
	s_waitcnt vmcnt(1)
	v_lshrrev_b32_e32 v33, 16, v17
	s_waitcnt vmcnt(0)
	v_lshrrev_b32_e32 v34, 16, v18
	s_branch .LBB136_10
.LBB136_9:                              ;   in Loop: Header=BB136_10 Depth=1
	s_or_b32 exec_lo, exec_lo, s1
	v_ashrrev_i32_e32 v13, 31, v12
	s_delay_alu instid0(VALU_DEP_2)
	v_perm_b32 v5, v6, v5, 0x7060302
	s_add_i32 s3, s3, 1
	v_perm_b32 v4, v4, v3, 0x7060302
	v_perm_b32 v3, v2, v1, 0x7060302
	v_lshlrev_b64 v[6:7], 1, v[12:13]
	v_perm_b32 v2, v0, v39, 0x7060302
	v_cmp_ge_i32_e64 s0, s3, v15
	v_add_nc_u32_e32 v12, 0x100, v12
	v_add_nc_u32_e32 v21, 0x200, v21
	v_add_co_u32 v0, s1, s12, v6
	s_delay_alu instid0(VALU_DEP_1)
	v_add_co_ci_u32_e64 v1, s1, s13, v7, s1
	s_or_b32 s2, s0, s2
	global_store_b128 v[0:1], v[2:5], off
	s_and_not1_b32 exec_lo, exec_lo, s2
	s_cbranch_execz .LBB136_44
.LBB136_10:                             ; =>This Inner Loop Header: Depth=1
	ds_load_b128 v[0:3], v21
	v_add_nc_u32_e32 v37, s3, v14
	s_delay_alu instid0(VALU_DEP_1) | instskip(NEXT) | instid1(VALU_DEP_1)
	v_cmp_gt_i32_e64 s1, s16, v37
	v_cndmask_b32_e64 v38, v34, v33, s1
	v_cndmask_b32_e64 v39, v18, v17, s1
	;; [unrolled: 1-line block ×6, first 2 shown]
	v_lshlrev_b32_e32 v39, 16, v39
	v_lshlrev_b32_e32 v38, 16, v38
	;; [unrolled: 1-line block ×3, first 2 shown]
	s_waitcnt lgkmcnt(0)
	v_lshlrev_b32_e32 v6, 16, v1
	v_and_b32_e32 v4, 0xffff0000, v0
	v_and_b32_e32 v1, 0xffff0000, v1
	v_lshlrev_b32_e32 v0, 16, v0
	v_lshlrev_b32_e32 v7, 16, v2
	s_delay_alu instid0(VALU_DEP_4) | instskip(SKIP_3) | instid1(VALU_DEP_4)
	v_dual_mul_f32 v5, v4, v4 :: v_dual_and_b32 v2, 0xffff0000, v2
	v_cndmask_b32_e64 v44, v11, v9, s1
	v_lshlrev_b32_e32 v37, 16, v37
	v_lshlrev_b32_e32 v40, 16, v40
	v_dual_fmac_f32 v5, v0, v0 :: v_dual_lshlrev_b32 v42, 16, v42
	s_delay_alu instid0(VALU_DEP_1) | instskip(NEXT) | instid1(VALU_DEP_1)
	v_fmac_f32_e32 v5, v6, v6
	v_fmac_f32_e32 v5, v1, v1
	s_delay_alu instid0(VALU_DEP_1) | instskip(SKIP_2) | instid1(VALU_DEP_3)
	v_fmac_f32_e32 v5, v7, v7
	v_lshlrev_b32_e32 v36, 16, v3
	v_and_b32_e32 v3, 0xffff0000, v3
	v_fmac_f32_e32 v5, v2, v2
	s_delay_alu instid0(VALU_DEP_1) | instskip(NEXT) | instid1(VALU_DEP_1)
	v_fmac_f32_e32 v5, v36, v36
	v_fmac_f32_e32 v5, v3, v3
	ds_bpermute_b32 v13, v23, v5
	s_waitcnt lgkmcnt(0)
	v_add_f32_e32 v5, v5, v13
	ds_bpermute_b32 v13, v24, v5
	s_waitcnt lgkmcnt(0)
	v_add_f32_e32 v5, v5, v13
	;; [unrolled: 3-line block ×5, first 2 shown]
	s_delay_alu instid0(VALU_DEP_1) | instskip(NEXT) | instid1(VALU_DEP_1)
	v_fma_f32 v5, 0x3b800000, v5, s19
	v_mul_f32_e32 v13, 0x4b800000, v5
	v_cmp_gt_f32_e64 s0, 0x800000, v5
	s_delay_alu instid0(VALU_DEP_1) | instskip(SKIP_1) | instid1(VALU_DEP_2)
	v_cndmask_b32_e64 v5, v5, v13, s0
	v_cndmask_b32_e64 v13, v29, v28, s1
	v_rsq_f32_e32 v5, v5
	s_delay_alu instid0(VALU_DEP_1) | instskip(SKIP_2) | instid1(VALU_DEP_1)
	v_lshlrev_b32_e32 v13, 16, v13
	s_waitcnt_depctr 0xfff
	v_mul_f32_e32 v43, 0x45800000, v5
	v_cndmask_b32_e64 v5, v5, v43, s0
	v_lshlrev_b32_e32 v43, 16, v44
	s_delay_alu instid0(VALU_DEP_2)
	v_mul_f32_e32 v39, v5, v39
	v_mul_f32_e32 v38, v5, v38
	;; [unrolled: 1-line block ×7, first 2 shown]
	v_dual_mul_f32 v5, v5, v42 :: v_dual_mul_f32 v40, v38, v1
	v_dual_mul_f32 v0, v39, v0 :: v_dual_mul_f32 v41, v13, v6
	s_delay_alu instid0(VALU_DEP_3) | instskip(SKIP_4) | instid1(SALU_CYCLE_1)
	v_mul_f32_e32 v36, v43, v36
	v_mul_f32_e32 v42, v37, v4
	v_dual_mul_f32 v37, v45, v2 :: v_dual_mul_f32 v38, v44, v7
	v_mul_f32_e32 v13, v5, v3
	s_and_saveexec_b32 s0, vcc_lo
	s_xor_b32 s0, exec_lo, s0
	s_delay_alu instid0(SALU_CYCLE_1)
	s_and_not1_saveexec_b32 s0, s0
	s_cbranch_execz .LBB136_12
; %bb.11:                               ;   in Loop: Header=BB136_10 Depth=1
	ds_load_b64 v[1:2], v20
	ds_load_b64 v[3:4], v22
	s_waitcnt lgkmcnt(0)
	v_lshlrev_b32_e32 v39, 16, v4
	v_and_b32_e32 v4, 0xffff0000, v4
	v_lshlrev_b32_e32 v7, 16, v2
	v_and_b32_e32 v2, 0xffff0000, v2
	v_and_b32_e32 v6, 0xffff0000, v3
	s_delay_alu instid0(VALU_DEP_4) | instskip(NEXT) | instid1(VALU_DEP_3)
	v_mul_f32_e32 v46, v13, v4
	v_mul_f32_e32 v13, v13, v2
	s_delay_alu instid0(VALU_DEP_3)
	v_dual_mul_f32 v44, v40, v6 :: v_dual_and_b32 v5, 0xffff0000, v1
	v_lshlrev_b32_e32 v1, 16, v1
	v_mul_f32_e32 v45, v41, v6
	v_mul_f32_e32 v6, v37, v39
	v_lshlrev_b32_e32 v3, 16, v3
	v_mul_f32_e32 v37, v37, v7
	v_fma_f32 v41, v41, v5, -v44
	v_fmac_f32_e32 v13, v36, v4
	s_delay_alu instid0(VALU_DEP_4) | instskip(SKIP_1) | instid1(VALU_DEP_2)
	v_mul_f32_e32 v43, v42, v3
	v_mul_f32_e32 v42, v42, v1
	v_fma_f32 v1, v0, v1, -v43
	v_fmac_f32_e32 v45, v40, v5
	v_fma_f32 v43, v38, v7, -v6
	s_delay_alu instid0(VALU_DEP_4)
	v_fmac_f32_e32 v42, v0, v3
	v_fmac_f32_e32 v37, v38, v39
	v_fma_f32 v39, v36, v2, -v46
	v_mov_b32_e32 v0, v1
	v_dual_mov_b32 v1, v2 :: v_dual_mov_b32 v40, v45
	v_mov_b32_e32 v2, v3
	v_dual_mov_b32 v3, v4 :: v_dual_mov_b32 v38, v43
	;; [unrolled: 2-line block ×3, first 2 shown]
	v_mov_b32_e32 v6, v7
	v_mov_b32_e32 v7, v8
.LBB136_12:                             ;   in Loop: Header=BB136_10 Depth=1
	s_or_b32 exec_lo, exec_lo, s0
	v_and_b32_e32 v1, 0x7f800000, v0
                                        ; implicit-def: $vgpr39
	s_delay_alu instid0(VALU_DEP_1) | instskip(NEXT) | instid1(VALU_DEP_1)
	v_cmp_ne_u32_e64 s0, 0x7f800000, v1
	s_and_saveexec_b32 s1, s0
	s_delay_alu instid0(SALU_CYCLE_1)
	s_xor_b32 s0, exec_lo, s1
; %bb.13:                               ;   in Loop: Header=BB136_10 Depth=1
	v_bfe_u32 v1, v0, 16, 1
	s_delay_alu instid0(VALU_DEP_1)
	v_add3_u32 v39, v0, v1, 0x7fff
                                        ; implicit-def: $vgpr0_vgpr1_vgpr2_vgpr3_vgpr4_vgpr5_vgpr6_vgpr7
; %bb.14:                               ;   in Loop: Header=BB136_10 Depth=1
	s_and_not1_saveexec_b32 s1, s0
; %bb.15:                               ;   in Loop: Header=BB136_10 Depth=1
	v_and_b32_e32 v1, 0xffff, v0
	v_or_b32_e32 v2, 0x10000, v0
	s_delay_alu instid0(VALU_DEP_2) | instskip(NEXT) | instid1(VALU_DEP_1)
	v_cmp_eq_u32_e64 s0, 0, v1
	v_cndmask_b32_e64 v39, v2, v0, s0
; %bb.16:                               ;   in Loop: Header=BB136_10 Depth=1
	s_or_b32 exec_lo, exec_lo, s1
	v_and_b32_e32 v0, 0x7f800000, v42
	s_delay_alu instid0(VALU_DEP_1) | instskip(NEXT) | instid1(VALU_DEP_1)
	v_cmp_ne_u32_e64 s0, 0x7f800000, v0
                                        ; implicit-def: $vgpr0
	s_and_saveexec_b32 s1, s0
	s_delay_alu instid0(SALU_CYCLE_1)
	s_xor_b32 s0, exec_lo, s1
; %bb.17:                               ;   in Loop: Header=BB136_10 Depth=1
	v_bfe_u32 v0, v42, 16, 1
	s_delay_alu instid0(VALU_DEP_1)
	v_add3_u32 v0, v42, v0, 0x7fff
                                        ; implicit-def: $vgpr42
; %bb.18:                               ;   in Loop: Header=BB136_10 Depth=1
	s_and_not1_saveexec_b32 s1, s0
; %bb.19:                               ;   in Loop: Header=BB136_10 Depth=1
	v_and_b32_e32 v0, 0xffff, v42
	v_or_b32_e32 v1, 0x10000, v42
	s_delay_alu instid0(VALU_DEP_2) | instskip(NEXT) | instid1(VALU_DEP_1)
	v_cmp_eq_u32_e64 s0, 0, v0
	v_cndmask_b32_e64 v0, v1, v42, s0
; %bb.20:                               ;   in Loop: Header=BB136_10 Depth=1
	s_or_b32 exec_lo, exec_lo, s1
	v_and_b32_e32 v1, 0x7f800000, v41
	s_delay_alu instid0(VALU_DEP_1) | instskip(NEXT) | instid1(VALU_DEP_1)
	v_cmp_ne_u32_e64 s0, 0x7f800000, v1
                                        ; implicit-def: $vgpr1
	s_and_saveexec_b32 s1, s0
	s_delay_alu instid0(SALU_CYCLE_1)
	s_xor_b32 s0, exec_lo, s1
; %bb.21:                               ;   in Loop: Header=BB136_10 Depth=1
	v_bfe_u32 v1, v41, 16, 1
	s_delay_alu instid0(VALU_DEP_1)
	v_add3_u32 v1, v41, v1, 0x7fff
                                        ; implicit-def: $vgpr41
; %bb.22:                               ;   in Loop: Header=BB136_10 Depth=1
	s_and_not1_saveexec_b32 s1, s0
; %bb.23:                               ;   in Loop: Header=BB136_10 Depth=1
	v_and_b32_e32 v1, 0xffff, v41
	v_or_b32_e32 v2, 0x10000, v41
	s_delay_alu instid0(VALU_DEP_2) | instskip(NEXT) | instid1(VALU_DEP_1)
	v_cmp_eq_u32_e64 s0, 0, v1
	v_cndmask_b32_e64 v1, v2, v41, s0
; %bb.24:                               ;   in Loop: Header=BB136_10 Depth=1
	s_or_b32 exec_lo, exec_lo, s1
	v_and_b32_e32 v2, 0x7f800000, v40
	s_delay_alu instid0(VALU_DEP_1) | instskip(NEXT) | instid1(VALU_DEP_1)
	v_cmp_ne_u32_e64 s0, 0x7f800000, v2
                                        ; implicit-def: $vgpr2
	s_and_saveexec_b32 s1, s0
	s_delay_alu instid0(SALU_CYCLE_1)
	s_xor_b32 s0, exec_lo, s1
; %bb.25:                               ;   in Loop: Header=BB136_10 Depth=1
	v_bfe_u32 v2, v40, 16, 1
	s_delay_alu instid0(VALU_DEP_1)
	v_add3_u32 v2, v40, v2, 0x7fff
                                        ; implicit-def: $vgpr40
; %bb.26:                               ;   in Loop: Header=BB136_10 Depth=1
	s_and_not1_saveexec_b32 s1, s0
; %bb.27:                               ;   in Loop: Header=BB136_10 Depth=1
	v_and_b32_e32 v2, 0xffff, v40
	v_or_b32_e32 v3, 0x10000, v40
	s_delay_alu instid0(VALU_DEP_2) | instskip(NEXT) | instid1(VALU_DEP_1)
	v_cmp_eq_u32_e64 s0, 0, v2
	v_cndmask_b32_e64 v2, v3, v40, s0
; %bb.28:                               ;   in Loop: Header=BB136_10 Depth=1
	s_or_b32 exec_lo, exec_lo, s1
	v_and_b32_e32 v3, 0x7f800000, v38
	s_delay_alu instid0(VALU_DEP_1) | instskip(NEXT) | instid1(VALU_DEP_1)
	v_cmp_ne_u32_e64 s0, 0x7f800000, v3
                                        ; implicit-def: $vgpr3
	s_and_saveexec_b32 s1, s0
	s_delay_alu instid0(SALU_CYCLE_1)
	s_xor_b32 s0, exec_lo, s1
; %bb.29:                               ;   in Loop: Header=BB136_10 Depth=1
	v_bfe_u32 v3, v38, 16, 1
	s_delay_alu instid0(VALU_DEP_1)
	v_add3_u32 v3, v38, v3, 0x7fff
                                        ; implicit-def: $vgpr38
; %bb.30:                               ;   in Loop: Header=BB136_10 Depth=1
	s_and_not1_saveexec_b32 s1, s0
; %bb.31:                               ;   in Loop: Header=BB136_10 Depth=1
	v_and_b32_e32 v3, 0xffff, v38
	v_or_b32_e32 v4, 0x10000, v38
	s_delay_alu instid0(VALU_DEP_2) | instskip(NEXT) | instid1(VALU_DEP_1)
	v_cmp_eq_u32_e64 s0, 0, v3
	v_cndmask_b32_e64 v3, v4, v38, s0
; %bb.32:                               ;   in Loop: Header=BB136_10 Depth=1
	s_or_b32 exec_lo, exec_lo, s1
	v_and_b32_e32 v4, 0x7f800000, v37
	s_delay_alu instid0(VALU_DEP_1) | instskip(NEXT) | instid1(VALU_DEP_1)
	v_cmp_ne_u32_e64 s0, 0x7f800000, v4
                                        ; implicit-def: $vgpr4
	s_and_saveexec_b32 s1, s0
	s_delay_alu instid0(SALU_CYCLE_1)
	s_xor_b32 s0, exec_lo, s1
; %bb.33:                               ;   in Loop: Header=BB136_10 Depth=1
	v_bfe_u32 v4, v37, 16, 1
	s_delay_alu instid0(VALU_DEP_1)
	v_add3_u32 v4, v37, v4, 0x7fff
                                        ; implicit-def: $vgpr37
; %bb.34:                               ;   in Loop: Header=BB136_10 Depth=1
	s_and_not1_saveexec_b32 s1, s0
; %bb.35:                               ;   in Loop: Header=BB136_10 Depth=1
	v_and_b32_e32 v4, 0xffff, v37
	v_or_b32_e32 v5, 0x10000, v37
	s_delay_alu instid0(VALU_DEP_2) | instskip(NEXT) | instid1(VALU_DEP_1)
	v_cmp_eq_u32_e64 s0, 0, v4
	v_cndmask_b32_e64 v4, v5, v37, s0
; %bb.36:                               ;   in Loop: Header=BB136_10 Depth=1
	s_or_b32 exec_lo, exec_lo, s1
	v_and_b32_e32 v5, 0x7f800000, v36
	s_delay_alu instid0(VALU_DEP_1) | instskip(NEXT) | instid1(VALU_DEP_1)
	v_cmp_ne_u32_e64 s0, 0x7f800000, v5
                                        ; implicit-def: $vgpr5
	s_and_saveexec_b32 s1, s0
	s_delay_alu instid0(SALU_CYCLE_1)
	s_xor_b32 s0, exec_lo, s1
; %bb.37:                               ;   in Loop: Header=BB136_10 Depth=1
	v_bfe_u32 v5, v36, 16, 1
	s_delay_alu instid0(VALU_DEP_1)
	v_add3_u32 v5, v36, v5, 0x7fff
                                        ; implicit-def: $vgpr36
; %bb.38:                               ;   in Loop: Header=BB136_10 Depth=1
	s_and_not1_saveexec_b32 s1, s0
; %bb.39:                               ;   in Loop: Header=BB136_10 Depth=1
	v_and_b32_e32 v5, 0xffff, v36
	v_or_b32_e32 v6, 0x10000, v36
	s_delay_alu instid0(VALU_DEP_2) | instskip(NEXT) | instid1(VALU_DEP_1)
	v_cmp_eq_u32_e64 s0, 0, v5
	v_cndmask_b32_e64 v5, v6, v36, s0
; %bb.40:                               ;   in Loop: Header=BB136_10 Depth=1
	s_or_b32 exec_lo, exec_lo, s1
	v_and_b32_e32 v6, 0x7f800000, v13
	s_delay_alu instid0(VALU_DEP_1) | instskip(NEXT) | instid1(VALU_DEP_1)
	v_cmp_ne_u32_e64 s0, 0x7f800000, v6
                                        ; implicit-def: $vgpr6
	s_and_saveexec_b32 s1, s0
	s_delay_alu instid0(SALU_CYCLE_1)
	s_xor_b32 s0, exec_lo, s1
; %bb.41:                               ;   in Loop: Header=BB136_10 Depth=1
	v_bfe_u32 v6, v13, 16, 1
	s_delay_alu instid0(VALU_DEP_1)
	v_add3_u32 v6, v13, v6, 0x7fff
                                        ; implicit-def: $vgpr13
; %bb.42:                               ;   in Loop: Header=BB136_10 Depth=1
	s_and_not1_saveexec_b32 s1, s0
	s_cbranch_execz .LBB136_9
; %bb.43:                               ;   in Loop: Header=BB136_10 Depth=1
	v_and_b32_e32 v6, 0xffff, v13
	v_or_b32_e32 v7, 0x10000, v13
	s_delay_alu instid0(VALU_DEP_2) | instskip(NEXT) | instid1(VALU_DEP_1)
	v_cmp_eq_u32_e64 s0, 0, v6
	v_cndmask_b32_e64 v6, v7, v13, s0
	s_branch .LBB136_9
.LBB136_44:
	s_nop 0
	s_sendmsg sendmsg(MSG_DEALLOC_VGPRS)
	s_endpgm
	.section	.rodata,"a",@progbits
	.p2align	6, 0x0
	.amdhsa_kernel _ZN12tensorrt_llm7kernels32fusedQKNormRopeKernelNTokenHeadsIN3c108BFloat16ES3_Li256ELb1ELi4EEEvPviiifPKvS6_S6_PKlii
		.amdhsa_group_segment_fixed_size 0
		.amdhsa_private_segment_fixed_size 0
		.amdhsa_kernarg_size 320
		.amdhsa_user_sgpr_count 15
		.amdhsa_user_sgpr_dispatch_ptr 0
		.amdhsa_user_sgpr_queue_ptr 0
		.amdhsa_user_sgpr_kernarg_segment_ptr 1
		.amdhsa_user_sgpr_dispatch_id 0
		.amdhsa_user_sgpr_private_segment_size 0
		.amdhsa_wavefront_size32 1
		.amdhsa_uses_dynamic_stack 0
		.amdhsa_enable_private_segment 0
		.amdhsa_system_sgpr_workgroup_id_x 1
		.amdhsa_system_sgpr_workgroup_id_y 0
		.amdhsa_system_sgpr_workgroup_id_z 0
		.amdhsa_system_sgpr_workgroup_info 0
		.amdhsa_system_vgpr_workitem_id 0
		.amdhsa_next_free_vgpr 47
		.amdhsa_next_free_sgpr 21
		.amdhsa_reserve_vcc 1
		.amdhsa_float_round_mode_32 0
		.amdhsa_float_round_mode_16_64 0
		.amdhsa_float_denorm_mode_32 3
		.amdhsa_float_denorm_mode_16_64 3
		.amdhsa_dx10_clamp 1
		.amdhsa_ieee_mode 1
		.amdhsa_fp16_overflow 0
		.amdhsa_workgroup_processor_mode 1
		.amdhsa_memory_ordered 1
		.amdhsa_forward_progress 0
		.amdhsa_shared_vgpr_count 0
		.amdhsa_exception_fp_ieee_invalid_op 0
		.amdhsa_exception_fp_denorm_src 0
		.amdhsa_exception_fp_ieee_div_zero 0
		.amdhsa_exception_fp_ieee_overflow 0
		.amdhsa_exception_fp_ieee_underflow 0
		.amdhsa_exception_fp_ieee_inexact 0
		.amdhsa_exception_int_div_zero 0
	.end_amdhsa_kernel
	.section	.text._ZN12tensorrt_llm7kernels32fusedQKNormRopeKernelNTokenHeadsIN3c108BFloat16ES3_Li256ELb1ELi4EEEvPviiifPKvS6_S6_PKlii,"axG",@progbits,_ZN12tensorrt_llm7kernels32fusedQKNormRopeKernelNTokenHeadsIN3c108BFloat16ES3_Li256ELb1ELi4EEEvPviiifPKvS6_S6_PKlii,comdat
.Lfunc_end136:
	.size	_ZN12tensorrt_llm7kernels32fusedQKNormRopeKernelNTokenHeadsIN3c108BFloat16ES3_Li256ELb1ELi4EEEvPviiifPKvS6_S6_PKlii, .Lfunc_end136-_ZN12tensorrt_llm7kernels32fusedQKNormRopeKernelNTokenHeadsIN3c108BFloat16ES3_Li256ELb1ELi4EEEvPviiifPKvS6_S6_PKlii
                                        ; -- End function
	.section	.AMDGPU.csdata,"",@progbits
; Kernel info:
; codeLenInByte = 2896
; NumSgprs: 23
; NumVgprs: 47
; ScratchSize: 0
; MemoryBound: 0
; FloatMode: 240
; IeeeMode: 1
; LDSByteSize: 0 bytes/workgroup (compile time only)
; SGPRBlocks: 2
; VGPRBlocks: 5
; NumSGPRsForWavesPerEU: 23
; NumVGPRsForWavesPerEU: 47
; Occupancy: 16
; WaveLimiterHint : 0
; COMPUTE_PGM_RSRC2:SCRATCH_EN: 0
; COMPUTE_PGM_RSRC2:USER_SGPR: 15
; COMPUTE_PGM_RSRC2:TRAP_HANDLER: 0
; COMPUTE_PGM_RSRC2:TGID_X_EN: 1
; COMPUTE_PGM_RSRC2:TGID_Y_EN: 0
; COMPUTE_PGM_RSRC2:TGID_Z_EN: 0
; COMPUTE_PGM_RSRC2:TIDIG_COMP_CNT: 0
	.section	.text._ZN12tensorrt_llm7kernels32fusedQKNormRopeKernelNTokenHeadsIN3c108BFloat16ES3_Li256ELb0ELi4EEEvPviiifPKvS6_S6_PKlii,"axG",@progbits,_ZN12tensorrt_llm7kernels32fusedQKNormRopeKernelNTokenHeadsIN3c108BFloat16ES3_Li256ELb0ELi4EEEvPviiifPKvS6_S6_PKlii,comdat
	.protected	_ZN12tensorrt_llm7kernels32fusedQKNormRopeKernelNTokenHeadsIN3c108BFloat16ES3_Li256ELb0ELi4EEEvPviiifPKvS6_S6_PKlii ; -- Begin function _ZN12tensorrt_llm7kernels32fusedQKNormRopeKernelNTokenHeadsIN3c108BFloat16ES3_Li256ELb0ELi4EEEvPviiifPKvS6_S6_PKlii
	.globl	_ZN12tensorrt_llm7kernels32fusedQKNormRopeKernelNTokenHeadsIN3c108BFloat16ES3_Li256ELb0ELi4EEEvPviiifPKvS6_S6_PKlii
	.p2align	8
	.type	_ZN12tensorrt_llm7kernels32fusedQKNormRopeKernelNTokenHeadsIN3c108BFloat16ES3_Li256ELb0ELi4EEEvPviiifPKvS6_S6_PKlii,@function
_ZN12tensorrt_llm7kernels32fusedQKNormRopeKernelNTokenHeadsIN3c108BFloat16ES3_Li256ELb0ELi4EEEvPviiifPKvS6_S6_PKlii: ; @_ZN12tensorrt_llm7kernels32fusedQKNormRopeKernelNTokenHeadsIN3c108BFloat16ES3_Li256ELb0ELi4EEEvPviiifPKvS6_S6_PKlii
; %bb.0:
	s_clause 0x1
	s_load_b128 s[16:19], s[0:1], 0x8
	s_load_b64 s[2:3], s[0:1], 0x38
	v_lshrrev_b32_e32 v2, 5, v0
	s_waitcnt lgkmcnt(0)
	s_add_i32 s4, s17, s16
	s_delay_alu instid0(SALU_CYCLE_1) | instskip(NEXT) | instid1(SALU_CYCLE_1)
	s_add_i32 s5, s4, 3
	s_ashr_i32 s6, s5, 31
	s_delay_alu instid0(SALU_CYCLE_1) | instskip(NEXT) | instid1(SALU_CYCLE_1)
	s_lshr_b32 s6, s6, 30
	s_add_i32 s5, s5, s6
	s_delay_alu instid0(SALU_CYCLE_1) | instskip(SKIP_2) | instid1(SALU_CYCLE_1)
	s_ashr_i32 s14, s5, 2
	s_load_b32 s5, s[0:1], 0x4c
	s_abs_i32 s6, s14
	v_cvt_f32_u32_e32 v1, s6
	s_sub_i32 s7, 0, s6
	s_delay_alu instid0(VALU_DEP_1) | instskip(SKIP_4) | instid1(SALU_CYCLE_1)
	v_rcp_iflag_f32_e32 v1, v1
	s_waitcnt_depctr 0xfff
	v_mul_f32_e32 v1, 0x4f7ffffe, v1
	s_waitcnt lgkmcnt(0)
	s_bfe_u32 s5, s5, 0xb0005
	v_mad_u64_u32 v[3:4], null, s15, s5, v[2:3]
	s_delay_alu instid0(VALU_DEP_2) | instskip(NEXT) | instid1(VALU_DEP_1)
	v_cvt_u32_f32_e32 v1, v1
	v_mul_lo_u32 v5, s7, v1
	s_delay_alu instid0(VALU_DEP_1) | instskip(NEXT) | instid1(VALU_DEP_4)
	v_mul_hi_u32 v4, v1, v5
	v_sub_nc_u32_e32 v5, 0, v3
	s_delay_alu instid0(VALU_DEP_1) | instskip(NEXT) | instid1(VALU_DEP_3)
	v_max_i32_e32 v5, v3, v5
	v_add_nc_u32_e32 v1, v1, v4
	s_delay_alu instid0(VALU_DEP_1) | instskip(NEXT) | instid1(VALU_DEP_1)
	v_mul_hi_u32 v1, v5, v1
	v_mul_lo_u32 v4, v1, s6
	s_delay_alu instid0(VALU_DEP_1) | instskip(SKIP_1) | instid1(VALU_DEP_2)
	v_sub_nc_u32_e32 v4, v5, v4
	v_add_nc_u32_e32 v5, 1, v1
	v_subrev_nc_u32_e32 v6, s6, v4
	v_cmp_le_u32_e32 vcc_lo, s6, v4
	s_delay_alu instid0(VALU_DEP_2) | instskip(SKIP_1) | instid1(VALU_DEP_2)
	v_dual_cndmask_b32 v4, v4, v6 :: v_dual_cndmask_b32 v1, v1, v5
	v_xor_b32_e32 v5, s14, v3
	v_cmp_le_u32_e32 vcc_lo, s6, v4
	s_delay_alu instid0(VALU_DEP_3) | instskip(NEXT) | instid1(VALU_DEP_3)
	v_add_nc_u32_e32 v6, 1, v1
	v_ashrrev_i32_e32 v5, 31, v5
	s_delay_alu instid0(VALU_DEP_2) | instskip(NEXT) | instid1(VALU_DEP_1)
	v_cndmask_b32_e32 v1, v1, v6, vcc_lo
	v_xor_b32_e32 v1, v1, v5
	s_delay_alu instid0(VALU_DEP_1) | instskip(NEXT) | instid1(VALU_DEP_1)
	v_sub_nc_u32_e32 v1, v1, v5
	v_cmp_gt_i32_e32 vcc_lo, s2, v1
	s_and_saveexec_b32 s2, vcc_lo
	s_cbranch_execz .LBB137_44
; %bb.1:
	v_mul_lo_u32 v4, v1, s14
	s_load_b64 s[12:13], s[0:1], 0x0
	v_and_b32_e32 v6, 31, v0
	v_lshlrev_b32_e32 v16, 11, v2
	v_lshlrev_b32_e32 v7, 10, v3
	s_lshl_b32 s20, s3, 1
	s_delay_alu instid0(SALU_CYCLE_1) | instskip(NEXT) | instid1(VALU_DEP_4)
	s_mul_i32 s15, s20, s5
	v_sub_nc_u32_e32 v4, v3, v4
	s_delay_alu instid0(VALU_DEP_1) | instskip(NEXT) | instid1(VALU_DEP_1)
	v_lshlrev_b32_e32 v18, 2, v4
	v_add_nc_u32_e32 v4, 4, v18
	v_sub_nc_u32_e32 v5, s4, v18
	s_delay_alu instid0(VALU_DEP_2) | instskip(NEXT) | instid1(VALU_DEP_2)
	v_cmp_lt_i32_e32 vcc_lo, s4, v4
	v_cndmask_b32_e32 v19, 4, v5, vcc_lo
	v_lshlrev_b32_e32 v5, 4, v6
	s_delay_alu instid0(VALU_DEP_2)
	v_cmp_lt_i32_e32 vcc_lo, 0, v19
	s_and_saveexec_b32 s4, vcc_lo
	s_cbranch_execz .LBB137_4
; %bb.2:
	s_add_i32 s2, s18, s17
	s_lshl_b32 s5, s14, 2
	s_add_i32 s2, s2, s16
	s_mov_b32 s6, 0
	s_sub_i32 s2, s2, s5
	s_mov_b32 s5, 0
	v_mul_lo_u32 v3, s2, v1
	s_add_i32 s2, s15, 0
	s_delay_alu instid0(SALU_CYCLE_1) | instskip(NEXT) | instid1(VALU_DEP_2)
	v_add3_u32 v8, s2, v16, v5
	v_lshl_add_u32 v3, v3, 8, v7
	s_delay_alu instid0(VALU_DEP_1)
	v_lshl_or_b32 v3, v6, 3, v3
	.p2align	6
.LBB137_3:                              ; =>This Inner Loop Header: Depth=1
	s_delay_alu instid0(VALU_DEP_1) | instskip(SKIP_1) | instid1(VALU_DEP_1)
	v_ashrrev_i32_e32 v4, 31, v3
	s_add_i32 s6, s6, 1
	v_lshlrev_b64 v[9:10], 1, v[3:4]
	v_add_nc_u32_e32 v3, 0x100, v3
	s_waitcnt lgkmcnt(0)
	s_delay_alu instid0(VALU_DEP_2) | instskip(NEXT) | instid1(VALU_DEP_1)
	v_add_co_u32 v9, s2, s12, v9
	v_add_co_ci_u32_e64 v10, s2, s13, v10, s2
	v_cmp_ge_i32_e64 s2, s6, v19
	global_load_b128 v[9:12], v[9:10], off
	s_or_b32 s5, s2, s5
	s_waitcnt vmcnt(0)
	ds_store_b128 v8, v[9:12]
	v_add_nc_u32_e32 v8, 0x200, v8
	s_and_not1_b32 exec_lo, exec_lo, s5
	s_cbranch_execnz .LBB137_3
.LBB137_4:
	s_or_b32 exec_lo, exec_lo, s4
	s_load_b256 s[4:11], s[0:1], 0x18
	s_add_i32 s0, s20, 15
	v_mul_lo_u32 v4, v2, s3
	s_ashr_i32 s1, s0, 31
	s_mov_b32 s20, exec_lo
	s_lshr_b32 s1, s1, 28
	s_delay_alu instid0(SALU_CYCLE_1) | instskip(NEXT) | instid1(SALU_CYCLE_1)
	s_add_i32 s0, s0, s1
	s_ashr_i32 s2, s0, 4
	s_delay_alu instid0(SALU_CYCLE_1)
	v_cmpx_gt_i32_e64 s2, v6
	s_cbranch_execz .LBB137_7
; %bb.5:
	v_ashrrev_i32_e32 v2, 31, v1
	v_and_b32_e32 v0, 31, v0
	s_delay_alu instid0(VALU_DEP_2) | instskip(NEXT) | instid1(VALU_DEP_2)
	v_lshlrev_b64 v[2:3], 3, v[1:2]
	v_lshlrev_b32_e32 v0, 4, v0
	s_waitcnt lgkmcnt(0)
	s_delay_alu instid0(VALU_DEP_2) | instskip(NEXT) | instid1(VALU_DEP_1)
	v_add_co_u32 v2, s0, s10, v2
	v_add_co_ci_u32_e64 v3, s0, s11, v3, s0
	s_ashr_i32 s0, s3, 31
	global_load_b64 v[2:3], v[2:3], off
	s_waitcnt vmcnt(0)
	v_mul_lo_u32 v3, v3, s3
	v_mul_lo_u32 v10, v2, s0
	v_mad_u64_u32 v[8:9], null, v2, s3, 0
	s_delay_alu instid0(VALU_DEP_1) | instskip(NEXT) | instid1(VALU_DEP_1)
	v_add3_u32 v9, v9, v10, v3
	v_lshlrev_b64 v[2:3], 1, v[8:9]
	v_lshlrev_b32_e32 v8, 1, v4
	s_delay_alu instid0(VALU_DEP_2) | instskip(NEXT) | instid1(VALU_DEP_1)
	v_add_co_u32 v2, s0, v2, v0
	v_add_co_ci_u32_e64 v3, s0, 0, v3, s0
	s_delay_alu instid0(VALU_DEP_3) | instskip(NEXT) | instid1(VALU_DEP_3)
	v_add3_u32 v0, v8, v5, 0
	v_add_co_u32 v2, s0, s8, v2
	s_delay_alu instid0(VALU_DEP_1)
	v_add_co_ci_u32_e64 v3, s0, s9, v3, s0
	v_mov_b32_e32 v8, v6
	s_mov_b32 s8, 0
	.p2align	6
.LBB137_6:                              ; =>This Inner Loop Header: Depth=1
	global_load_b128 v[9:12], v[2:3], off
	v_add_nc_u32_e32 v8, 32, v8
	v_add_co_u32 v2, s0, 0x200, v2
	s_delay_alu instid0(VALU_DEP_1) | instskip(NEXT) | instid1(VALU_DEP_3)
	v_add_co_ci_u32_e64 v3, s0, 0, v3, s0
	v_cmp_le_i32_e64 s1, s2, v8
	s_delay_alu instid0(VALU_DEP_1)
	s_or_b32 s8, s1, s8
	s_waitcnt vmcnt(0)
	ds_store_b128 v0, v[9:12]
	v_add_nc_u32_e32 v0, 0x200, v0
	s_and_not1_b32 exec_lo, exec_lo, s8
	s_cbranch_execnz .LBB137_6
.LBB137_7:
	s_or_b32 exec_lo, exec_lo, s20
	s_delay_alu instid0(SALU_CYCLE_1)
	s_and_b32 exec_lo, exec_lo, vcc_lo
	s_cbranch_execz .LBB137_44
; %bb.8:
	s_waitcnt lgkmcnt(0)
	s_clause 0x1
	global_load_b128 v[8:11], v5, s[4:5]
	global_load_b128 v[12:15], v5, s[6:7]
	v_mbcnt_lo_u32_b32 v2, -1, 0
	s_lshr_b32 s0, s3, 31
	s_ashr_i32 s1, s3, 31
	v_lshl_add_u32 v0, v4, 1, 0
	s_abs_i32 s2, s3
	s_add_i32 s0, s3, s0
	s_lshr_b32 s6, s1, 29
	s_lshr_b32 s1, s1, 28
	v_add_nc_u32_e32 v50, s15, v16
	v_cvt_f32_u32_e32 v16, s2
	v_xor_b32_e32 v20, 16, v2
	s_and_b32 s0, s0, -2
	s_add_i32 s6, s3, s6
	s_add_i32 s1, s3, s1
	v_add_nc_u32_e32 v41, s0, v0
	s_ashr_i32 s0, s6, 3
	s_ashr_i32 s1, s1, 4
	v_rcp_iflag_f32_e32 v16, v16
	v_xor_b32_e32 v21, 8, v2
	v_cmp_gt_i32_e32 vcc_lo, s0, v6
	v_xor_b32_e32 v25, s1, v2
	v_cmp_gt_i32_e64 s0, s1, v6
	v_cmp_gt_i32_e64 s1, 32, v20
	v_xor_b32_e32 v22, 4, v2
	s_sub_i32 s7, 0, s2
	v_xor_b32_e32 v23, 2, v2
	s_add_i32 s4, s18, s17
	v_cndmask_b32_e64 v20, v2, v20, s1
	v_cmp_gt_i32_e64 s1, 32, v21
	s_lshl_b32 s5, s14, 2
	s_add_i32 s4, s4, s16
	v_xor_b32_e32 v24, 1, v2
	s_sub_i32 s3, s4, s5
	v_cndmask_b32_e64 v21, v2, v21, s1
	v_mul_f32_e32 v16, 0x4f7ffffe, v16
	v_cmp_gt_i32_e64 s1, 32, v22
	v_mul_lo_u32 v1, s3, v1
	v_or_b32_e32 v3, 2, v5
	v_lshlrev_b32_e32 v21, 2, v21
	v_cvt_u32_f32_e32 v16, v16
	v_cndmask_b32_e64 v22, v2, v22, s1
	v_cmp_gt_i32_e64 s1, 32, v23
	v_or_b32_e32 v4, 4, v5
	v_or_b32_e32 v17, 6, v5
	v_mul_lo_u32 v30, s7, v16
	v_lshl_add_u32 v1, v1, 8, v7
	v_cndmask_b32_e64 v23, v2, v23, s1
	v_cmp_gt_i32_e64 s1, 32, v24
	v_or_b32_e32 v27, 10, v5
	v_or_b32_e32 v26, 8, v5
	;; [unrolled: 1-line block ×4, first 2 shown]
	v_mul_hi_u32 v30, v16, v30
	v_cndmask_b32_e64 v24, v2, v24, s1
	v_cmp_gt_i32_e64 s1, 32, v25
	v_lshlrev_b32_e32 v20, 2, v20
	v_lshlrev_b32_e32 v22, 2, v22
	;; [unrolled: 1-line block ×4, first 2 shown]
	v_cndmask_b32_e64 v2, v2, v25, s1
	v_add_nc_u32_e32 v7, v16, v30
	v_lshl_or_b32 v16, v6, 3, v1
	v_add3_u32 v50, v50, v5, 0
	s_mov_b32 s3, 0
	v_lshlrev_b32_e32 v25, 2, v2
	v_mul_hi_u32 v1, v5, v7
	v_mul_hi_u32 v2, v3, v7
	;; [unrolled: 1-line block ×8, first 2 shown]
	v_mul_lo_u32 v1, v1, s2
	v_mul_lo_u32 v2, v2, s2
	;; [unrolled: 1-line block ×8, first 2 shown]
	v_sub_nc_u32_e32 v1, v5, v1
	v_sub_nc_u32_e32 v2, v3, v2
	;; [unrolled: 1-line block ×5, first 2 shown]
	v_subrev_nc_u32_e32 v27, s2, v1
	v_cmp_le_u32_e64 s1, s2, v1
	v_sub_nc_u32_e32 v6, v26, v31
	v_sub_nc_u32_e32 v26, v28, v33
	v_subrev_nc_u32_e32 v28, s2, v2
	v_sub_nc_u32_e32 v7, v29, v7
	v_cndmask_b32_e64 v1, v1, v27, s1
	v_cmp_le_u32_e64 s1, s2, v2
	v_subrev_nc_u32_e32 v29, s2, v3
	v_subrev_nc_u32_e32 v30, s2, v4
	;; [unrolled: 1-line block ×4, first 2 shown]
	v_cndmask_b32_e64 v2, v2, v28, s1
	v_cmp_le_u32_e64 s1, s2, v3
	v_subrev_nc_u32_e32 v33, s2, v26
	v_subrev_nc_u32_e32 v34, s2, v7
	v_subrev_nc_u32_e32 v27, s2, v1
	v_subrev_nc_u32_e32 v28, s2, v2
	v_cndmask_b32_e64 v3, v3, v29, s1
	v_cmp_le_u32_e64 s1, s2, v4
	s_mov_b32 s4, 0
	s_delay_alu instid0(VALU_DEP_2) | instskip(NEXT) | instid1(VALU_DEP_2)
	v_subrev_nc_u32_e32 v29, s2, v3
	v_cndmask_b32_e64 v4, v4, v30, s1
	v_cmp_le_u32_e64 s1, s2, v6
	s_delay_alu instid0(VALU_DEP_2) | instskip(NEXT) | instid1(VALU_DEP_2)
	v_subrev_nc_u32_e32 v30, s2, v4
	v_cndmask_b32_e64 v6, v6, v31, s1
	v_cmp_le_u32_e64 s1, s2, v17
	s_delay_alu instid0(VALU_DEP_2) | instskip(NEXT) | instid1(VALU_DEP_2)
	v_subrev_nc_u32_e32 v31, s2, v6
	v_cndmask_b32_e64 v17, v17, v32, s1
	v_cmp_le_u32_e64 s1, s2, v26
	s_delay_alu instid0(VALU_DEP_2) | instskip(NEXT) | instid1(VALU_DEP_2)
	v_subrev_nc_u32_e32 v32, s2, v17
	v_cndmask_b32_e64 v26, v26, v33, s1
	v_cmp_le_u32_e64 s1, s2, v7
	s_delay_alu instid0(VALU_DEP_2) | instskip(NEXT) | instid1(VALU_DEP_2)
	v_subrev_nc_u32_e32 v33, s2, v26
	v_cndmask_b32_e64 v7, v7, v34, s1
	v_cmp_le_u32_e64 s1, s2, v1
	s_delay_alu instid0(VALU_DEP_2) | instskip(NEXT) | instid1(VALU_DEP_2)
	v_subrev_nc_u32_e32 v34, s2, v7
	v_cndmask_b32_e64 v1, v1, v27, s1
	v_cmp_le_u32_e64 s1, s2, v2
	s_delay_alu instid0(VALU_DEP_2) | instskip(NEXT) | instid1(VALU_DEP_2)
	v_and_b32_e32 v1, -2, v1
	v_cndmask_b32_e64 v2, v2, v28, s1
	v_cmp_le_u32_e64 s1, s2, v3
	s_delay_alu instid0(VALU_DEP_3) | instskip(NEXT) | instid1(VALU_DEP_3)
	v_add_nc_u32_e32 v27, v41, v1
	v_and_b32_e32 v2, -2, v2
	s_delay_alu instid0(VALU_DEP_3) | instskip(SKIP_1) | instid1(VALU_DEP_3)
	v_cndmask_b32_e64 v3, v3, v29, s1
	v_cmp_le_u32_e64 s1, s2, v4
	v_add_nc_u32_e32 v28, v0, v2
	s_delay_alu instid0(VALU_DEP_3) | instskip(NEXT) | instid1(VALU_DEP_3)
	v_and_b32_e32 v3, -2, v3
	v_cndmask_b32_e64 v4, v4, v30, s1
	v_cmp_le_u32_e64 s1, s2, v6
	v_add_nc_u32_e32 v29, v41, v2
	s_delay_alu instid0(VALU_DEP_4) | instskip(NEXT) | instid1(VALU_DEP_4)
	v_add_nc_u32_e32 v30, v0, v3
	v_and_b32_e32 v4, -2, v4
	s_delay_alu instid0(VALU_DEP_4) | instskip(SKIP_2) | instid1(VALU_DEP_3)
	v_cndmask_b32_e64 v6, v6, v31, s1
	v_cmp_le_u32_e64 s1, s2, v17
	v_add_nc_u32_e32 v31, v41, v3
	v_and_b32_e32 v6, -2, v6
	s_delay_alu instid0(VALU_DEP_3) | instskip(SKIP_2) | instid1(VALU_DEP_4)
	v_cndmask_b32_e64 v17, v17, v32, s1
	v_cmp_le_u32_e64 s1, s2, v26
	v_add_nc_u32_e32 v32, v0, v4
	v_add_nc_u32_e32 v35, v41, v6
	s_delay_alu instid0(VALU_DEP_4) | instskip(NEXT) | instid1(VALU_DEP_4)
	v_and_b32_e32 v17, -2, v17
	v_cndmask_b32_e64 v26, v26, v33, s1
	v_cmp_le_u32_e64 s1, s2, v7
	v_add_nc_u32_e32 v33, v41, v4
	s_delay_alu instid0(VALU_DEP_4) | instskip(NEXT) | instid1(VALU_DEP_4)
	v_add_nc_u32_e32 v36, v0, v17
	v_and_b32_e32 v39, -2, v26
	s_delay_alu instid0(VALU_DEP_4)
	v_cndmask_b32_e64 v7, v7, v34, s1
	v_add_nc_u32_e32 v26, v0, v1
	v_add_nc_u32_e32 v34, v0, v6
	v_add_nc_u32_e32 v37, v41, v17
	v_add_nc_u32_e32 v38, v0, v39
	v_and_b32_e32 v7, -2, v7
	v_add_nc_u32_e32 v39, v41, v39
	s_delay_alu instid0(VALU_DEP_2)
	v_add_nc_u32_e32 v40, v0, v7
	v_add_nc_u32_e32 v41, v41, v7
	s_waitcnt vmcnt(1)
	v_lshrrev_b32_e32 v42, 16, v8
	v_lshrrev_b32_e32 v43, 16, v9
	;; [unrolled: 1-line block ×4, first 2 shown]
	s_waitcnt vmcnt(0)
	v_lshrrev_b32_e32 v46, 16, v12
	v_lshrrev_b32_e32 v47, 16, v13
	;; [unrolled: 1-line block ×4, first 2 shown]
	s_branch .LBB137_10
.LBB137_9:                              ;   in Loop: Header=BB137_10 Depth=1
	s_or_b32 exec_lo, exec_lo, s2
	v_ashrrev_i32_e32 v17, 31, v16
	s_add_i32 s4, s4, 1
	v_perm_b32 v3, v58, v57, 0x7060302
	v_cmp_ge_i32_e64 s1, s4, v19
	v_perm_b32 v2, v56, v55, 0x7060302
	v_lshlrev_b64 v[4:5], 1, v[16:17]
	v_perm_b32 v1, v54, v53, 0x7060302
	v_perm_b32 v0, v52, v51, 0x7060302
	v_add_nc_u32_e32 v16, 0x100, v16
	v_add_nc_u32_e32 v50, 0x200, v50
	s_or_b32 s3, s1, s3
	v_add_co_u32 v4, s2, s12, v4
	s_delay_alu instid0(VALU_DEP_1)
	v_add_co_ci_u32_e64 v5, s2, s13, v5, s2
	global_store_b128 v[4:5], v[0:3], off
	s_and_not1_b32 exec_lo, exec_lo, s3
	s_cbranch_execz .LBB137_44
.LBB137_10:                             ; =>This Inner Loop Header: Depth=1
	ds_load_b128 v[0:3], v50
	s_waitcnt lgkmcnt(0)
	v_lshlrev_b32_e32 v6, 16, v1
	v_and_b32_e32 v4, 0xffff0000, v0
	v_and_b32_e32 v7, 0xffff0000, v1
	v_lshlrev_b32_e32 v0, 16, v0
	v_and_b32_e32 v53, 0xffff0000, v3
	s_delay_alu instid0(VALU_DEP_4) | instskip(SKIP_2) | instid1(VALU_DEP_3)
	v_dual_mul_f32 v5, v4, v4 :: v_dual_lshlrev_b32 v52, 16, v3
	v_add_nc_u32_e32 v3, s4, v18
	v_lshlrev_b32_e32 v17, 16, v2
	v_fmac_f32_e32 v5, v0, v0
	s_delay_alu instid0(VALU_DEP_3) | instskip(NEXT) | instid1(VALU_DEP_2)
	v_cmp_gt_i32_e64 s2, s16, v3
	v_fmac_f32_e32 v5, v6, v6
	s_delay_alu instid0(VALU_DEP_2) | instskip(SKIP_3) | instid1(VALU_DEP_4)
	v_cndmask_b32_e64 v56, v48, v44, s2
	v_cndmask_b32_e64 v54, v47, v43, s2
	;; [unrolled: 1-line block ×4, first 2 shown]
	v_dual_fmac_f32 v5, v7, v7 :: v_dual_lshlrev_b32 v56, 16, v56
	v_and_b32_e32 v51, 0xffff0000, v2
	v_cndmask_b32_e64 v55, v14, v10, s2
	v_cndmask_b32_e64 v57, v15, v11, s2
	s_delay_alu instid0(VALU_DEP_4) | instskip(NEXT) | instid1(VALU_DEP_2)
	v_dual_fmac_f32 v5, v17, v17 :: v_dual_lshlrev_b32 v54, 16, v54
	v_lshlrev_b32_e32 v57, 16, v57
	s_delay_alu instid0(VALU_DEP_2) | instskip(NEXT) | instid1(VALU_DEP_1)
	v_fmac_f32_e32 v5, v51, v51
	v_fmac_f32_e32 v5, v52, v52
	s_delay_alu instid0(VALU_DEP_1)
	v_fmac_f32_e32 v5, v53, v53
	ds_bpermute_b32 v1, v20, v5
	s_waitcnt lgkmcnt(0)
	v_add_f32_e32 v1, v5, v1
	v_cndmask_b32_e64 v5, v13, v9, s2
	ds_bpermute_b32 v2, v21, v1
	v_lshlrev_b32_e32 v5, 16, v5
	s_waitcnt lgkmcnt(0)
	v_add_f32_e32 v1, v1, v2
	ds_bpermute_b32 v2, v22, v1
	s_waitcnt lgkmcnt(0)
	v_add_f32_e32 v1, v1, v2
	ds_bpermute_b32 v2, v23, v1
	;; [unrolled: 3-line block ×3, first 2 shown]
	s_waitcnt lgkmcnt(0)
	v_add_f32_e32 v1, v1, v2
	s_delay_alu instid0(VALU_DEP_1) | instskip(NEXT) | instid1(VALU_DEP_1)
	v_fma_f32 v1, 0x3b800000, v1, s19
	v_mul_f32_e32 v2, 0x4b800000, v1
	v_cmp_gt_f32_e64 s1, 0x800000, v1
	s_delay_alu instid0(VALU_DEP_1) | instskip(SKIP_1) | instid1(VALU_DEP_2)
	v_cndmask_b32_e64 v1, v1, v2, s1
	v_cndmask_b32_e64 v2, v12, v8, s2
	v_rsq_f32_e32 v1, v1
	s_delay_alu instid0(VALU_DEP_1) | instskip(SKIP_2) | instid1(VALU_DEP_1)
	v_lshlrev_b32_e32 v2, 16, v2
	s_waitcnt_depctr 0xfff
	v_mul_f32_e32 v58, 0x45800000, v1
	v_cndmask_b32_e64 v1, v1, v58, s1
	v_lshlrev_b32_e32 v58, 16, v59
	s_delay_alu instid0(VALU_DEP_2) | instskip(NEXT) | instid1(VALU_DEP_2)
	v_dual_mul_f32 v2, v1, v2 :: v_dual_lshlrev_b32 v3, 16, v3
	v_mul_f32_e32 v58, v1, v58
	v_mul_f32_e32 v5, v1, v5
	v_lshlrev_b32_e32 v55, 16, v55
	s_delay_alu instid0(VALU_DEP_4)
	v_mul_f32_e32 v3, v1, v3
	v_mul_f32_e32 v54, v1, v54
	;; [unrolled: 1-line block ×3, first 2 shown]
	v_dual_mul_f32 v57, v1, v57 :: v_dual_mul_f32 v0, v2, v0
	v_mul_f32_e32 v2, v5, v6
	v_mul_f32_e32 v55, v1, v55
	v_mul_f32_e32 v1, v3, v4
	v_mul_f32_e32 v3, v54, v7
	v_dual_mul_f32 v5, v56, v51 :: v_dual_mul_f32 v6, v57, v52
	s_delay_alu instid0(VALU_DEP_4)
	v_mul_f32_e32 v4, v55, v17
	v_mul_f32_e32 v7, v58, v53
	s_and_saveexec_b32 s1, vcc_lo
	s_cbranch_execz .LBB137_12
; %bb.11:                               ;   in Loop: Header=BB137_10 Depth=1
	; wave barrier
	ds_load_u16 v51, v26
	ds_load_u16 v52, v27
	ds_bpermute_b32 v53, v25, v1
	ds_load_u16 v54, v28
	ds_load_u16 v55, v29
	ds_bpermute_b32 v17, v25, v0
	ds_bpermute_b32 v56, v25, v2
	ds_load_u16 v57, v31
	ds_load_u16 v58, v30
	;; [unrolled: 1-line block ×4, first 2 shown]
	ds_bpermute_b32 v62, v25, v4
	ds_bpermute_b32 v65, v25, v6
	;; [unrolled: 1-line block ×4, first 2 shown]
	s_waitcnt lgkmcnt(14)
	v_lshlrev_b32_e32 v63, 16, v51
	s_waitcnt lgkmcnt(13)
	v_lshlrev_b32_e32 v51, 16, v52
	s_waitcnt lgkmcnt(12)
	v_cndmask_b32_e64 v52, v53, -v53, s0
	s_waitcnt lgkmcnt(11)
	v_lshlrev_b32_e32 v53, 16, v54
	s_waitcnt lgkmcnt(10)
	v_lshlrev_b32_e32 v54, 16, v55
	s_waitcnt lgkmcnt(9)
	v_cndmask_b32_e64 v17, v17, -v17, s0
	s_waitcnt lgkmcnt(8)
	v_cndmask_b32_e64 v55, v56, -v56, s0
	ds_load_u16 v56, v34
	ds_load_u16 v64, v35
	;; [unrolled: 1-line block ×8, first 2 shown]
	v_mul_f32_e32 v52, v52, v54
	; wave barrier
	s_delay_alu instid0(VALU_DEP_1)
	v_fmac_f32_e32 v52, v1, v53
	v_mul_f32_e32 v51, v17, v51
	s_waitcnt lgkmcnt(15)
	v_lshlrev_b32_e32 v17, 16, v57
	ds_bpermute_b32 v57, v25, v5
	s_waitcnt lgkmcnt(10)
	v_cndmask_b32_e64 v1, v59, -v59, s0
	s_waitcnt lgkmcnt(9)
	v_cndmask_b32_e64 v59, v66, -v66, s0
	v_dual_fmac_f32 v51, v0, v63 :: v_dual_lshlrev_b32 v0, 16, v58
	v_mul_f32_e32 v53, v55, v17
	v_cndmask_b32_e64 v55, v62, -v62, s0
	s_waitcnt lgkmcnt(7)
	v_lshlrev_b32_e32 v58, 16, v64
	s_delay_alu instid0(VALU_DEP_3) | instskip(NEXT) | instid1(VALU_DEP_2)
	v_fmac_f32_e32 v53, v2, v0
	v_dual_mul_f32 v55, v55, v58 :: v_dual_lshlrev_b32 v0, 16, v60
	s_waitcnt lgkmcnt(3)
	v_lshlrev_b32_e32 v58, 16, v70
	s_waitcnt lgkmcnt(0)
	v_cndmask_b32_e64 v2, v57, -v57, s0
	v_cndmask_b32_e64 v57, v65, -v65, s0
	s_delay_alu instid0(VALU_DEP_1) | instskip(NEXT) | instid1(VALU_DEP_1)
	v_dual_mul_f32 v57, v57, v58 :: v_dual_lshlrev_b32 v60, 16, v72
	v_dual_mul_f32 v58, v59, v60 :: v_dual_lshlrev_b32 v17, 16, v61
	s_delay_alu instid0(VALU_DEP_1) | instskip(NEXT) | instid1(VALU_DEP_1)
	v_dual_mul_f32 v54, v1, v17 :: v_dual_lshlrev_b32 v17, 16, v67
	v_fmac_f32_e32 v54, v3, v0
	v_lshlrev_b32_e32 v1, 16, v56
	v_lshlrev_b32_e32 v56, 16, v68
	s_delay_alu instid0(VALU_DEP_1) | instskip(NEXT) | instid1(VALU_DEP_1)
	v_mul_f32_e32 v56, v2, v56
	v_fmac_f32_e32 v56, v5, v17
	s_delay_alu instid0(VALU_DEP_4) | instskip(SKIP_1) | instid1(VALU_DEP_1)
	v_fmac_f32_e32 v55, v4, v1
	v_lshlrev_b32_e32 v61, 16, v71
	v_fmac_f32_e32 v58, v7, v61
	v_lshlrev_b32_e32 v2, 16, v69
	s_delay_alu instid0(VALU_DEP_1) | instskip(SKIP_3) | instid1(VALU_DEP_4)
	v_fmac_f32_e32 v57, v6, v2
	v_dual_mov_b32 v0, v51 :: v_dual_mov_b32 v1, v52
	v_dual_mov_b32 v2, v53 :: v_dual_mov_b32 v3, v54
	;; [unrolled: 1-line block ×4, first 2 shown]
.LBB137_12:                             ;   in Loop: Header=BB137_10 Depth=1
	s_or_b32 exec_lo, exec_lo, s1
	v_and_b32_e32 v17, 0x7f800000, v0
                                        ; implicit-def: $vgpr51
	s_delay_alu instid0(VALU_DEP_1) | instskip(NEXT) | instid1(VALU_DEP_1)
	v_cmp_ne_u32_e64 s1, 0x7f800000, v17
	s_and_saveexec_b32 s2, s1
	s_delay_alu instid0(SALU_CYCLE_1)
	s_xor_b32 s1, exec_lo, s2
; %bb.13:                               ;   in Loop: Header=BB137_10 Depth=1
	v_bfe_u32 v17, v0, 16, 1
	s_delay_alu instid0(VALU_DEP_1)
	v_add3_u32 v51, v0, v17, 0x7fff
; %bb.14:                               ;   in Loop: Header=BB137_10 Depth=1
	s_and_not1_saveexec_b32 s2, s1
; %bb.15:                               ;   in Loop: Header=BB137_10 Depth=1
	v_and_b32_e32 v17, 0xffff, v0
	v_or_b32_e32 v51, 0x10000, v0
	s_delay_alu instid0(VALU_DEP_2) | instskip(NEXT) | instid1(VALU_DEP_1)
	v_cmp_eq_u32_e64 s1, 0, v17
	v_cndmask_b32_e64 v51, v51, v0, s1
; %bb.16:                               ;   in Loop: Header=BB137_10 Depth=1
	s_or_b32 exec_lo, exec_lo, s2
	v_and_b32_e32 v0, 0x7f800000, v1
                                        ; implicit-def: $vgpr52
	s_delay_alu instid0(VALU_DEP_1) | instskip(NEXT) | instid1(VALU_DEP_1)
	v_cmp_ne_u32_e64 s1, 0x7f800000, v0
	s_and_saveexec_b32 s2, s1
	s_delay_alu instid0(SALU_CYCLE_1)
	s_xor_b32 s1, exec_lo, s2
; %bb.17:                               ;   in Loop: Header=BB137_10 Depth=1
	v_bfe_u32 v0, v1, 16, 1
	s_delay_alu instid0(VALU_DEP_1)
	v_add3_u32 v52, v1, v0, 0x7fff
; %bb.18:                               ;   in Loop: Header=BB137_10 Depth=1
	s_and_not1_saveexec_b32 s2, s1
; %bb.19:                               ;   in Loop: Header=BB137_10 Depth=1
	v_and_b32_e32 v0, 0xffff, v1
	v_or_b32_e32 v17, 0x10000, v1
	s_delay_alu instid0(VALU_DEP_2) | instskip(NEXT) | instid1(VALU_DEP_1)
	v_cmp_eq_u32_e64 s1, 0, v0
	v_cndmask_b32_e64 v52, v17, v1, s1
; %bb.20:                               ;   in Loop: Header=BB137_10 Depth=1
	s_or_b32 exec_lo, exec_lo, s2
	v_and_b32_e32 v0, 0x7f800000, v2
                                        ; implicit-def: $vgpr53
	s_delay_alu instid0(VALU_DEP_1) | instskip(NEXT) | instid1(VALU_DEP_1)
	v_cmp_ne_u32_e64 s1, 0x7f800000, v0
	s_and_saveexec_b32 s2, s1
	s_delay_alu instid0(SALU_CYCLE_1)
	s_xor_b32 s1, exec_lo, s2
; %bb.21:                               ;   in Loop: Header=BB137_10 Depth=1
	v_bfe_u32 v0, v2, 16, 1
	s_delay_alu instid0(VALU_DEP_1)
	v_add3_u32 v53, v2, v0, 0x7fff
; %bb.22:                               ;   in Loop: Header=BB137_10 Depth=1
	s_and_not1_saveexec_b32 s2, s1
; %bb.23:                               ;   in Loop: Header=BB137_10 Depth=1
	v_and_b32_e32 v0, 0xffff, v2
	v_or_b32_e32 v1, 0x10000, v2
	s_delay_alu instid0(VALU_DEP_2) | instskip(NEXT) | instid1(VALU_DEP_1)
	v_cmp_eq_u32_e64 s1, 0, v0
	v_cndmask_b32_e64 v53, v1, v2, s1
; %bb.24:                               ;   in Loop: Header=BB137_10 Depth=1
	s_or_b32 exec_lo, exec_lo, s2
	v_and_b32_e32 v0, 0x7f800000, v3
                                        ; implicit-def: $vgpr54
	s_delay_alu instid0(VALU_DEP_1) | instskip(NEXT) | instid1(VALU_DEP_1)
	v_cmp_ne_u32_e64 s1, 0x7f800000, v0
	s_and_saveexec_b32 s2, s1
	s_delay_alu instid0(SALU_CYCLE_1)
	s_xor_b32 s1, exec_lo, s2
; %bb.25:                               ;   in Loop: Header=BB137_10 Depth=1
	v_bfe_u32 v0, v3, 16, 1
	s_delay_alu instid0(VALU_DEP_1)
	v_add3_u32 v54, v3, v0, 0x7fff
; %bb.26:                               ;   in Loop: Header=BB137_10 Depth=1
	s_and_not1_saveexec_b32 s2, s1
; %bb.27:                               ;   in Loop: Header=BB137_10 Depth=1
	v_and_b32_e32 v0, 0xffff, v3
	v_or_b32_e32 v1, 0x10000, v3
	s_delay_alu instid0(VALU_DEP_2) | instskip(NEXT) | instid1(VALU_DEP_1)
	v_cmp_eq_u32_e64 s1, 0, v0
	v_cndmask_b32_e64 v54, v1, v3, s1
; %bb.28:                               ;   in Loop: Header=BB137_10 Depth=1
	s_or_b32 exec_lo, exec_lo, s2
	v_and_b32_e32 v0, 0x7f800000, v4
                                        ; implicit-def: $vgpr55
	s_delay_alu instid0(VALU_DEP_1) | instskip(NEXT) | instid1(VALU_DEP_1)
	v_cmp_ne_u32_e64 s1, 0x7f800000, v0
	s_and_saveexec_b32 s2, s1
	s_delay_alu instid0(SALU_CYCLE_1)
	s_xor_b32 s1, exec_lo, s2
; %bb.29:                               ;   in Loop: Header=BB137_10 Depth=1
	v_bfe_u32 v0, v4, 16, 1
	s_delay_alu instid0(VALU_DEP_1)
	v_add3_u32 v55, v4, v0, 0x7fff
; %bb.30:                               ;   in Loop: Header=BB137_10 Depth=1
	s_and_not1_saveexec_b32 s2, s1
; %bb.31:                               ;   in Loop: Header=BB137_10 Depth=1
	v_and_b32_e32 v0, 0xffff, v4
	v_or_b32_e32 v1, 0x10000, v4
	s_delay_alu instid0(VALU_DEP_2) | instskip(NEXT) | instid1(VALU_DEP_1)
	v_cmp_eq_u32_e64 s1, 0, v0
	v_cndmask_b32_e64 v55, v1, v4, s1
; %bb.32:                               ;   in Loop: Header=BB137_10 Depth=1
	s_or_b32 exec_lo, exec_lo, s2
	v_and_b32_e32 v0, 0x7f800000, v5
                                        ; implicit-def: $vgpr56
	s_delay_alu instid0(VALU_DEP_1) | instskip(NEXT) | instid1(VALU_DEP_1)
	v_cmp_ne_u32_e64 s1, 0x7f800000, v0
	s_and_saveexec_b32 s2, s1
	s_delay_alu instid0(SALU_CYCLE_1)
	s_xor_b32 s1, exec_lo, s2
; %bb.33:                               ;   in Loop: Header=BB137_10 Depth=1
	v_bfe_u32 v0, v5, 16, 1
	s_delay_alu instid0(VALU_DEP_1)
	v_add3_u32 v56, v5, v0, 0x7fff
; %bb.34:                               ;   in Loop: Header=BB137_10 Depth=1
	s_and_not1_saveexec_b32 s2, s1
; %bb.35:                               ;   in Loop: Header=BB137_10 Depth=1
	v_and_b32_e32 v0, 0xffff, v5
	v_or_b32_e32 v1, 0x10000, v5
	s_delay_alu instid0(VALU_DEP_2) | instskip(NEXT) | instid1(VALU_DEP_1)
	v_cmp_eq_u32_e64 s1, 0, v0
	v_cndmask_b32_e64 v56, v1, v5, s1
; %bb.36:                               ;   in Loop: Header=BB137_10 Depth=1
	s_or_b32 exec_lo, exec_lo, s2
	v_and_b32_e32 v0, 0x7f800000, v6
                                        ; implicit-def: $vgpr57
	s_delay_alu instid0(VALU_DEP_1) | instskip(NEXT) | instid1(VALU_DEP_1)
	v_cmp_ne_u32_e64 s1, 0x7f800000, v0
	s_and_saveexec_b32 s2, s1
	s_delay_alu instid0(SALU_CYCLE_1)
	s_xor_b32 s1, exec_lo, s2
; %bb.37:                               ;   in Loop: Header=BB137_10 Depth=1
	v_bfe_u32 v0, v6, 16, 1
	s_delay_alu instid0(VALU_DEP_1)
	v_add3_u32 v57, v6, v0, 0x7fff
; %bb.38:                               ;   in Loop: Header=BB137_10 Depth=1
	s_and_not1_saveexec_b32 s2, s1
; %bb.39:                               ;   in Loop: Header=BB137_10 Depth=1
	v_and_b32_e32 v0, 0xffff, v6
	v_or_b32_e32 v1, 0x10000, v6
	s_delay_alu instid0(VALU_DEP_2) | instskip(NEXT) | instid1(VALU_DEP_1)
	v_cmp_eq_u32_e64 s1, 0, v0
	v_cndmask_b32_e64 v57, v1, v6, s1
; %bb.40:                               ;   in Loop: Header=BB137_10 Depth=1
	s_or_b32 exec_lo, exec_lo, s2
	v_and_b32_e32 v0, 0x7f800000, v7
                                        ; implicit-def: $vgpr58
	s_delay_alu instid0(VALU_DEP_1) | instskip(NEXT) | instid1(VALU_DEP_1)
	v_cmp_ne_u32_e64 s1, 0x7f800000, v0
	s_and_saveexec_b32 s2, s1
	s_delay_alu instid0(SALU_CYCLE_1)
	s_xor_b32 s1, exec_lo, s2
; %bb.41:                               ;   in Loop: Header=BB137_10 Depth=1
	v_bfe_u32 v0, v7, 16, 1
	s_delay_alu instid0(VALU_DEP_1)
	v_add3_u32 v58, v7, v0, 0x7fff
                                        ; implicit-def: $vgpr0_vgpr1_vgpr2_vgpr3_vgpr4_vgpr5_vgpr6_vgpr7
; %bb.42:                               ;   in Loop: Header=BB137_10 Depth=1
	s_and_not1_saveexec_b32 s2, s1
	s_cbranch_execz .LBB137_9
; %bb.43:                               ;   in Loop: Header=BB137_10 Depth=1
	v_and_b32_e32 v0, 0xffff, v7
	v_or_b32_e32 v1, 0x10000, v7
	s_delay_alu instid0(VALU_DEP_2) | instskip(NEXT) | instid1(VALU_DEP_1)
	v_cmp_eq_u32_e64 s1, 0, v0
	v_cndmask_b32_e64 v58, v1, v7, s1
	s_branch .LBB137_9
.LBB137_44:
	s_nop 0
	s_sendmsg sendmsg(MSG_DEALLOC_VGPRS)
	s_endpgm
	.section	.rodata,"a",@progbits
	.p2align	6, 0x0
	.amdhsa_kernel _ZN12tensorrt_llm7kernels32fusedQKNormRopeKernelNTokenHeadsIN3c108BFloat16ES3_Li256ELb0ELi4EEEvPviiifPKvS6_S6_PKlii
		.amdhsa_group_segment_fixed_size 0
		.amdhsa_private_segment_fixed_size 0
		.amdhsa_kernarg_size 320
		.amdhsa_user_sgpr_count 15
		.amdhsa_user_sgpr_dispatch_ptr 0
		.amdhsa_user_sgpr_queue_ptr 0
		.amdhsa_user_sgpr_kernarg_segment_ptr 1
		.amdhsa_user_sgpr_dispatch_id 0
		.amdhsa_user_sgpr_private_segment_size 0
		.amdhsa_wavefront_size32 1
		.amdhsa_uses_dynamic_stack 0
		.amdhsa_enable_private_segment 0
		.amdhsa_system_sgpr_workgroup_id_x 1
		.amdhsa_system_sgpr_workgroup_id_y 0
		.amdhsa_system_sgpr_workgroup_id_z 0
		.amdhsa_system_sgpr_workgroup_info 0
		.amdhsa_system_vgpr_workitem_id 0
		.amdhsa_next_free_vgpr 73
		.amdhsa_next_free_sgpr 21
		.amdhsa_reserve_vcc 1
		.amdhsa_float_round_mode_32 0
		.amdhsa_float_round_mode_16_64 0
		.amdhsa_float_denorm_mode_32 3
		.amdhsa_float_denorm_mode_16_64 3
		.amdhsa_dx10_clamp 1
		.amdhsa_ieee_mode 1
		.amdhsa_fp16_overflow 0
		.amdhsa_workgroup_processor_mode 1
		.amdhsa_memory_ordered 1
		.amdhsa_forward_progress 0
		.amdhsa_shared_vgpr_count 0
		.amdhsa_exception_fp_ieee_invalid_op 0
		.amdhsa_exception_fp_denorm_src 0
		.amdhsa_exception_fp_ieee_div_zero 0
		.amdhsa_exception_fp_ieee_overflow 0
		.amdhsa_exception_fp_ieee_underflow 0
		.amdhsa_exception_fp_ieee_inexact 0
		.amdhsa_exception_int_div_zero 0
	.end_amdhsa_kernel
	.section	.text._ZN12tensorrt_llm7kernels32fusedQKNormRopeKernelNTokenHeadsIN3c108BFloat16ES3_Li256ELb0ELi4EEEvPviiifPKvS6_S6_PKlii,"axG",@progbits,_ZN12tensorrt_llm7kernels32fusedQKNormRopeKernelNTokenHeadsIN3c108BFloat16ES3_Li256ELb0ELi4EEEvPviiifPKvS6_S6_PKlii,comdat
.Lfunc_end137:
	.size	_ZN12tensorrt_llm7kernels32fusedQKNormRopeKernelNTokenHeadsIN3c108BFloat16ES3_Li256ELb0ELi4EEEvPviiifPKvS6_S6_PKlii, .Lfunc_end137-_ZN12tensorrt_llm7kernels32fusedQKNormRopeKernelNTokenHeadsIN3c108BFloat16ES3_Li256ELb0ELi4EEEvPviiifPKvS6_S6_PKlii
                                        ; -- End function
	.section	.AMDGPU.csdata,"",@progbits
; Kernel info:
; codeLenInByte = 3872
; NumSgprs: 23
; NumVgprs: 73
; ScratchSize: 0
; MemoryBound: 0
; FloatMode: 240
; IeeeMode: 1
; LDSByteSize: 0 bytes/workgroup (compile time only)
; SGPRBlocks: 2
; VGPRBlocks: 9
; NumSGPRsForWavesPerEU: 23
; NumVGPRsForWavesPerEU: 73
; Occupancy: 16
; WaveLimiterHint : 0
; COMPUTE_PGM_RSRC2:SCRATCH_EN: 0
; COMPUTE_PGM_RSRC2:USER_SGPR: 15
; COMPUTE_PGM_RSRC2:TRAP_HANDLER: 0
; COMPUTE_PGM_RSRC2:TGID_X_EN: 1
; COMPUTE_PGM_RSRC2:TGID_Y_EN: 0
; COMPUTE_PGM_RSRC2:TGID_Z_EN: 0
; COMPUTE_PGM_RSRC2:TIDIG_COMP_CNT: 0
	.section	.text._ZN12tensorrt_llm7kernels32fusedQKNormRopeKernelNTokenHeadsIN3c108BFloat16ES3_Li64ELb1ELi8EEEvPviiifPKvS6_S6_PKlii,"axG",@progbits,_ZN12tensorrt_llm7kernels32fusedQKNormRopeKernelNTokenHeadsIN3c108BFloat16ES3_Li64ELb1ELi8EEEvPviiifPKvS6_S6_PKlii,comdat
	.protected	_ZN12tensorrt_llm7kernels32fusedQKNormRopeKernelNTokenHeadsIN3c108BFloat16ES3_Li64ELb1ELi8EEEvPviiifPKvS6_S6_PKlii ; -- Begin function _ZN12tensorrt_llm7kernels32fusedQKNormRopeKernelNTokenHeadsIN3c108BFloat16ES3_Li64ELb1ELi8EEEvPviiifPKvS6_S6_PKlii
	.globl	_ZN12tensorrt_llm7kernels32fusedQKNormRopeKernelNTokenHeadsIN3c108BFloat16ES3_Li64ELb1ELi8EEEvPviiifPKvS6_S6_PKlii
	.p2align	8
	.type	_ZN12tensorrt_llm7kernels32fusedQKNormRopeKernelNTokenHeadsIN3c108BFloat16ES3_Li64ELb1ELi8EEEvPviiifPKvS6_S6_PKlii,@function
_ZN12tensorrt_llm7kernels32fusedQKNormRopeKernelNTokenHeadsIN3c108BFloat16ES3_Li64ELb1ELi8EEEvPviiifPKvS6_S6_PKlii: ; @_ZN12tensorrt_llm7kernels32fusedQKNormRopeKernelNTokenHeadsIN3c108BFloat16ES3_Li64ELb1ELi8EEEvPviiifPKvS6_S6_PKlii
; %bb.0:
	s_clause 0x1
	s_load_b128 s[16:19], s[0:1], 0x8
	s_load_b64 s[2:3], s[0:1], 0x38
	v_lshrrev_b32_e32 v2, 5, v0
	s_waitcnt lgkmcnt(0)
	s_add_i32 s4, s17, s16
	s_delay_alu instid0(SALU_CYCLE_1) | instskip(NEXT) | instid1(SALU_CYCLE_1)
	s_add_i32 s5, s4, 7
	s_ashr_i32 s6, s5, 31
	s_delay_alu instid0(SALU_CYCLE_1) | instskip(NEXT) | instid1(SALU_CYCLE_1)
	s_lshr_b32 s6, s6, 29
	s_add_i32 s5, s5, s6
	s_delay_alu instid0(SALU_CYCLE_1) | instskip(SKIP_2) | instid1(SALU_CYCLE_1)
	s_ashr_i32 s14, s5, 3
	s_load_b32 s5, s[0:1], 0x4c
	s_abs_i32 s6, s14
	v_cvt_f32_u32_e32 v1, s6
	s_sub_i32 s7, 0, s6
	s_delay_alu instid0(VALU_DEP_1) | instskip(SKIP_4) | instid1(SALU_CYCLE_1)
	v_rcp_iflag_f32_e32 v1, v1
	s_waitcnt_depctr 0xfff
	v_mul_f32_e32 v1, 0x4f7ffffe, v1
	s_waitcnt lgkmcnt(0)
	s_bfe_u32 s5, s5, 0xb0005
	v_mad_u64_u32 v[3:4], null, s15, s5, v[2:3]
	s_delay_alu instid0(VALU_DEP_2) | instskip(NEXT) | instid1(VALU_DEP_1)
	v_cvt_u32_f32_e32 v1, v1
	v_mul_lo_u32 v5, s7, v1
	s_delay_alu instid0(VALU_DEP_1) | instskip(NEXT) | instid1(VALU_DEP_4)
	v_mul_hi_u32 v4, v1, v5
	v_sub_nc_u32_e32 v5, 0, v3
	s_delay_alu instid0(VALU_DEP_1) | instskip(NEXT) | instid1(VALU_DEP_3)
	v_max_i32_e32 v5, v3, v5
	v_add_nc_u32_e32 v1, v1, v4
	s_delay_alu instid0(VALU_DEP_1) | instskip(NEXT) | instid1(VALU_DEP_1)
	v_mul_hi_u32 v1, v5, v1
	v_mul_lo_u32 v4, v1, s6
	s_delay_alu instid0(VALU_DEP_1) | instskip(SKIP_1) | instid1(VALU_DEP_2)
	v_sub_nc_u32_e32 v4, v5, v4
	v_add_nc_u32_e32 v5, 1, v1
	v_subrev_nc_u32_e32 v6, s6, v4
	v_cmp_le_u32_e32 vcc_lo, s6, v4
	s_delay_alu instid0(VALU_DEP_2) | instskip(SKIP_1) | instid1(VALU_DEP_2)
	v_dual_cndmask_b32 v4, v4, v6 :: v_dual_cndmask_b32 v1, v1, v5
	v_xor_b32_e32 v5, s14, v3
	v_cmp_le_u32_e32 vcc_lo, s6, v4
	s_delay_alu instid0(VALU_DEP_3) | instskip(NEXT) | instid1(VALU_DEP_3)
	v_add_nc_u32_e32 v6, 1, v1
	v_ashrrev_i32_e32 v5, 31, v5
	s_delay_alu instid0(VALU_DEP_2) | instskip(NEXT) | instid1(VALU_DEP_1)
	v_cndmask_b32_e32 v1, v1, v6, vcc_lo
	v_xor_b32_e32 v1, v1, v5
	s_delay_alu instid0(VALU_DEP_1) | instskip(NEXT) | instid1(VALU_DEP_1)
	v_sub_nc_u32_e32 v1, v1, v5
	v_cmp_gt_i32_e32 vcc_lo, s2, v1
	s_and_saveexec_b32 s2, vcc_lo
	s_cbranch_execz .LBB138_20
; %bb.1:
	v_mul_lo_u32 v4, v1, s14
	s_load_b64 s[12:13], s[0:1], 0x0
	v_and_b32_e32 v7, 31, v0
	v_lshlrev_b32_e32 v8, 10, v2
	v_lshlrev_b32_e32 v0, 9, v3
	s_lshl_b32 s20, s3, 1
	s_delay_alu instid0(VALU_DEP_3) | instskip(SKIP_2) | instid1(VALU_DEP_1)
	v_lshlrev_b32_e32 v9, 2, v7
	v_sub_nc_u32_e32 v4, v3, v4
	s_mul_i32 s15, s20, s5
	v_lshlrev_b32_e32 v5, 3, v4
	s_delay_alu instid0(VALU_DEP_1) | instskip(SKIP_1) | instid1(VALU_DEP_2)
	v_add_nc_u32_e32 v4, 8, v5
	v_sub_nc_u32_e32 v6, s4, v5
	v_cmp_lt_i32_e32 vcc_lo, s4, v4
	s_delay_alu instid0(VALU_DEP_2) | instskip(NEXT) | instid1(VALU_DEP_1)
	v_cndmask_b32_e32 v6, 8, v6, vcc_lo
	v_cmp_lt_i32_e32 vcc_lo, 0, v6
	s_and_saveexec_b32 s4, vcc_lo
	s_cbranch_execz .LBB138_4
; %bb.2:
	s_add_i32 s2, s18, s17
	s_lshl_b32 s5, s14, 3
	s_add_i32 s2, s2, s16
	s_mov_b32 s6, 0
	s_sub_i32 s2, s2, s5
	s_mov_b32 s5, 0
	v_mul_lo_u32 v3, s2, v1
	s_add_i32 s2, s15, 0
	s_delay_alu instid0(SALU_CYCLE_1) | instskip(NEXT) | instid1(VALU_DEP_2)
	v_add3_u32 v10, s2, v8, v9
	v_lshl_add_u32 v3, v3, 6, v0
	s_delay_alu instid0(VALU_DEP_1)
	v_lshl_or_b32 v3, v7, 1, v3
	.p2align	6
.LBB138_3:                              ; =>This Inner Loop Header: Depth=1
	s_delay_alu instid0(VALU_DEP_1) | instskip(SKIP_1) | instid1(VALU_DEP_1)
	v_ashrrev_i32_e32 v4, 31, v3
	s_add_i32 s6, s6, 1
	v_lshlrev_b64 v[11:12], 1, v[3:4]
	v_add_nc_u32_e32 v3, 64, v3
	s_waitcnt lgkmcnt(0)
	s_delay_alu instid0(VALU_DEP_2) | instskip(NEXT) | instid1(VALU_DEP_1)
	v_add_co_u32 v11, s2, s12, v11
	v_add_co_ci_u32_e64 v12, s2, s13, v12, s2
	v_cmp_ge_i32_e64 s2, s6, v6
	global_load_b32 v4, v[11:12], off
	s_or_b32 s5, s2, s5
	s_waitcnt vmcnt(0)
	ds_store_b32 v10, v4
	v_add_nc_u32_e32 v10, 0x80, v10
	s_and_not1_b32 exec_lo, exec_lo, s5
	s_cbranch_execnz .LBB138_3
.LBB138_4:
	s_or_b32 exec_lo, exec_lo, s4
	s_load_b256 s[4:11], s[0:1], 0x18
	v_mul_lo_u32 v2, v2, s3
	s_add_i32 s0, s20, 15
	s_mov_b32 s20, exec_lo
	s_ashr_i32 s1, s0, 31
	s_delay_alu instid0(SALU_CYCLE_1) | instskip(NEXT) | instid1(SALU_CYCLE_1)
	s_lshr_b32 s1, s1, 28
	s_add_i32 s0, s0, s1
	s_delay_alu instid0(VALU_DEP_1) | instskip(SKIP_1) | instid1(SALU_CYCLE_1)
	v_lshlrev_b32_e32 v10, 1, v2
	s_ashr_i32 s2, s0, 4
	v_cmpx_gt_i32_e64 s2, v7
	s_cbranch_execz .LBB138_7
; %bb.5:
	v_ashrrev_i32_e32 v2, 31, v1
	s_delay_alu instid0(VALU_DEP_1) | instskip(SKIP_1) | instid1(VALU_DEP_1)
	v_lshlrev_b64 v[2:3], 3, v[1:2]
	s_waitcnt lgkmcnt(0)
	v_add_co_u32 v2, s0, s10, v2
	s_delay_alu instid0(VALU_DEP_1)
	v_add_co_ci_u32_e64 v3, s0, s11, v3, s0
	s_ashr_i32 s0, s3, 31
	global_load_b64 v[2:3], v[2:3], off
	s_waitcnt vmcnt(0)
	v_mul_lo_u32 v11, v3, s3
	v_mul_lo_u32 v12, v2, s0
	v_mad_u64_u32 v[3:4], null, v2, s3, 0
	s_delay_alu instid0(VALU_DEP_1) | instskip(SKIP_1) | instid1(VALU_DEP_2)
	v_add3_u32 v4, v4, v12, v11
	v_mov_b32_e32 v11, v7
	v_lshlrev_b64 v[2:3], 1, v[3:4]
	v_lshlrev_b32_e32 v4, 4, v7
	s_delay_alu instid0(VALU_DEP_1) | instskip(NEXT) | instid1(VALU_DEP_1)
	v_add_co_u32 v2, s0, v2, v4
	v_add_co_ci_u32_e64 v3, s0, 0, v3, s0
	v_add3_u32 v4, v10, v4, 0
	s_delay_alu instid0(VALU_DEP_3) | instskip(NEXT) | instid1(VALU_DEP_1)
	v_add_co_u32 v2, s0, s8, v2
	v_add_co_ci_u32_e64 v3, s0, s9, v3, s0
	s_mov_b32 s8, 0
	.p2align	6
.LBB138_6:                              ; =>This Inner Loop Header: Depth=1
	global_load_b128 v[12:15], v[2:3], off
	v_add_nc_u32_e32 v11, 32, v11
	v_add_co_u32 v2, s0, 0x200, v2
	s_delay_alu instid0(VALU_DEP_1) | instskip(NEXT) | instid1(VALU_DEP_3)
	v_add_co_ci_u32_e64 v3, s0, 0, v3, s0
	v_cmp_le_i32_e64 s1, s2, v11
	s_delay_alu instid0(VALU_DEP_1)
	s_or_b32 s8, s1, s8
	s_waitcnt vmcnt(0)
	ds_store_b128 v4, v[12:15]
	v_add_nc_u32_e32 v4, 0x200, v4
	s_and_not1_b32 exec_lo, exec_lo, s8
	s_cbranch_execnz .LBB138_6
.LBB138_7:
	s_or_b32 exec_lo, exec_lo, s20
	s_delay_alu instid0(SALU_CYCLE_1)
	s_and_b32 exec_lo, exec_lo, vcc_lo
	s_cbranch_execz .LBB138_20
; %bb.8:
	s_waitcnt lgkmcnt(0)
	s_clause 0x1
	global_load_b32 v3, v9, s[4:5]
	global_load_b32 v4, v9, s[6:7]
	v_mbcnt_lo_u32_b32 v11, -1, 0
	s_lshr_b32 s0, s3, 31
	s_add_i32 s1, s18, s17
	s_lshl_b32 s2, s14, 3
	s_add_i32 s0, s3, s0
	v_xor_b32_e32 v13, 16, v11
	s_add_i32 s1, s1, s16
	s_ashr_i32 s3, s0, 1
	s_and_b32 s4, s0, -2
	s_sub_i32 s0, s1, s2
	v_lshlrev_b32_e32 v2, 1, v7
	v_xor_b32_e32 v14, 8, v11
	v_mul_lo_u32 v1, s0, v1
	v_cmp_gt_i32_e64 s0, 32, v13
	v_add_nc_u32_e32 v12, s15, v8
	v_xor_b32_e32 v15, 4, v11
	v_add3_u32 v8, 0, v10, v2
	v_xor_b32_e32 v16, 2, v11
	v_cndmask_b32_e64 v10, v11, v13, s0
	v_cmp_gt_i32_e64 s0, 32, v14
	v_add3_u32 v9, v12, v9, 0
	v_xor_b32_e32 v17, 1, v11
	v_lshl_add_u32 v0, v1, 6, v0
	v_cmp_le_i32_e32 vcc_lo, s3, v7
	v_cndmask_b32_e64 v12, v11, v14, s0
	v_cmp_gt_i32_e64 s0, 32, v15
	v_add_nc_u32_e32 v7, s4, v8
	v_lshlrev_b32_e32 v10, 2, v10
	v_or_b32_e32 v0, v0, v2
	s_mov_b32 s2, 0
	v_cndmask_b32_e64 v13, v11, v15, s0
	v_cmp_gt_i32_e64 s0, 32, v16
	s_mov_b32 s3, 0
	s_delay_alu instid0(VALU_DEP_1) | instskip(SKIP_1) | instid1(VALU_DEP_1)
	v_cndmask_b32_e64 v14, v11, v16, s0
	v_cmp_gt_i32_e64 s0, 32, v17
	v_cndmask_b32_e64 v15, v11, v17, s0
	v_lshlrev_b32_e32 v11, 2, v12
	v_lshlrev_b32_e32 v12, 2, v13
	;; [unrolled: 1-line block ×3, first 2 shown]
	s_delay_alu instid0(VALU_DEP_4)
	v_lshlrev_b32_e32 v14, 2, v15
	s_waitcnt vmcnt(1)
	v_lshrrev_b32_e32 v15, 16, v3
	s_waitcnt vmcnt(0)
	v_lshrrev_b32_e32 v16, 16, v4
	s_branch .LBB138_10
.LBB138_9:                              ;   in Loop: Header=BB138_10 Depth=1
	s_or_b32 exec_lo, exec_lo, s1
	v_ashrrev_i32_e32 v1, 31, v0
	v_lshrrev_b32_e32 v17, 16, v17
	s_add_i32 s3, s3, 1
	v_add_nc_u32_e32 v9, 0x80, v9
	v_cmp_ge_i32_e64 s0, s3, v6
	v_lshlrev_b64 v[1:2], 1, v[0:1]
	v_and_or_b32 v17, 0xffff0000, v18, v17
	v_add_nc_u32_e32 v0, 64, v0
	s_delay_alu instid0(VALU_DEP_4) | instskip(NEXT) | instid1(VALU_DEP_3)
	s_or_b32 s2, s0, s2
	v_add_co_u32 v1, s1, s12, v1
	s_delay_alu instid0(VALU_DEP_1)
	v_add_co_ci_u32_e64 v2, s1, s13, v2, s1
	global_store_b32 v[1:2], v17, off
	s_and_not1_b32 exec_lo, exec_lo, s2
	s_cbranch_execz .LBB138_20
.LBB138_10:                             ; =>This Inner Loop Header: Depth=1
	ds_load_b32 v1, v9
	s_waitcnt lgkmcnt(0)
	v_lshlrev_b32_e32 v17, 16, v1
	v_and_b32_e32 v1, 0xffff0000, v1
	s_delay_alu instid0(VALU_DEP_2) | instskip(NEXT) | instid1(VALU_DEP_1)
	v_mul_f32_e32 v2, v17, v17
	v_fmac_f32_e32 v2, v1, v1
	ds_bpermute_b32 v18, v10, v2
	s_waitcnt lgkmcnt(0)
	v_add_f32_e32 v2, v2, v18
	ds_bpermute_b32 v18, v11, v2
	s_waitcnt lgkmcnt(0)
	v_add_f32_e32 v2, v2, v18
	;; [unrolled: 3-line block ×5, first 2 shown]
	s_delay_alu instid0(VALU_DEP_1) | instskip(NEXT) | instid1(VALU_DEP_1)
	v_fma_f32 v2, 0x3c800000, v2, s19
	v_mul_f32_e32 v18, 0x4b800000, v2
	v_cmp_gt_f32_e64 s0, 0x800000, v2
	s_delay_alu instid0(VALU_DEP_1) | instskip(NEXT) | instid1(VALU_DEP_1)
	v_cndmask_b32_e64 v2, v2, v18, s0
	v_rsq_f32_e32 v2, v2
	s_waitcnt_depctr 0xfff
	v_dual_mul_f32 v19, 0x45800000, v2 :: v_dual_add_nc_u32 v18, s3, v5
	s_delay_alu instid0(VALU_DEP_1) | instskip(NEXT) | instid1(VALU_DEP_2)
	v_cmp_gt_i32_e64 s1, s16, v18
	v_cndmask_b32_e64 v2, v2, v19, s0
	s_delay_alu instid0(VALU_DEP_2) | instskip(SKIP_1) | instid1(VALU_DEP_2)
	v_cndmask_b32_e64 v18, v16, v15, s1
	v_cndmask_b32_e64 v20, v4, v3, s1
	v_lshlrev_b32_e32 v18, 16, v18
	s_delay_alu instid0(VALU_DEP_1) | instskip(NEXT) | instid1(VALU_DEP_1)
	v_dual_mul_f32 v18, v2, v18 :: v_dual_lshlrev_b32 v19, 16, v20
	v_mul_f32_e32 v19, v2, v19
	s_delay_alu instid0(VALU_DEP_2) | instskip(NEXT) | instid1(VALU_DEP_2)
	v_mul_f32_e32 v2, v18, v1
	v_mul_f32_e32 v1, v19, v17
	s_and_saveexec_b32 s0, vcc_lo
	s_delay_alu instid0(SALU_CYCLE_1) | instskip(NEXT) | instid1(SALU_CYCLE_1)
	s_xor_b32 s0, exec_lo, s0
	s_and_not1_saveexec_b32 s0, s0
	s_cbranch_execz .LBB138_12
; %bb.11:                               ;   in Loop: Header=BB138_10 Depth=1
	ds_load_u16 v17, v7
	ds_load_u16 v18, v8
	s_waitcnt lgkmcnt(1)
	v_lshlrev_b32_e32 v19, 16, v17
	s_waitcnt lgkmcnt(0)
	s_delay_alu instid0(VALU_DEP_1) | instskip(NEXT) | instid1(VALU_DEP_1)
	v_dual_mul_f32 v20, v2, v19 :: v_dual_lshlrev_b32 v17, 16, v18
	v_mul_f32_e32 v18, v2, v17
	s_delay_alu instid0(VALU_DEP_2) | instskip(NEXT) | instid1(VALU_DEP_2)
	v_fma_f32 v17, v1, v17, -v20
	v_fmac_f32_e32 v18, v1, v19
	s_delay_alu instid0(VALU_DEP_1)
	v_dual_mov_b32 v1, v17 :: v_dual_mov_b32 v2, v18
.LBB138_12:                             ;   in Loop: Header=BB138_10 Depth=1
	s_or_b32 exec_lo, exec_lo, s0
	s_delay_alu instid0(VALU_DEP_1) | instskip(NEXT) | instid1(VALU_DEP_1)
	v_and_b32_e32 v17, 0x7f800000, v1
	v_cmp_ne_u32_e64 s0, 0x7f800000, v17
                                        ; implicit-def: $vgpr17
	s_delay_alu instid0(VALU_DEP_1) | instskip(NEXT) | instid1(SALU_CYCLE_1)
	s_and_saveexec_b32 s1, s0
	s_xor_b32 s0, exec_lo, s1
; %bb.13:                               ;   in Loop: Header=BB138_10 Depth=1
	v_bfe_u32 v17, v1, 16, 1
	s_delay_alu instid0(VALU_DEP_1)
	v_add3_u32 v17, v1, v17, 0x7fff
; %bb.14:                               ;   in Loop: Header=BB138_10 Depth=1
	s_and_not1_saveexec_b32 s1, s0
; %bb.15:                               ;   in Loop: Header=BB138_10 Depth=1
	v_and_b32_e32 v17, 0xffff, v1
	v_or_b32_e32 v18, 0x10000, v1
	s_delay_alu instid0(VALU_DEP_2) | instskip(NEXT) | instid1(VALU_DEP_1)
	v_cmp_eq_u32_e64 s0, 0, v17
	v_cndmask_b32_e64 v17, v18, v1, s0
; %bb.16:                               ;   in Loop: Header=BB138_10 Depth=1
	s_or_b32 exec_lo, exec_lo, s1
	v_and_b32_e32 v1, 0x7f800000, v2
                                        ; implicit-def: $vgpr18
	s_delay_alu instid0(VALU_DEP_1) | instskip(NEXT) | instid1(VALU_DEP_1)
	v_cmp_ne_u32_e64 s0, 0x7f800000, v1
	s_and_saveexec_b32 s1, s0
	s_delay_alu instid0(SALU_CYCLE_1)
	s_xor_b32 s0, exec_lo, s1
; %bb.17:                               ;   in Loop: Header=BB138_10 Depth=1
	v_bfe_u32 v1, v2, 16, 1
	s_delay_alu instid0(VALU_DEP_1)
	v_add3_u32 v18, v2, v1, 0x7fff
                                        ; implicit-def: $vgpr1_vgpr2
; %bb.18:                               ;   in Loop: Header=BB138_10 Depth=1
	s_and_not1_saveexec_b32 s1, s0
	s_cbranch_execz .LBB138_9
; %bb.19:                               ;   in Loop: Header=BB138_10 Depth=1
	v_and_b32_e32 v1, 0xffff, v2
	v_or_b32_e32 v18, 0x10000, v2
	s_delay_alu instid0(VALU_DEP_2) | instskip(NEXT) | instid1(VALU_DEP_1)
	v_cmp_eq_u32_e64 s0, 0, v1
	v_cndmask_b32_e64 v18, v18, v2, s0
	s_branch .LBB138_9
.LBB138_20:
	s_nop 0
	s_sendmsg sendmsg(MSG_DEALLOC_VGPRS)
	s_endpgm
	.section	.rodata,"a",@progbits
	.p2align	6, 0x0
	.amdhsa_kernel _ZN12tensorrt_llm7kernels32fusedQKNormRopeKernelNTokenHeadsIN3c108BFloat16ES3_Li64ELb1ELi8EEEvPviiifPKvS6_S6_PKlii
		.amdhsa_group_segment_fixed_size 0
		.amdhsa_private_segment_fixed_size 0
		.amdhsa_kernarg_size 320
		.amdhsa_user_sgpr_count 15
		.amdhsa_user_sgpr_dispatch_ptr 0
		.amdhsa_user_sgpr_queue_ptr 0
		.amdhsa_user_sgpr_kernarg_segment_ptr 1
		.amdhsa_user_sgpr_dispatch_id 0
		.amdhsa_user_sgpr_private_segment_size 0
		.amdhsa_wavefront_size32 1
		.amdhsa_uses_dynamic_stack 0
		.amdhsa_enable_private_segment 0
		.amdhsa_system_sgpr_workgroup_id_x 1
		.amdhsa_system_sgpr_workgroup_id_y 0
		.amdhsa_system_sgpr_workgroup_id_z 0
		.amdhsa_system_sgpr_workgroup_info 0
		.amdhsa_system_vgpr_workitem_id 0
		.amdhsa_next_free_vgpr 21
		.amdhsa_next_free_sgpr 21
		.amdhsa_reserve_vcc 1
		.amdhsa_float_round_mode_32 0
		.amdhsa_float_round_mode_16_64 0
		.amdhsa_float_denorm_mode_32 3
		.amdhsa_float_denorm_mode_16_64 3
		.amdhsa_dx10_clamp 1
		.amdhsa_ieee_mode 1
		.amdhsa_fp16_overflow 0
		.amdhsa_workgroup_processor_mode 1
		.amdhsa_memory_ordered 1
		.amdhsa_forward_progress 0
		.amdhsa_shared_vgpr_count 0
		.amdhsa_exception_fp_ieee_invalid_op 0
		.amdhsa_exception_fp_denorm_src 0
		.amdhsa_exception_fp_ieee_div_zero 0
		.amdhsa_exception_fp_ieee_overflow 0
		.amdhsa_exception_fp_ieee_underflow 0
		.amdhsa_exception_fp_ieee_inexact 0
		.amdhsa_exception_int_div_zero 0
	.end_amdhsa_kernel
	.section	.text._ZN12tensorrt_llm7kernels32fusedQKNormRopeKernelNTokenHeadsIN3c108BFloat16ES3_Li64ELb1ELi8EEEvPviiifPKvS6_S6_PKlii,"axG",@progbits,_ZN12tensorrt_llm7kernels32fusedQKNormRopeKernelNTokenHeadsIN3c108BFloat16ES3_Li64ELb1ELi8EEEvPviiifPKvS6_S6_PKlii,comdat
.Lfunc_end138:
	.size	_ZN12tensorrt_llm7kernels32fusedQKNormRopeKernelNTokenHeadsIN3c108BFloat16ES3_Li64ELb1ELi8EEEvPviiifPKvS6_S6_PKlii, .Lfunc_end138-_ZN12tensorrt_llm7kernels32fusedQKNormRopeKernelNTokenHeadsIN3c108BFloat16ES3_Li64ELb1ELi8EEEvPviiifPKvS6_S6_PKlii
                                        ; -- End function
	.section	.AMDGPU.csdata,"",@progbits
; Kernel info:
; codeLenInByte = 1796
; NumSgprs: 23
; NumVgprs: 21
; ScratchSize: 0
; MemoryBound: 0
; FloatMode: 240
; IeeeMode: 1
; LDSByteSize: 0 bytes/workgroup (compile time only)
; SGPRBlocks: 2
; VGPRBlocks: 2
; NumSGPRsForWavesPerEU: 23
; NumVGPRsForWavesPerEU: 21
; Occupancy: 16
; WaveLimiterHint : 0
; COMPUTE_PGM_RSRC2:SCRATCH_EN: 0
; COMPUTE_PGM_RSRC2:USER_SGPR: 15
; COMPUTE_PGM_RSRC2:TRAP_HANDLER: 0
; COMPUTE_PGM_RSRC2:TGID_X_EN: 1
; COMPUTE_PGM_RSRC2:TGID_Y_EN: 0
; COMPUTE_PGM_RSRC2:TGID_Z_EN: 0
; COMPUTE_PGM_RSRC2:TIDIG_COMP_CNT: 0
	.section	.text._ZN12tensorrt_llm7kernels32fusedQKNormRopeKernelNTokenHeadsIN3c108BFloat16ES3_Li64ELb0ELi8EEEvPviiifPKvS6_S6_PKlii,"axG",@progbits,_ZN12tensorrt_llm7kernels32fusedQKNormRopeKernelNTokenHeadsIN3c108BFloat16ES3_Li64ELb0ELi8EEEvPviiifPKvS6_S6_PKlii,comdat
	.protected	_ZN12tensorrt_llm7kernels32fusedQKNormRopeKernelNTokenHeadsIN3c108BFloat16ES3_Li64ELb0ELi8EEEvPviiifPKvS6_S6_PKlii ; -- Begin function _ZN12tensorrt_llm7kernels32fusedQKNormRopeKernelNTokenHeadsIN3c108BFloat16ES3_Li64ELb0ELi8EEEvPviiifPKvS6_S6_PKlii
	.globl	_ZN12tensorrt_llm7kernels32fusedQKNormRopeKernelNTokenHeadsIN3c108BFloat16ES3_Li64ELb0ELi8EEEvPviiifPKvS6_S6_PKlii
	.p2align	8
	.type	_ZN12tensorrt_llm7kernels32fusedQKNormRopeKernelNTokenHeadsIN3c108BFloat16ES3_Li64ELb0ELi8EEEvPviiifPKvS6_S6_PKlii,@function
_ZN12tensorrt_llm7kernels32fusedQKNormRopeKernelNTokenHeadsIN3c108BFloat16ES3_Li64ELb0ELi8EEEvPviiifPKvS6_S6_PKlii: ; @_ZN12tensorrt_llm7kernels32fusedQKNormRopeKernelNTokenHeadsIN3c108BFloat16ES3_Li64ELb0ELi8EEEvPviiifPKvS6_S6_PKlii
; %bb.0:
	s_clause 0x1
	s_load_b128 s[16:19], s[0:1], 0x8
	s_load_b64 s[2:3], s[0:1], 0x38
	v_lshrrev_b32_e32 v2, 5, v0
	s_waitcnt lgkmcnt(0)
	s_add_i32 s4, s17, s16
	s_delay_alu instid0(SALU_CYCLE_1) | instskip(NEXT) | instid1(SALU_CYCLE_1)
	s_add_i32 s5, s4, 7
	s_ashr_i32 s6, s5, 31
	s_delay_alu instid0(SALU_CYCLE_1) | instskip(NEXT) | instid1(SALU_CYCLE_1)
	s_lshr_b32 s6, s6, 29
	s_add_i32 s5, s5, s6
	s_delay_alu instid0(SALU_CYCLE_1) | instskip(SKIP_2) | instid1(SALU_CYCLE_1)
	s_ashr_i32 s14, s5, 3
	s_load_b32 s5, s[0:1], 0x4c
	s_abs_i32 s6, s14
	v_cvt_f32_u32_e32 v1, s6
	s_sub_i32 s7, 0, s6
	s_delay_alu instid0(VALU_DEP_1) | instskip(SKIP_4) | instid1(SALU_CYCLE_1)
	v_rcp_iflag_f32_e32 v1, v1
	s_waitcnt_depctr 0xfff
	v_mul_f32_e32 v1, 0x4f7ffffe, v1
	s_waitcnt lgkmcnt(0)
	s_bfe_u32 s5, s5, 0xb0005
	v_mad_u64_u32 v[3:4], null, s15, s5, v[2:3]
	s_delay_alu instid0(VALU_DEP_2) | instskip(NEXT) | instid1(VALU_DEP_1)
	v_cvt_u32_f32_e32 v1, v1
	v_mul_lo_u32 v5, s7, v1
	s_delay_alu instid0(VALU_DEP_1) | instskip(NEXT) | instid1(VALU_DEP_4)
	v_mul_hi_u32 v4, v1, v5
	v_sub_nc_u32_e32 v5, 0, v3
	s_delay_alu instid0(VALU_DEP_1) | instskip(NEXT) | instid1(VALU_DEP_3)
	v_max_i32_e32 v5, v3, v5
	v_add_nc_u32_e32 v1, v1, v4
	s_delay_alu instid0(VALU_DEP_1) | instskip(NEXT) | instid1(VALU_DEP_1)
	v_mul_hi_u32 v1, v5, v1
	v_mul_lo_u32 v4, v1, s6
	s_delay_alu instid0(VALU_DEP_1) | instskip(SKIP_1) | instid1(VALU_DEP_2)
	v_sub_nc_u32_e32 v4, v5, v4
	v_add_nc_u32_e32 v5, 1, v1
	v_subrev_nc_u32_e32 v6, s6, v4
	v_cmp_le_u32_e32 vcc_lo, s6, v4
	s_delay_alu instid0(VALU_DEP_2) | instskip(SKIP_1) | instid1(VALU_DEP_2)
	v_dual_cndmask_b32 v4, v4, v6 :: v_dual_cndmask_b32 v1, v1, v5
	v_xor_b32_e32 v5, s14, v3
	v_cmp_le_u32_e32 vcc_lo, s6, v4
	s_delay_alu instid0(VALU_DEP_3) | instskip(NEXT) | instid1(VALU_DEP_3)
	v_add_nc_u32_e32 v6, 1, v1
	v_ashrrev_i32_e32 v5, 31, v5
	s_delay_alu instid0(VALU_DEP_2) | instskip(NEXT) | instid1(VALU_DEP_1)
	v_cndmask_b32_e32 v1, v1, v6, vcc_lo
	v_xor_b32_e32 v1, v1, v5
	s_delay_alu instid0(VALU_DEP_1) | instskip(NEXT) | instid1(VALU_DEP_1)
	v_sub_nc_u32_e32 v1, v1, v5
	v_cmp_gt_i32_e32 vcc_lo, s2, v1
	s_and_saveexec_b32 s2, vcc_lo
	s_cbranch_execz .LBB139_20
; %bb.1:
	v_mul_lo_u32 v4, v1, s14
	s_load_b64 s[12:13], s[0:1], 0x0
	v_and_b32_e32 v0, 31, v0
	v_lshlrev_b32_e32 v9, 10, v2
	v_lshlrev_b32_e32 v8, 9, v3
	s_lshl_b32 s20, s3, 1
	s_delay_alu instid0(VALU_DEP_3) | instskip(SKIP_2) | instid1(VALU_DEP_1)
	v_lshlrev_b32_e32 v7, 2, v0
	v_sub_nc_u32_e32 v4, v3, v4
	s_mul_i32 s15, s20, s5
	v_lshlrev_b32_e32 v5, 3, v4
	s_delay_alu instid0(VALU_DEP_1) | instskip(SKIP_1) | instid1(VALU_DEP_2)
	v_add_nc_u32_e32 v4, 8, v5
	v_sub_nc_u32_e32 v6, s4, v5
	v_cmp_lt_i32_e32 vcc_lo, s4, v4
	s_delay_alu instid0(VALU_DEP_2) | instskip(NEXT) | instid1(VALU_DEP_1)
	v_cndmask_b32_e32 v6, 8, v6, vcc_lo
	v_cmp_lt_i32_e32 vcc_lo, 0, v6
	s_and_saveexec_b32 s4, vcc_lo
	s_cbranch_execz .LBB139_4
; %bb.2:
	s_add_i32 s2, s18, s17
	s_lshl_b32 s5, s14, 3
	s_add_i32 s2, s2, s16
	s_mov_b32 s6, 0
	s_sub_i32 s2, s2, s5
	s_mov_b32 s5, 0
	v_mul_lo_u32 v3, s2, v1
	s_add_i32 s2, s15, 0
	s_delay_alu instid0(SALU_CYCLE_1) | instskip(NEXT) | instid1(VALU_DEP_2)
	v_add3_u32 v10, s2, v9, v7
	v_lshl_add_u32 v3, v3, 6, v8
	s_delay_alu instid0(VALU_DEP_1)
	v_lshl_or_b32 v3, v0, 1, v3
	.p2align	6
.LBB139_3:                              ; =>This Inner Loop Header: Depth=1
	s_delay_alu instid0(VALU_DEP_1) | instskip(SKIP_1) | instid1(VALU_DEP_1)
	v_ashrrev_i32_e32 v4, 31, v3
	s_add_i32 s6, s6, 1
	v_lshlrev_b64 v[11:12], 1, v[3:4]
	v_add_nc_u32_e32 v3, 64, v3
	s_waitcnt lgkmcnt(0)
	s_delay_alu instid0(VALU_DEP_2) | instskip(NEXT) | instid1(VALU_DEP_1)
	v_add_co_u32 v11, s2, s12, v11
	v_add_co_ci_u32_e64 v12, s2, s13, v12, s2
	v_cmp_ge_i32_e64 s2, s6, v6
	global_load_b32 v4, v[11:12], off
	s_or_b32 s5, s2, s5
	s_waitcnt vmcnt(0)
	ds_store_b32 v10, v4
	v_add_nc_u32_e32 v10, 0x80, v10
	s_and_not1_b32 exec_lo, exec_lo, s5
	s_cbranch_execnz .LBB139_3
.LBB139_4:
	s_or_b32 exec_lo, exec_lo, s4
	s_load_b256 s[4:11], s[0:1], 0x18
	s_add_i32 s0, s20, 15
	v_mul_lo_u32 v10, v2, s3
	s_ashr_i32 s1, s0, 31
	s_mov_b32 s20, exec_lo
	s_lshr_b32 s1, s1, 28
	s_delay_alu instid0(SALU_CYCLE_1) | instskip(NEXT) | instid1(SALU_CYCLE_1)
	s_add_i32 s0, s0, s1
	s_ashr_i32 s2, s0, 4
	s_delay_alu instid0(SALU_CYCLE_1)
	v_cmpx_gt_i32_e64 s2, v0
	s_cbranch_execz .LBB139_7
; %bb.5:
	v_ashrrev_i32_e32 v2, 31, v1
	s_delay_alu instid0(VALU_DEP_1) | instskip(SKIP_1) | instid1(VALU_DEP_1)
	v_lshlrev_b64 v[2:3], 3, v[1:2]
	s_waitcnt lgkmcnt(0)
	v_add_co_u32 v2, s0, s10, v2
	s_delay_alu instid0(VALU_DEP_1)
	v_add_co_ci_u32_e64 v3, s0, s11, v3, s0
	s_ashr_i32 s0, s3, 31
	global_load_b64 v[2:3], v[2:3], off
	s_waitcnt vmcnt(0)
	v_mul_lo_u32 v11, v3, s3
	v_mul_lo_u32 v12, v2, s0
	v_mad_u64_u32 v[3:4], null, v2, s3, 0
	s_delay_alu instid0(VALU_DEP_1) | instskip(SKIP_1) | instid1(VALU_DEP_2)
	v_add3_u32 v4, v4, v12, v11
	v_lshlrev_b32_e32 v11, 1, v10
	v_lshlrev_b64 v[2:3], 1, v[3:4]
	v_lshlrev_b32_e32 v4, 4, v0
	s_delay_alu instid0(VALU_DEP_1) | instskip(NEXT) | instid1(VALU_DEP_1)
	v_add_co_u32 v2, s0, v2, v4
	v_add_co_ci_u32_e64 v3, s0, 0, v3, s0
	v_add3_u32 v4, v11, v4, 0
	v_mov_b32_e32 v11, v0
	s_delay_alu instid0(VALU_DEP_4) | instskip(NEXT) | instid1(VALU_DEP_1)
	v_add_co_u32 v2, s0, s8, v2
	v_add_co_ci_u32_e64 v3, s0, s9, v3, s0
	s_mov_b32 s8, 0
	.p2align	6
.LBB139_6:                              ; =>This Inner Loop Header: Depth=1
	global_load_b128 v[12:15], v[2:3], off
	v_add_nc_u32_e32 v11, 32, v11
	v_add_co_u32 v2, s0, 0x200, v2
	s_delay_alu instid0(VALU_DEP_1) | instskip(NEXT) | instid1(VALU_DEP_3)
	v_add_co_ci_u32_e64 v3, s0, 0, v3, s0
	v_cmp_le_i32_e64 s1, s2, v11
	s_delay_alu instid0(VALU_DEP_1)
	s_or_b32 s8, s1, s8
	s_waitcnt vmcnt(0)
	ds_store_b128 v4, v[12:15]
	v_add_nc_u32_e32 v4, 0x200, v4
	s_and_not1_b32 exec_lo, exec_lo, s8
	s_cbranch_execnz .LBB139_6
.LBB139_7:
	s_or_b32 exec_lo, exec_lo, s20
	s_delay_alu instid0(SALU_CYCLE_1)
	s_and_b32 exec_lo, exec_lo, vcc_lo
	s_cbranch_execz .LBB139_20
; %bb.8:
	s_waitcnt lgkmcnt(0)
	s_clause 0x1
	global_load_b32 v3, v7, s[4:5]
	global_load_b32 v4, v7, s[6:7]
	s_abs_i32 s2, s3
	v_lshl_add_u32 v16, v10, 1, 0
	v_cvt_f32_u32_e32 v2, s2
	s_sub_i32 s0, 0, s2
	v_mbcnt_lo_u32_b32 v10, -1, 0
	v_or_b32_e32 v12, 2, v7
	s_add_i32 s1, s18, s17
	v_rcp_iflag_f32_e32 v2, v2
	v_add_nc_u32_e32 v20, s15, v9
	v_xor_b32_e32 v9, 16, v10
	s_lshl_b32 s4, s14, 3
	s_add_i32 s1, s1, s16
	v_xor_b32_e32 v13, 4, v10
	s_sub_i32 s1, s1, s4
	v_xor_b32_e32 v15, 2, v10
	v_mul_lo_u32 v1, s1, v1
	v_cmp_gt_i32_e64 s1, 32, v9
	v_mul_f32_e32 v2, 0x4f7ffffe, v2
	v_xor_b32_e32 v17, 1, v10
	s_mov_b32 s4, 0
	s_delay_alu instid0(VALU_DEP_3) | instskip(NEXT) | instid1(VALU_DEP_3)
	v_cndmask_b32_e64 v9, v10, v9, s1
	v_cvt_u32_f32_e32 v2, v2
	v_lshl_add_u32 v1, v1, 6, v8
	s_delay_alu instid0(VALU_DEP_3) | instskip(NEXT) | instid1(VALU_DEP_3)
	v_lshlrev_b32_e32 v8, 2, v9
	v_mul_lo_u32 v11, s0, v2
	s_lshr_b32 s0, s3, 31
	s_delay_alu instid0(SALU_CYCLE_1) | instskip(NEXT) | instid1(SALU_CYCLE_1)
	s_add_i32 s0, s3, s0
	s_ashr_i32 s3, s0, 1
	s_and_b32 s0, s0, -2
	v_cmp_gt_i32_e32 vcc_lo, s3, v0
	s_delay_alu instid0(VALU_DEP_2)
	v_mul_hi_u32 v11, v2, v11
	v_add_nc_u32_e32 v18, s0, v16
	s_lshr_b32 s0, s3, 1
	s_mov_b32 s3, 0
	v_xor_b32_e32 v19, s0, v10
	v_cmp_gt_u32_e64 s0, s0, v0
	v_lshl_or_b32 v0, v0, 1, v1
	v_add_nc_u32_e32 v2, v2, v11
	v_xor_b32_e32 v11, 8, v10
	s_delay_alu instid0(VALU_DEP_2) | instskip(SKIP_1) | instid1(VALU_DEP_3)
	v_mul_hi_u32 v14, v7, v2
	v_mul_hi_u32 v2, v12, v2
	v_cmp_gt_i32_e64 s1, 32, v11
	s_delay_alu instid0(VALU_DEP_1) | instskip(SKIP_1) | instid1(VALU_DEP_4)
	v_cndmask_b32_e64 v11, v10, v11, s1
	v_cmp_gt_i32_e64 s1, 32, v13
	v_mul_lo_u32 v2, v2, s2
	v_mul_lo_u32 v14, v14, s2
	s_delay_alu instid0(VALU_DEP_4) | instskip(NEXT) | instid1(VALU_DEP_3)
	v_lshlrev_b32_e32 v9, 2, v11
	v_sub_nc_u32_e32 v2, v12, v2
	v_cndmask_b32_e64 v12, v10, v13, s1
	v_cmp_gt_i32_e64 s1, 32, v15
	v_sub_nc_u32_e32 v14, v7, v14
	v_add3_u32 v7, v20, v7, 0
	v_subrev_nc_u32_e32 v21, s2, v2
	s_delay_alu instid0(VALU_DEP_4) | instskip(SKIP_2) | instid1(VALU_DEP_3)
	v_cndmask_b32_e64 v13, v10, v15, s1
	v_cmp_gt_i32_e64 s1, 32, v17
	v_subrev_nc_u32_e32 v15, s2, v14
	v_lshlrev_b32_e32 v11, 2, v13
	s_delay_alu instid0(VALU_DEP_3) | instskip(SKIP_1) | instid1(VALU_DEP_1)
	v_cndmask_b32_e64 v17, v10, v17, s1
	v_cmp_le_u32_e64 s1, s2, v14
	v_cndmask_b32_e64 v14, v14, v15, s1
	v_cmp_le_u32_e64 s1, s2, v2
	s_delay_alu instid0(VALU_DEP_1) | instskip(SKIP_1) | instid1(VALU_DEP_1)
	v_cndmask_b32_e64 v2, v2, v21, s1
	v_cmp_gt_i32_e64 s1, 32, v19
	v_cndmask_b32_e64 v15, v10, v19, s1
	v_subrev_nc_u32_e32 v10, s2, v14
	v_cmp_le_u32_e64 s1, s2, v14
	v_subrev_nc_u32_e32 v19, s2, v2
	s_delay_alu instid0(VALU_DEP_4) | instskip(NEXT) | instid1(VALU_DEP_3)
	v_lshlrev_b32_e32 v13, 2, v15
	v_cndmask_b32_e64 v14, v14, v10, s1
	v_cmp_le_u32_e64 s1, s2, v2
	v_lshlrev_b32_e32 v10, 2, v12
	v_lshlrev_b32_e32 v12, 2, v17
	s_delay_alu instid0(VALU_DEP_3) | instskip(SKIP_1) | instid1(VALU_DEP_2)
	v_cndmask_b32_e64 v2, v2, v19, s1
	v_and_b32_e32 v19, -2, v14
	v_and_b32_e32 v2, -2, v2
	s_delay_alu instid0(VALU_DEP_2) | instskip(SKIP_1) | instid1(VALU_DEP_3)
	v_add_nc_u32_e32 v14, v16, v19
	v_add_nc_u32_e32 v15, v18, v19
	;; [unrolled: 1-line block ×4, first 2 shown]
	s_waitcnt vmcnt(1)
	v_lshrrev_b32_e32 v18, 16, v3
	s_waitcnt vmcnt(0)
	v_lshrrev_b32_e32 v19, 16, v4
	s_branch .LBB139_10
.LBB139_9:                              ;   in Loop: Header=BB139_10 Depth=1
	s_or_b32 exec_lo, exec_lo, s2
	v_ashrrev_i32_e32 v1, 31, v0
	v_lshrrev_b32_e32 v20, 16, v20
	s_add_i32 s4, s4, 1
	v_add_nc_u32_e32 v7, 0x80, v7
	v_cmp_ge_i32_e64 s1, s4, v6
	v_lshlrev_b64 v[1:2], 1, v[0:1]
	v_and_or_b32 v20, 0xffff0000, v21, v20
	v_add_nc_u32_e32 v0, 64, v0
	s_delay_alu instid0(VALU_DEP_4) | instskip(NEXT) | instid1(VALU_DEP_3)
	s_or_b32 s3, s1, s3
	v_add_co_u32 v1, s2, s12, v1
	s_delay_alu instid0(VALU_DEP_1)
	v_add_co_ci_u32_e64 v2, s2, s13, v2, s2
	global_store_b32 v[1:2], v20, off
	s_and_not1_b32 exec_lo, exec_lo, s3
	s_cbranch_execz .LBB139_20
.LBB139_10:                             ; =>This Inner Loop Header: Depth=1
	ds_load_b32 v1, v7
	s_waitcnt lgkmcnt(0)
	v_and_b32_e32 v20, 0xffff0000, v1
	v_lshlrev_b32_e32 v2, 16, v1
	s_delay_alu instid0(VALU_DEP_1) | instskip(NEXT) | instid1(VALU_DEP_1)
	v_mul_f32_e32 v1, v2, v2
	v_fmac_f32_e32 v1, v20, v20
	ds_bpermute_b32 v21, v8, v1
	s_waitcnt lgkmcnt(0)
	v_add_f32_e32 v1, v1, v21
	ds_bpermute_b32 v21, v9, v1
	s_waitcnt lgkmcnt(0)
	v_add_f32_e32 v1, v1, v21
	;; [unrolled: 3-line block ×5, first 2 shown]
	s_delay_alu instid0(VALU_DEP_1) | instskip(NEXT) | instid1(VALU_DEP_1)
	v_fma_f32 v1, 0x3c800000, v1, s19
	v_mul_f32_e32 v21, 0x4b800000, v1
	v_cmp_gt_f32_e64 s1, 0x800000, v1
	s_delay_alu instid0(VALU_DEP_1) | instskip(SKIP_1) | instid1(VALU_DEP_2)
	v_cndmask_b32_e64 v1, v1, v21, s1
	v_add_nc_u32_e32 v21, s4, v5
	v_rsq_f32_e32 v1, v1
	s_delay_alu instid0(VALU_DEP_1) | instskip(NEXT) | instid1(VALU_DEP_1)
	v_cmp_gt_i32_e64 s2, s16, v21
	v_cndmask_b32_e64 v21, v4, v3, s2
	v_cndmask_b32_e64 v23, v19, v18, s2
	s_waitcnt_depctr 0xfff
	v_mul_f32_e32 v22, 0x45800000, v1
	v_lshlrev_b32_e32 v21, 16, v21
	s_delay_alu instid0(VALU_DEP_2) | instskip(NEXT) | instid1(VALU_DEP_1)
	v_cndmask_b32_e64 v1, v1, v22, s1
	v_dual_mul_f32 v21, v1, v21 :: v_dual_lshlrev_b32 v22, 16, v23
	s_delay_alu instid0(VALU_DEP_1) | instskip(NEXT) | instid1(VALU_DEP_1)
	v_mul_f32_e32 v22, v1, v22
	v_dual_mul_f32 v1, v21, v2 :: v_dual_mul_f32 v2, v22, v20
	s_and_saveexec_b32 s1, vcc_lo
	s_cbranch_execz .LBB139_12
; %bb.11:                               ;   in Loop: Header=BB139_10 Depth=1
	; wave barrier
	ds_bpermute_b32 v20, v13, v1
	ds_load_u16 v21, v15
	ds_bpermute_b32 v22, v13, v2
	ds_load_u16 v23, v17
	ds_load_u16 v24, v14
	;; [unrolled: 1-line block ×3, first 2 shown]
	; wave barrier
	s_waitcnt lgkmcnt(5)
	v_cndmask_b32_e64 v20, v20, -v20, s0
	s_waitcnt lgkmcnt(3)
	v_cndmask_b32_e64 v22, v22, -v22, s0
	s_waitcnt lgkmcnt(1)
	v_lshlrev_b32_e32 v24, 16, v24
	v_lshlrev_b32_e32 v21, 16, v21
	s_delay_alu instid0(VALU_DEP_1) | instskip(NEXT) | instid1(VALU_DEP_1)
	v_dual_mul_f32 v20, v20, v21 :: v_dual_lshlrev_b32 v23, 16, v23
	v_dual_mul_f32 v21, v22, v23 :: v_dual_fmac_f32 v20, v1, v24
	s_waitcnt lgkmcnt(0)
	v_lshlrev_b32_e32 v25, 16, v25
	s_delay_alu instid0(VALU_DEP_1) | instskip(NEXT) | instid1(VALU_DEP_1)
	v_fmac_f32_e32 v21, v2, v25
	v_dual_mov_b32 v1, v20 :: v_dual_mov_b32 v2, v21
.LBB139_12:                             ;   in Loop: Header=BB139_10 Depth=1
	s_or_b32 exec_lo, exec_lo, s1
	s_delay_alu instid0(VALU_DEP_1) | instskip(NEXT) | instid1(VALU_DEP_1)
	v_and_b32_e32 v20, 0x7f800000, v1
	v_cmp_ne_u32_e64 s1, 0x7f800000, v20
                                        ; implicit-def: $vgpr20
	s_delay_alu instid0(VALU_DEP_1) | instskip(NEXT) | instid1(SALU_CYCLE_1)
	s_and_saveexec_b32 s2, s1
	s_xor_b32 s1, exec_lo, s2
; %bb.13:                               ;   in Loop: Header=BB139_10 Depth=1
	v_bfe_u32 v20, v1, 16, 1
	s_delay_alu instid0(VALU_DEP_1)
	v_add3_u32 v20, v1, v20, 0x7fff
; %bb.14:                               ;   in Loop: Header=BB139_10 Depth=1
	s_and_not1_saveexec_b32 s2, s1
; %bb.15:                               ;   in Loop: Header=BB139_10 Depth=1
	v_and_b32_e32 v20, 0xffff, v1
	v_or_b32_e32 v21, 0x10000, v1
	s_delay_alu instid0(VALU_DEP_2) | instskip(NEXT) | instid1(VALU_DEP_1)
	v_cmp_eq_u32_e64 s1, 0, v20
	v_cndmask_b32_e64 v20, v21, v1, s1
; %bb.16:                               ;   in Loop: Header=BB139_10 Depth=1
	s_or_b32 exec_lo, exec_lo, s2
	v_and_b32_e32 v1, 0x7f800000, v2
                                        ; implicit-def: $vgpr21
	s_delay_alu instid0(VALU_DEP_1) | instskip(NEXT) | instid1(VALU_DEP_1)
	v_cmp_ne_u32_e64 s1, 0x7f800000, v1
	s_and_saveexec_b32 s2, s1
	s_delay_alu instid0(SALU_CYCLE_1)
	s_xor_b32 s1, exec_lo, s2
; %bb.17:                               ;   in Loop: Header=BB139_10 Depth=1
	v_bfe_u32 v1, v2, 16, 1
	s_delay_alu instid0(VALU_DEP_1)
	v_add3_u32 v21, v2, v1, 0x7fff
                                        ; implicit-def: $vgpr1_vgpr2
; %bb.18:                               ;   in Loop: Header=BB139_10 Depth=1
	s_and_not1_saveexec_b32 s2, s1
	s_cbranch_execz .LBB139_9
; %bb.19:                               ;   in Loop: Header=BB139_10 Depth=1
	v_and_b32_e32 v1, 0xffff, v2
	v_or_b32_e32 v21, 0x10000, v2
	s_delay_alu instid0(VALU_DEP_2) | instskip(NEXT) | instid1(VALU_DEP_1)
	v_cmp_eq_u32_e64 s1, 0, v1
	v_cndmask_b32_e64 v21, v21, v2, s1
	s_branch .LBB139_9
.LBB139_20:
	s_nop 0
	s_sendmsg sendmsg(MSG_DEALLOC_VGPRS)
	s_endpgm
	.section	.rodata,"a",@progbits
	.p2align	6, 0x0
	.amdhsa_kernel _ZN12tensorrt_llm7kernels32fusedQKNormRopeKernelNTokenHeadsIN3c108BFloat16ES3_Li64ELb0ELi8EEEvPviiifPKvS6_S6_PKlii
		.amdhsa_group_segment_fixed_size 0
		.amdhsa_private_segment_fixed_size 0
		.amdhsa_kernarg_size 320
		.amdhsa_user_sgpr_count 15
		.amdhsa_user_sgpr_dispatch_ptr 0
		.amdhsa_user_sgpr_queue_ptr 0
		.amdhsa_user_sgpr_kernarg_segment_ptr 1
		.amdhsa_user_sgpr_dispatch_id 0
		.amdhsa_user_sgpr_private_segment_size 0
		.amdhsa_wavefront_size32 1
		.amdhsa_uses_dynamic_stack 0
		.amdhsa_enable_private_segment 0
		.amdhsa_system_sgpr_workgroup_id_x 1
		.amdhsa_system_sgpr_workgroup_id_y 0
		.amdhsa_system_sgpr_workgroup_id_z 0
		.amdhsa_system_sgpr_workgroup_info 0
		.amdhsa_system_vgpr_workitem_id 0
		.amdhsa_next_free_vgpr 26
		.amdhsa_next_free_sgpr 21
		.amdhsa_reserve_vcc 1
		.amdhsa_float_round_mode_32 0
		.amdhsa_float_round_mode_16_64 0
		.amdhsa_float_denorm_mode_32 3
		.amdhsa_float_denorm_mode_16_64 3
		.amdhsa_dx10_clamp 1
		.amdhsa_ieee_mode 1
		.amdhsa_fp16_overflow 0
		.amdhsa_workgroup_processor_mode 1
		.amdhsa_memory_ordered 1
		.amdhsa_forward_progress 0
		.amdhsa_shared_vgpr_count 0
		.amdhsa_exception_fp_ieee_invalid_op 0
		.amdhsa_exception_fp_denorm_src 0
		.amdhsa_exception_fp_ieee_div_zero 0
		.amdhsa_exception_fp_ieee_overflow 0
		.amdhsa_exception_fp_ieee_underflow 0
		.amdhsa_exception_fp_ieee_inexact 0
		.amdhsa_exception_int_div_zero 0
	.end_amdhsa_kernel
	.section	.text._ZN12tensorrt_llm7kernels32fusedQKNormRopeKernelNTokenHeadsIN3c108BFloat16ES3_Li64ELb0ELi8EEEvPviiifPKvS6_S6_PKlii,"axG",@progbits,_ZN12tensorrt_llm7kernels32fusedQKNormRopeKernelNTokenHeadsIN3c108BFloat16ES3_Li64ELb0ELi8EEEvPviiifPKvS6_S6_PKlii,comdat
.Lfunc_end139:
	.size	_ZN12tensorrt_llm7kernels32fusedQKNormRopeKernelNTokenHeadsIN3c108BFloat16ES3_Li64ELb0ELi8EEEvPviiifPKvS6_S6_PKlii, .Lfunc_end139-_ZN12tensorrt_llm7kernels32fusedQKNormRopeKernelNTokenHeadsIN3c108BFloat16ES3_Li64ELb0ELi8EEEvPviiifPKvS6_S6_PKlii
                                        ; -- End function
	.section	.AMDGPU.csdata,"",@progbits
; Kernel info:
; codeLenInByte = 2112
; NumSgprs: 23
; NumVgprs: 26
; ScratchSize: 0
; MemoryBound: 0
; FloatMode: 240
; IeeeMode: 1
; LDSByteSize: 0 bytes/workgroup (compile time only)
; SGPRBlocks: 2
; VGPRBlocks: 3
; NumSGPRsForWavesPerEU: 23
; NumVGPRsForWavesPerEU: 26
; Occupancy: 16
; WaveLimiterHint : 0
; COMPUTE_PGM_RSRC2:SCRATCH_EN: 0
; COMPUTE_PGM_RSRC2:USER_SGPR: 15
; COMPUTE_PGM_RSRC2:TRAP_HANDLER: 0
; COMPUTE_PGM_RSRC2:TGID_X_EN: 1
; COMPUTE_PGM_RSRC2:TGID_Y_EN: 0
; COMPUTE_PGM_RSRC2:TGID_Z_EN: 0
; COMPUTE_PGM_RSRC2:TIDIG_COMP_CNT: 0
	.section	.text._ZN12tensorrt_llm7kernels32fusedQKNormRopeKernelNTokenHeadsIN3c108BFloat16ES3_Li128ELb1ELi8EEEvPviiifPKvS6_S6_PKlii,"axG",@progbits,_ZN12tensorrt_llm7kernels32fusedQKNormRopeKernelNTokenHeadsIN3c108BFloat16ES3_Li128ELb1ELi8EEEvPviiifPKvS6_S6_PKlii,comdat
	.protected	_ZN12tensorrt_llm7kernels32fusedQKNormRopeKernelNTokenHeadsIN3c108BFloat16ES3_Li128ELb1ELi8EEEvPviiifPKvS6_S6_PKlii ; -- Begin function _ZN12tensorrt_llm7kernels32fusedQKNormRopeKernelNTokenHeadsIN3c108BFloat16ES3_Li128ELb1ELi8EEEvPviiifPKvS6_S6_PKlii
	.globl	_ZN12tensorrt_llm7kernels32fusedQKNormRopeKernelNTokenHeadsIN3c108BFloat16ES3_Li128ELb1ELi8EEEvPviiifPKvS6_S6_PKlii
	.p2align	8
	.type	_ZN12tensorrt_llm7kernels32fusedQKNormRopeKernelNTokenHeadsIN3c108BFloat16ES3_Li128ELb1ELi8EEEvPviiifPKvS6_S6_PKlii,@function
_ZN12tensorrt_llm7kernels32fusedQKNormRopeKernelNTokenHeadsIN3c108BFloat16ES3_Li128ELb1ELi8EEEvPviiifPKvS6_S6_PKlii: ; @_ZN12tensorrt_llm7kernels32fusedQKNormRopeKernelNTokenHeadsIN3c108BFloat16ES3_Li128ELb1ELi8EEEvPviiifPKvS6_S6_PKlii
; %bb.0:
	s_clause 0x1
	s_load_b128 s[16:19], s[0:1], 0x8
	s_load_b64 s[2:3], s[0:1], 0x38
	v_lshrrev_b32_e32 v2, 5, v0
	s_waitcnt lgkmcnt(0)
	s_add_i32 s4, s17, s16
	s_delay_alu instid0(SALU_CYCLE_1) | instskip(NEXT) | instid1(SALU_CYCLE_1)
	s_add_i32 s5, s4, 7
	s_ashr_i32 s6, s5, 31
	s_delay_alu instid0(SALU_CYCLE_1) | instskip(NEXT) | instid1(SALU_CYCLE_1)
	s_lshr_b32 s6, s6, 29
	s_add_i32 s5, s5, s6
	s_delay_alu instid0(SALU_CYCLE_1) | instskip(SKIP_2) | instid1(SALU_CYCLE_1)
	s_ashr_i32 s14, s5, 3
	s_load_b32 s5, s[0:1], 0x4c
	s_abs_i32 s6, s14
	v_cvt_f32_u32_e32 v1, s6
	s_sub_i32 s7, 0, s6
	s_delay_alu instid0(VALU_DEP_1) | instskip(SKIP_4) | instid1(SALU_CYCLE_1)
	v_rcp_iflag_f32_e32 v1, v1
	s_waitcnt_depctr 0xfff
	v_mul_f32_e32 v1, 0x4f7ffffe, v1
	s_waitcnt lgkmcnt(0)
	s_bfe_u32 s5, s5, 0xb0005
	v_mad_u64_u32 v[3:4], null, s15, s5, v[2:3]
	s_delay_alu instid0(VALU_DEP_2) | instskip(NEXT) | instid1(VALU_DEP_1)
	v_cvt_u32_f32_e32 v1, v1
	v_mul_lo_u32 v5, s7, v1
	s_delay_alu instid0(VALU_DEP_1) | instskip(NEXT) | instid1(VALU_DEP_4)
	v_mul_hi_u32 v4, v1, v5
	v_sub_nc_u32_e32 v5, 0, v3
	s_delay_alu instid0(VALU_DEP_1) | instskip(NEXT) | instid1(VALU_DEP_3)
	v_max_i32_e32 v5, v3, v5
	v_add_nc_u32_e32 v1, v1, v4
	s_delay_alu instid0(VALU_DEP_1) | instskip(NEXT) | instid1(VALU_DEP_1)
	v_mul_hi_u32 v1, v5, v1
	v_mul_lo_u32 v4, v1, s6
	s_delay_alu instid0(VALU_DEP_1) | instskip(SKIP_1) | instid1(VALU_DEP_2)
	v_sub_nc_u32_e32 v4, v5, v4
	v_add_nc_u32_e32 v5, 1, v1
	v_subrev_nc_u32_e32 v6, s6, v4
	v_cmp_le_u32_e32 vcc_lo, s6, v4
	s_delay_alu instid0(VALU_DEP_2) | instskip(SKIP_1) | instid1(VALU_DEP_2)
	v_dual_cndmask_b32 v4, v4, v6 :: v_dual_cndmask_b32 v1, v1, v5
	v_xor_b32_e32 v5, s14, v3
	v_cmp_le_u32_e32 vcc_lo, s6, v4
	s_delay_alu instid0(VALU_DEP_3) | instskip(NEXT) | instid1(VALU_DEP_3)
	v_add_nc_u32_e32 v6, 1, v1
	v_ashrrev_i32_e32 v5, 31, v5
	s_delay_alu instid0(VALU_DEP_2) | instskip(NEXT) | instid1(VALU_DEP_1)
	v_cndmask_b32_e32 v1, v1, v6, vcc_lo
	v_xor_b32_e32 v1, v1, v5
	s_delay_alu instid0(VALU_DEP_1) | instskip(NEXT) | instid1(VALU_DEP_1)
	v_sub_nc_u32_e32 v1, v1, v5
	v_cmp_gt_i32_e32 vcc_lo, s2, v1
	s_and_saveexec_b32 s2, vcc_lo
	s_cbranch_execz .LBB140_28
; %bb.1:
	v_mul_lo_u32 v4, v1, s14
	s_load_b64 s[12:13], s[0:1], 0x0
	v_and_b32_e32 v8, 31, v0
	v_lshlrev_b32_e32 v12, 11, v2
	v_lshlrev_b32_e32 v0, 10, v3
	s_lshl_b32 s20, s3, 1
	s_delay_alu instid0(VALU_DEP_3) | instskip(SKIP_2) | instid1(VALU_DEP_1)
	v_lshlrev_b32_e32 v9, 3, v8
	v_sub_nc_u32_e32 v4, v3, v4
	s_mul_i32 s15, s20, s5
	v_lshlrev_b32_e32 v10, 3, v4
	s_delay_alu instid0(VALU_DEP_1) | instskip(SKIP_1) | instid1(VALU_DEP_2)
	v_add_nc_u32_e32 v4, 8, v10
	v_sub_nc_u32_e32 v5, s4, v10
	v_cmp_lt_i32_e32 vcc_lo, s4, v4
	s_delay_alu instid0(VALU_DEP_2) | instskip(NEXT) | instid1(VALU_DEP_1)
	v_cndmask_b32_e32 v11, 8, v5, vcc_lo
	v_cmp_lt_i32_e32 vcc_lo, 0, v11
	s_and_saveexec_b32 s4, vcc_lo
	s_cbranch_execz .LBB140_4
; %bb.2:
	s_add_i32 s2, s18, s17
	s_lshl_b32 s5, s14, 3
	s_add_i32 s2, s2, s16
	s_mov_b32 s6, 0
	s_sub_i32 s2, s2, s5
	s_mov_b32 s5, 0
	v_mul_lo_u32 v3, s2, v1
	s_add_i32 s2, s15, 0
	s_delay_alu instid0(SALU_CYCLE_1) | instskip(NEXT) | instid1(VALU_DEP_2)
	v_add3_u32 v5, s2, v12, v9
	v_lshl_add_u32 v3, v3, 7, v0
	s_delay_alu instid0(VALU_DEP_1)
	v_lshl_or_b32 v3, v8, 2, v3
	.p2align	6
.LBB140_3:                              ; =>This Inner Loop Header: Depth=1
	s_delay_alu instid0(VALU_DEP_1) | instskip(SKIP_1) | instid1(VALU_DEP_1)
	v_ashrrev_i32_e32 v4, 31, v3
	s_add_i32 s6, s6, 1
	v_lshlrev_b64 v[6:7], 1, v[3:4]
	v_add_nc_u32_e32 v3, 0x80, v3
	s_waitcnt lgkmcnt(0)
	s_delay_alu instid0(VALU_DEP_2) | instskip(NEXT) | instid1(VALU_DEP_1)
	v_add_co_u32 v6, s2, s12, v6
	v_add_co_ci_u32_e64 v7, s2, s13, v7, s2
	v_cmp_ge_i32_e64 s2, s6, v11
	global_load_b64 v[6:7], v[6:7], off
	s_or_b32 s5, s2, s5
	s_waitcnt vmcnt(0)
	ds_store_b64 v5, v[6:7]
	v_add_nc_u32_e32 v5, 0x100, v5
	s_and_not1_b32 exec_lo, exec_lo, s5
	s_cbranch_execnz .LBB140_3
.LBB140_4:
	s_or_b32 exec_lo, exec_lo, s4
	s_load_b256 s[4:11], s[0:1], 0x18
	v_mul_lo_u32 v2, v2, s3
	s_add_i32 s0, s20, 15
	s_mov_b32 s20, exec_lo
	s_ashr_i32 s1, s0, 31
	s_delay_alu instid0(SALU_CYCLE_1) | instskip(NEXT) | instid1(SALU_CYCLE_1)
	s_lshr_b32 s1, s1, 28
	s_add_i32 s0, s0, s1
	s_delay_alu instid0(VALU_DEP_1) | instskip(SKIP_1) | instid1(SALU_CYCLE_1)
	v_lshlrev_b32_e32 v13, 1, v2
	s_ashr_i32 s2, s0, 4
	v_cmpx_gt_i32_e64 s2, v8
	s_cbranch_execz .LBB140_7
; %bb.5:
	v_ashrrev_i32_e32 v2, 31, v1
	s_delay_alu instid0(VALU_DEP_1) | instskip(SKIP_1) | instid1(VALU_DEP_1)
	v_lshlrev_b64 v[2:3], 3, v[1:2]
	s_waitcnt lgkmcnt(0)
	v_add_co_u32 v2, s0, s10, v2
	s_delay_alu instid0(VALU_DEP_1)
	v_add_co_ci_u32_e64 v3, s0, s11, v3, s0
	s_ashr_i32 s0, s3, 31
	global_load_b64 v[2:3], v[2:3], off
	s_waitcnt vmcnt(0)
	v_mul_lo_u32 v5, v3, s3
	v_mul_lo_u32 v6, v2, s0
	v_mad_u64_u32 v[3:4], null, v2, s3, 0
	s_delay_alu instid0(VALU_DEP_1) | instskip(SKIP_1) | instid1(VALU_DEP_2)
	v_add3_u32 v4, v4, v6, v5
	v_mov_b32_e32 v5, v8
	v_lshlrev_b64 v[2:3], 1, v[3:4]
	v_lshlrev_b32_e32 v4, 4, v8
	s_delay_alu instid0(VALU_DEP_1) | instskip(NEXT) | instid1(VALU_DEP_1)
	v_add_co_u32 v2, s0, v2, v4
	v_add_co_ci_u32_e64 v3, s0, 0, v3, s0
	v_add3_u32 v4, v13, v4, 0
	s_delay_alu instid0(VALU_DEP_3) | instskip(NEXT) | instid1(VALU_DEP_1)
	v_add_co_u32 v2, s0, s8, v2
	v_add_co_ci_u32_e64 v3, s0, s9, v3, s0
	s_mov_b32 s8, 0
	.p2align	6
.LBB140_6:                              ; =>This Inner Loop Header: Depth=1
	global_load_b128 v[14:17], v[2:3], off
	v_add_nc_u32_e32 v5, 32, v5
	v_add_co_u32 v2, s0, 0x200, v2
	s_delay_alu instid0(VALU_DEP_1) | instskip(NEXT) | instid1(VALU_DEP_3)
	v_add_co_ci_u32_e64 v3, s0, 0, v3, s0
	v_cmp_le_i32_e64 s1, s2, v5
	s_delay_alu instid0(VALU_DEP_1)
	s_or_b32 s8, s1, s8
	s_waitcnt vmcnt(0)
	ds_store_b128 v4, v[14:17]
	v_add_nc_u32_e32 v4, 0x200, v4
	s_and_not1_b32 exec_lo, exec_lo, s8
	s_cbranch_execnz .LBB140_6
.LBB140_7:
	s_or_b32 exec_lo, exec_lo, s20
	s_delay_alu instid0(SALU_CYCLE_1)
	s_and_b32 exec_lo, exec_lo, vcc_lo
	s_cbranch_execz .LBB140_28
; %bb.8:
	s_waitcnt lgkmcnt(0)
	s_clause 0x1
	global_load_b64 v[4:5], v9, s[4:5]
	global_load_b64 v[6:7], v9, s[6:7]
	v_mbcnt_lo_u32_b32 v3, -1, 0
	s_lshr_b32 s0, s3, 31
	s_ashr_i32 s1, s3, 31
	s_add_i32 s0, s3, s0
	s_lshr_b32 s1, s1, 30
	v_xor_b32_e32 v15, 16, v3
	s_and_b32 s5, s0, -2
	s_add_i32 s0, s3, s1
	v_xor_b32_e32 v16, 8, v3
	s_ashr_i32 s0, s0, 2
	v_lshlrev_b32_e32 v2, 2, v8
	v_cmp_le_i32_e32 vcc_lo, s0, v8
	v_cmp_gt_i32_e64 s0, 32, v15
	v_add_nc_u32_e32 v14, s15, v12
	v_xor_b32_e32 v17, 4, v3
	v_xor_b32_e32 v18, 2, v3
	v_add3_u32 v12, 0, v13, v2
	v_cndmask_b32_e64 v8, v3, v15, s0
	v_cmp_gt_i32_e64 s0, 32, v16
	v_add3_u32 v13, v14, v9, 0
	s_add_i32 s2, s18, s17
	s_lshl_b32 s4, s14, 3
	s_add_i32 s2, s2, s16
	v_cndmask_b32_e64 v9, v3, v16, s0
	v_cmp_gt_i32_e64 s0, 32, v17
	s_sub_i32 s1, s2, s4
	v_xor_b32_e32 v19, 1, v3
	v_mul_lo_u32 v1, s1, v1
	v_add_nc_u32_e32 v14, s5, v12
	v_cndmask_b32_e64 v17, v3, v17, s0
	v_cmp_gt_i32_e64 s0, 32, v18
	v_lshlrev_b32_e32 v15, 2, v8
	v_lshlrev_b32_e32 v16, 2, v9
	s_mov_b32 s2, 0
	v_lshlrev_b32_e32 v17, 2, v17
	v_cndmask_b32_e64 v18, v3, v18, s0
	v_cmp_gt_i32_e64 s0, 32, v19
	v_lshl_add_u32 v0, v1, 7, v0
	s_mov_b32 s3, 0
	s_delay_alu instid0(VALU_DEP_3) | instskip(NEXT) | instid1(VALU_DEP_3)
	v_lshlrev_b32_e32 v18, 2, v18
	v_cndmask_b32_e64 v3, v3, v19, s0
	s_delay_alu instid0(VALU_DEP_3) | instskip(NEXT) | instid1(VALU_DEP_2)
	v_or_b32_e32 v8, v0, v2
	v_lshlrev_b32_e32 v19, 2, v3
	s_waitcnt vmcnt(1)
	v_lshrrev_b32_e32 v20, 16, v4
	s_waitcnt vmcnt(0)
	v_lshrrev_b32_e32 v21, 16, v6
	v_lshrrev_b32_e32 v22, 16, v5
	;; [unrolled: 1-line block ×3, first 2 shown]
	s_branch .LBB140_10
.LBB140_9:                              ;   in Loop: Header=BB140_10 Depth=1
	s_or_b32 exec_lo, exec_lo, s1
	v_ashrrev_i32_e32 v9, 31, v8
	v_lshrrev_b32_e32 v2, 16, v26
	v_and_b32_e32 v3, 0xffff0000, v27
	s_add_i32 s3, s3, 1
	v_add_nc_u32_e32 v13, 0x100, v13
	v_lshlrev_b64 v[0:1], 1, v[8:9]
	v_lshrrev_b32_e32 v9, 16, v24
	v_cmp_ge_i32_e64 s0, s3, v11
	v_or_b32_e32 v2, v3, v2
	v_add_nc_u32_e32 v8, 0x80, v8
	v_add_co_u32 v26, s1, s12, v0
	s_delay_alu instid0(VALU_DEP_1)
	v_add_co_ci_u32_e64 v27, s1, s13, v1, s1
	v_and_or_b32 v1, 0xffff0000, v25, v9
	s_or_b32 s2, s0, s2
	global_store_b64 v[26:27], v[1:2], off
	s_and_not1_b32 exec_lo, exec_lo, s2
	s_cbranch_execz .LBB140_28
.LBB140_10:                             ; =>This Inner Loop Header: Depth=1
	ds_load_b64 v[0:1], v13
	s_waitcnt lgkmcnt(0)
	v_alignbit_b32 v3, v1, v0, 16
	s_delay_alu instid0(VALU_DEP_1) | instskip(SKIP_2) | instid1(VALU_DEP_1)
	v_and_b32_e32 v24, 0xffff0000, v3
	v_and_b32_e32 v3, 0xffff0000, v1
	;; [unrolled: 1-line block ×3, first 2 shown]
	v_dual_mul_f32 v9, v2, v2 :: v_dual_lshlrev_b32 v0, 16, v0
	s_delay_alu instid0(VALU_DEP_1) | instskip(NEXT) | instid1(VALU_DEP_1)
	v_fmac_f32_e32 v9, v0, v0
	v_fmac_f32_e32 v9, v24, v24
	s_delay_alu instid0(VALU_DEP_1)
	v_fmac_f32_e32 v9, v3, v3
	ds_bpermute_b32 v1, v15, v9
	s_waitcnt lgkmcnt(0)
	v_add_f32_e32 v1, v9, v1
	ds_bpermute_b32 v9, v16, v1
	s_waitcnt lgkmcnt(0)
	v_add_f32_e32 v1, v1, v9
	;; [unrolled: 3-line block ×5, first 2 shown]
	s_delay_alu instid0(VALU_DEP_1) | instskip(NEXT) | instid1(VALU_DEP_1)
	v_fma_f32 v1, 0x3c000000, v1, s19
	v_mul_f32_e32 v9, 0x4b800000, v1
	v_cmp_gt_f32_e64 s0, 0x800000, v1
	s_delay_alu instid0(VALU_DEP_1) | instskip(SKIP_1) | instid1(VALU_DEP_2)
	v_cndmask_b32_e64 v1, v1, v9, s0
	v_add_nc_u32_e32 v9, s3, v10
	v_rsq_f32_e32 v1, v1
	s_delay_alu instid0(VALU_DEP_1) | instskip(NEXT) | instid1(VALU_DEP_1)
	v_cmp_gt_i32_e64 s1, s16, v9
	v_cndmask_b32_e64 v9, v21, v20, s1
	v_cndmask_b32_e64 v26, v6, v4, s1
	;; [unrolled: 1-line block ×4, first 2 shown]
	s_waitcnt_depctr 0xfff
	v_mul_f32_e32 v25, 0x45800000, v1
	v_lshlrev_b32_e32 v9, 16, v9
	s_delay_alu instid0(VALU_DEP_2) | instskip(SKIP_3) | instid1(VALU_DEP_4)
	v_cndmask_b32_e64 v1, v1, v25, s0
	v_lshlrev_b32_e32 v25, 16, v26
	v_lshlrev_b32_e32 v26, 16, v27
	;; [unrolled: 1-line block ×3, first 2 shown]
	v_mul_f32_e32 v9, v1, v9
	s_delay_alu instid0(VALU_DEP_4) | instskip(NEXT) | instid1(VALU_DEP_4)
	v_mul_f32_e32 v25, v1, v25
	v_mul_f32_e32 v26, v1, v26
	s_delay_alu instid0(VALU_DEP_4) | instskip(NEXT) | instid1(VALU_DEP_4)
	v_mul_f32_e32 v27, v1, v27
	v_mul_f32_e32 v1, v9, v2
	s_delay_alu instid0(VALU_DEP_3) | instskip(NEXT) | instid1(VALU_DEP_3)
	v_dual_mul_f32 v0, v25, v0 :: v_dual_mul_f32 v3, v26, v3
	v_mul_f32_e32 v2, v27, v24
	s_and_saveexec_b32 s0, vcc_lo
	s_delay_alu instid0(SALU_CYCLE_1) | instskip(NEXT) | instid1(SALU_CYCLE_1)
	s_xor_b32 s0, exec_lo, s0
	s_and_not1_saveexec_b32 s0, s0
	s_cbranch_execz .LBB140_12
; %bb.11:                               ;   in Loop: Header=BB140_10 Depth=1
	ds_load_u16 v9, v14
	ds_load_u16 v24, v12
	ds_load_u16 v25, v14 offset:2
	ds_load_u16 v26, v12 offset:2
	s_waitcnt lgkmcnt(1)
	v_lshlrev_b32_e32 v28, 16, v25
	s_waitcnt lgkmcnt(0)
	v_lshlrev_b32_e32 v26, 16, v26
	s_delay_alu instid0(VALU_DEP_1) | instskip(NEXT) | instid1(VALU_DEP_1)
	v_mul_f32_e32 v27, v3, v26
	v_fmac_f32_e32 v27, v2, v28
	v_lshlrev_b32_e32 v9, 16, v9
	s_delay_alu instid0(VALU_DEP_1) | instskip(NEXT) | instid1(VALU_DEP_1)
	v_dual_mul_f32 v29, v1, v9 :: v_dual_lshlrev_b32 v24, 16, v24
	v_mul_f32_e32 v25, v1, v24
	v_mul_f32_e32 v1, v3, v28
	s_delay_alu instid0(VALU_DEP_3) | instskip(NEXT) | instid1(VALU_DEP_3)
	v_fma_f32 v24, v0, v24, -v29
	v_fmac_f32_e32 v25, v0, v9
	s_delay_alu instid0(VALU_DEP_3) | instskip(NEXT) | instid1(VALU_DEP_2)
	v_fma_f32 v26, v2, v26, -v1
	v_dual_mov_b32 v0, v24 :: v_dual_mov_b32 v1, v25
	s_delay_alu instid0(VALU_DEP_2)
	v_dual_mov_b32 v2, v26 :: v_dual_mov_b32 v3, v27
.LBB140_12:                             ;   in Loop: Header=BB140_10 Depth=1
	s_or_b32 exec_lo, exec_lo, s0
	s_delay_alu instid0(VALU_DEP_2) | instskip(NEXT) | instid1(VALU_DEP_1)
	v_and_b32_e32 v9, 0x7f800000, v0
                                        ; implicit-def: $vgpr24
	v_cmp_ne_u32_e64 s0, 0x7f800000, v9
	s_delay_alu instid0(VALU_DEP_1) | instskip(NEXT) | instid1(SALU_CYCLE_1)
	s_and_saveexec_b32 s1, s0
	s_xor_b32 s0, exec_lo, s1
; %bb.13:                               ;   in Loop: Header=BB140_10 Depth=1
	v_bfe_u32 v9, v0, 16, 1
	s_delay_alu instid0(VALU_DEP_1)
	v_add3_u32 v24, v0, v9, 0x7fff
; %bb.14:                               ;   in Loop: Header=BB140_10 Depth=1
	s_and_not1_saveexec_b32 s1, s0
; %bb.15:                               ;   in Loop: Header=BB140_10 Depth=1
	v_and_b32_e32 v9, 0xffff, v0
	v_or_b32_e32 v24, 0x10000, v0
	s_delay_alu instid0(VALU_DEP_2) | instskip(NEXT) | instid1(VALU_DEP_1)
	v_cmp_eq_u32_e64 s0, 0, v9
	v_cndmask_b32_e64 v24, v24, v0, s0
; %bb.16:                               ;   in Loop: Header=BB140_10 Depth=1
	s_or_b32 exec_lo, exec_lo, s1
	v_and_b32_e32 v0, 0x7f800000, v1
                                        ; implicit-def: $vgpr25
	s_delay_alu instid0(VALU_DEP_1) | instskip(NEXT) | instid1(VALU_DEP_1)
	v_cmp_ne_u32_e64 s0, 0x7f800000, v0
	s_and_saveexec_b32 s1, s0
	s_delay_alu instid0(SALU_CYCLE_1)
	s_xor_b32 s0, exec_lo, s1
; %bb.17:                               ;   in Loop: Header=BB140_10 Depth=1
	v_bfe_u32 v0, v1, 16, 1
	s_delay_alu instid0(VALU_DEP_1)
	v_add3_u32 v25, v1, v0, 0x7fff
; %bb.18:                               ;   in Loop: Header=BB140_10 Depth=1
	s_and_not1_saveexec_b32 s1, s0
; %bb.19:                               ;   in Loop: Header=BB140_10 Depth=1
	v_and_b32_e32 v0, 0xffff, v1
	v_or_b32_e32 v9, 0x10000, v1
	s_delay_alu instid0(VALU_DEP_2) | instskip(NEXT) | instid1(VALU_DEP_1)
	v_cmp_eq_u32_e64 s0, 0, v0
	v_cndmask_b32_e64 v25, v9, v1, s0
; %bb.20:                               ;   in Loop: Header=BB140_10 Depth=1
	s_or_b32 exec_lo, exec_lo, s1
	v_and_b32_e32 v0, 0x7f800000, v2
                                        ; implicit-def: $vgpr26
	s_delay_alu instid0(VALU_DEP_1) | instskip(NEXT) | instid1(VALU_DEP_1)
	v_cmp_ne_u32_e64 s0, 0x7f800000, v0
	s_and_saveexec_b32 s1, s0
	s_delay_alu instid0(SALU_CYCLE_1)
	s_xor_b32 s0, exec_lo, s1
; %bb.21:                               ;   in Loop: Header=BB140_10 Depth=1
	v_bfe_u32 v0, v2, 16, 1
	s_delay_alu instid0(VALU_DEP_1)
	v_add3_u32 v26, v2, v0, 0x7fff
; %bb.22:                               ;   in Loop: Header=BB140_10 Depth=1
	s_and_not1_saveexec_b32 s1, s0
; %bb.23:                               ;   in Loop: Header=BB140_10 Depth=1
	v_and_b32_e32 v0, 0xffff, v2
	v_or_b32_e32 v1, 0x10000, v2
	s_delay_alu instid0(VALU_DEP_2) | instskip(NEXT) | instid1(VALU_DEP_1)
	v_cmp_eq_u32_e64 s0, 0, v0
	v_cndmask_b32_e64 v26, v1, v2, s0
; %bb.24:                               ;   in Loop: Header=BB140_10 Depth=1
	s_or_b32 exec_lo, exec_lo, s1
	v_and_b32_e32 v0, 0x7f800000, v3
                                        ; implicit-def: $vgpr27
	s_delay_alu instid0(VALU_DEP_1) | instskip(NEXT) | instid1(VALU_DEP_1)
	v_cmp_ne_u32_e64 s0, 0x7f800000, v0
	s_and_saveexec_b32 s1, s0
	s_delay_alu instid0(SALU_CYCLE_1)
	s_xor_b32 s0, exec_lo, s1
; %bb.25:                               ;   in Loop: Header=BB140_10 Depth=1
	v_bfe_u32 v0, v3, 16, 1
	s_delay_alu instid0(VALU_DEP_1)
	v_add3_u32 v27, v3, v0, 0x7fff
                                        ; implicit-def: $vgpr0_vgpr1_vgpr2_vgpr3
; %bb.26:                               ;   in Loop: Header=BB140_10 Depth=1
	s_and_not1_saveexec_b32 s1, s0
	s_cbranch_execz .LBB140_9
; %bb.27:                               ;   in Loop: Header=BB140_10 Depth=1
	v_and_b32_e32 v0, 0xffff, v3
	v_or_b32_e32 v1, 0x10000, v3
	s_delay_alu instid0(VALU_DEP_2) | instskip(NEXT) | instid1(VALU_DEP_1)
	v_cmp_eq_u32_e64 s0, 0, v0
	v_cndmask_b32_e64 v27, v1, v3, s0
	s_branch .LBB140_9
.LBB140_28:
	s_nop 0
	s_sendmsg sendmsg(MSG_DEALLOC_VGPRS)
	s_endpgm
	.section	.rodata,"a",@progbits
	.p2align	6, 0x0
	.amdhsa_kernel _ZN12tensorrt_llm7kernels32fusedQKNormRopeKernelNTokenHeadsIN3c108BFloat16ES3_Li128ELb1ELi8EEEvPviiifPKvS6_S6_PKlii
		.amdhsa_group_segment_fixed_size 0
		.amdhsa_private_segment_fixed_size 0
		.amdhsa_kernarg_size 320
		.amdhsa_user_sgpr_count 15
		.amdhsa_user_sgpr_dispatch_ptr 0
		.amdhsa_user_sgpr_queue_ptr 0
		.amdhsa_user_sgpr_kernarg_segment_ptr 1
		.amdhsa_user_sgpr_dispatch_id 0
		.amdhsa_user_sgpr_private_segment_size 0
		.amdhsa_wavefront_size32 1
		.amdhsa_uses_dynamic_stack 0
		.amdhsa_enable_private_segment 0
		.amdhsa_system_sgpr_workgroup_id_x 1
		.amdhsa_system_sgpr_workgroup_id_y 0
		.amdhsa_system_sgpr_workgroup_id_z 0
		.amdhsa_system_sgpr_workgroup_info 0
		.amdhsa_system_vgpr_workitem_id 0
		.amdhsa_next_free_vgpr 30
		.amdhsa_next_free_sgpr 21
		.amdhsa_reserve_vcc 1
		.amdhsa_float_round_mode_32 0
		.amdhsa_float_round_mode_16_64 0
		.amdhsa_float_denorm_mode_32 3
		.amdhsa_float_denorm_mode_16_64 3
		.amdhsa_dx10_clamp 1
		.amdhsa_ieee_mode 1
		.amdhsa_fp16_overflow 0
		.amdhsa_workgroup_processor_mode 1
		.amdhsa_memory_ordered 1
		.amdhsa_forward_progress 0
		.amdhsa_shared_vgpr_count 0
		.amdhsa_exception_fp_ieee_invalid_op 0
		.amdhsa_exception_fp_denorm_src 0
		.amdhsa_exception_fp_ieee_div_zero 0
		.amdhsa_exception_fp_ieee_overflow 0
		.amdhsa_exception_fp_ieee_underflow 0
		.amdhsa_exception_fp_ieee_inexact 0
		.amdhsa_exception_int_div_zero 0
	.end_amdhsa_kernel
	.section	.text._ZN12tensorrt_llm7kernels32fusedQKNormRopeKernelNTokenHeadsIN3c108BFloat16ES3_Li128ELb1ELi8EEEvPviiifPKvS6_S6_PKlii,"axG",@progbits,_ZN12tensorrt_llm7kernels32fusedQKNormRopeKernelNTokenHeadsIN3c108BFloat16ES3_Li128ELb1ELi8EEEvPviiifPKvS6_S6_PKlii,comdat
.Lfunc_end140:
	.size	_ZN12tensorrt_llm7kernels32fusedQKNormRopeKernelNTokenHeadsIN3c108BFloat16ES3_Li128ELb1ELi8EEEvPviiifPKvS6_S6_PKlii, .Lfunc_end140-_ZN12tensorrt_llm7kernels32fusedQKNormRopeKernelNTokenHeadsIN3c108BFloat16ES3_Li128ELb1ELi8EEEvPviiifPKvS6_S6_PKlii
                                        ; -- End function
	.section	.AMDGPU.csdata,"",@progbits
; Kernel info:
; codeLenInByte = 2188
; NumSgprs: 23
; NumVgprs: 30
; ScratchSize: 0
; MemoryBound: 0
; FloatMode: 240
; IeeeMode: 1
; LDSByteSize: 0 bytes/workgroup (compile time only)
; SGPRBlocks: 2
; VGPRBlocks: 3
; NumSGPRsForWavesPerEU: 23
; NumVGPRsForWavesPerEU: 30
; Occupancy: 16
; WaveLimiterHint : 0
; COMPUTE_PGM_RSRC2:SCRATCH_EN: 0
; COMPUTE_PGM_RSRC2:USER_SGPR: 15
; COMPUTE_PGM_RSRC2:TRAP_HANDLER: 0
; COMPUTE_PGM_RSRC2:TGID_X_EN: 1
; COMPUTE_PGM_RSRC2:TGID_Y_EN: 0
; COMPUTE_PGM_RSRC2:TGID_Z_EN: 0
; COMPUTE_PGM_RSRC2:TIDIG_COMP_CNT: 0
	.section	.text._ZN12tensorrt_llm7kernels32fusedQKNormRopeKernelNTokenHeadsIN3c108BFloat16ES3_Li128ELb0ELi8EEEvPviiifPKvS6_S6_PKlii,"axG",@progbits,_ZN12tensorrt_llm7kernels32fusedQKNormRopeKernelNTokenHeadsIN3c108BFloat16ES3_Li128ELb0ELi8EEEvPviiifPKvS6_S6_PKlii,comdat
	.protected	_ZN12tensorrt_llm7kernels32fusedQKNormRopeKernelNTokenHeadsIN3c108BFloat16ES3_Li128ELb0ELi8EEEvPviiifPKvS6_S6_PKlii ; -- Begin function _ZN12tensorrt_llm7kernels32fusedQKNormRopeKernelNTokenHeadsIN3c108BFloat16ES3_Li128ELb0ELi8EEEvPviiifPKvS6_S6_PKlii
	.globl	_ZN12tensorrt_llm7kernels32fusedQKNormRopeKernelNTokenHeadsIN3c108BFloat16ES3_Li128ELb0ELi8EEEvPviiifPKvS6_S6_PKlii
	.p2align	8
	.type	_ZN12tensorrt_llm7kernels32fusedQKNormRopeKernelNTokenHeadsIN3c108BFloat16ES3_Li128ELb0ELi8EEEvPviiifPKvS6_S6_PKlii,@function
_ZN12tensorrt_llm7kernels32fusedQKNormRopeKernelNTokenHeadsIN3c108BFloat16ES3_Li128ELb0ELi8EEEvPviiifPKvS6_S6_PKlii: ; @_ZN12tensorrt_llm7kernels32fusedQKNormRopeKernelNTokenHeadsIN3c108BFloat16ES3_Li128ELb0ELi8EEEvPviiifPKvS6_S6_PKlii
; %bb.0:
	s_clause 0x1
	s_load_b128 s[16:19], s[0:1], 0x8
	s_load_b64 s[2:3], s[0:1], 0x38
	v_lshrrev_b32_e32 v2, 5, v0
	s_waitcnt lgkmcnt(0)
	s_add_i32 s4, s17, s16
	s_delay_alu instid0(SALU_CYCLE_1) | instskip(NEXT) | instid1(SALU_CYCLE_1)
	s_add_i32 s5, s4, 7
	s_ashr_i32 s6, s5, 31
	s_delay_alu instid0(SALU_CYCLE_1) | instskip(NEXT) | instid1(SALU_CYCLE_1)
	s_lshr_b32 s6, s6, 29
	s_add_i32 s5, s5, s6
	s_delay_alu instid0(SALU_CYCLE_1) | instskip(SKIP_2) | instid1(SALU_CYCLE_1)
	s_ashr_i32 s14, s5, 3
	s_load_b32 s5, s[0:1], 0x4c
	s_abs_i32 s6, s14
	v_cvt_f32_u32_e32 v1, s6
	s_sub_i32 s7, 0, s6
	s_delay_alu instid0(VALU_DEP_1) | instskip(SKIP_4) | instid1(SALU_CYCLE_1)
	v_rcp_iflag_f32_e32 v1, v1
	s_waitcnt_depctr 0xfff
	v_mul_f32_e32 v1, 0x4f7ffffe, v1
	s_waitcnt lgkmcnt(0)
	s_bfe_u32 s5, s5, 0xb0005
	v_mad_u64_u32 v[3:4], null, s15, s5, v[2:3]
	s_delay_alu instid0(VALU_DEP_2) | instskip(NEXT) | instid1(VALU_DEP_1)
	v_cvt_u32_f32_e32 v1, v1
	v_mul_lo_u32 v5, s7, v1
	s_delay_alu instid0(VALU_DEP_1) | instskip(NEXT) | instid1(VALU_DEP_4)
	v_mul_hi_u32 v4, v1, v5
	v_sub_nc_u32_e32 v5, 0, v3
	s_delay_alu instid0(VALU_DEP_1) | instskip(NEXT) | instid1(VALU_DEP_3)
	v_max_i32_e32 v5, v3, v5
	v_add_nc_u32_e32 v1, v1, v4
	s_delay_alu instid0(VALU_DEP_1) | instskip(NEXT) | instid1(VALU_DEP_1)
	v_mul_hi_u32 v1, v5, v1
	v_mul_lo_u32 v4, v1, s6
	s_delay_alu instid0(VALU_DEP_1) | instskip(SKIP_1) | instid1(VALU_DEP_2)
	v_sub_nc_u32_e32 v4, v5, v4
	v_add_nc_u32_e32 v5, 1, v1
	v_subrev_nc_u32_e32 v6, s6, v4
	v_cmp_le_u32_e32 vcc_lo, s6, v4
	s_delay_alu instid0(VALU_DEP_2) | instskip(SKIP_1) | instid1(VALU_DEP_2)
	v_dual_cndmask_b32 v4, v4, v6 :: v_dual_cndmask_b32 v1, v1, v5
	v_xor_b32_e32 v5, s14, v3
	v_cmp_le_u32_e32 vcc_lo, s6, v4
	s_delay_alu instid0(VALU_DEP_3) | instskip(NEXT) | instid1(VALU_DEP_3)
	v_add_nc_u32_e32 v6, 1, v1
	v_ashrrev_i32_e32 v5, 31, v5
	s_delay_alu instid0(VALU_DEP_2) | instskip(NEXT) | instid1(VALU_DEP_1)
	v_cndmask_b32_e32 v1, v1, v6, vcc_lo
	v_xor_b32_e32 v1, v1, v5
	s_delay_alu instid0(VALU_DEP_1) | instskip(NEXT) | instid1(VALU_DEP_1)
	v_sub_nc_u32_e32 v1, v1, v5
	v_cmp_gt_i32_e32 vcc_lo, s2, v1
	s_and_saveexec_b32 s2, vcc_lo
	s_cbranch_execz .LBB141_28
; %bb.1:
	v_mul_lo_u32 v4, v1, s14
	s_load_b64 s[12:13], s[0:1], 0x0
	v_and_b32_e32 v8, 31, v0
	v_lshlrev_b32_e32 v12, 11, v2
	v_lshlrev_b32_e32 v9, 10, v3
	s_lshl_b32 s20, s3, 1
	s_delay_alu instid0(VALU_DEP_3) | instskip(SKIP_2) | instid1(VALU_DEP_1)
	v_lshlrev_b32_e32 v0, 3, v8
	v_sub_nc_u32_e32 v4, v3, v4
	s_mul_i32 s15, s20, s5
	v_lshlrev_b32_e32 v10, 3, v4
	s_delay_alu instid0(VALU_DEP_1) | instskip(SKIP_1) | instid1(VALU_DEP_2)
	v_add_nc_u32_e32 v4, 8, v10
	v_sub_nc_u32_e32 v5, s4, v10
	v_cmp_lt_i32_e32 vcc_lo, s4, v4
	s_delay_alu instid0(VALU_DEP_2) | instskip(NEXT) | instid1(VALU_DEP_1)
	v_cndmask_b32_e32 v11, 8, v5, vcc_lo
	v_cmp_lt_i32_e32 vcc_lo, 0, v11
	s_and_saveexec_b32 s4, vcc_lo
	s_cbranch_execz .LBB141_4
; %bb.2:
	s_add_i32 s2, s18, s17
	s_lshl_b32 s5, s14, 3
	s_add_i32 s2, s2, s16
	s_mov_b32 s6, 0
	s_sub_i32 s2, s2, s5
	s_mov_b32 s5, 0
	v_mul_lo_u32 v3, s2, v1
	s_add_i32 s2, s15, 0
	s_delay_alu instid0(SALU_CYCLE_1) | instskip(NEXT) | instid1(VALU_DEP_2)
	v_add3_u32 v5, s2, v12, v0
	v_lshl_add_u32 v3, v3, 7, v9
	s_delay_alu instid0(VALU_DEP_1)
	v_lshl_or_b32 v3, v8, 2, v3
	.p2align	6
.LBB141_3:                              ; =>This Inner Loop Header: Depth=1
	s_delay_alu instid0(VALU_DEP_1) | instskip(SKIP_1) | instid1(VALU_DEP_1)
	v_ashrrev_i32_e32 v4, 31, v3
	s_add_i32 s6, s6, 1
	v_lshlrev_b64 v[6:7], 1, v[3:4]
	v_add_nc_u32_e32 v3, 0x80, v3
	s_waitcnt lgkmcnt(0)
	s_delay_alu instid0(VALU_DEP_2) | instskip(NEXT) | instid1(VALU_DEP_1)
	v_add_co_u32 v6, s2, s12, v6
	v_add_co_ci_u32_e64 v7, s2, s13, v7, s2
	v_cmp_ge_i32_e64 s2, s6, v11
	global_load_b64 v[6:7], v[6:7], off
	s_or_b32 s5, s2, s5
	s_waitcnt vmcnt(0)
	ds_store_b64 v5, v[6:7]
	v_add_nc_u32_e32 v5, 0x100, v5
	s_and_not1_b32 exec_lo, exec_lo, s5
	s_cbranch_execnz .LBB141_3
.LBB141_4:
	s_or_b32 exec_lo, exec_lo, s4
	s_load_b256 s[4:11], s[0:1], 0x18
	s_add_i32 s0, s20, 15
	v_mul_lo_u32 v13, v2, s3
	s_ashr_i32 s1, s0, 31
	s_mov_b32 s20, exec_lo
	s_lshr_b32 s1, s1, 28
	s_delay_alu instid0(SALU_CYCLE_1) | instskip(NEXT) | instid1(SALU_CYCLE_1)
	s_add_i32 s0, s0, s1
	s_ashr_i32 s2, s0, 4
	s_delay_alu instid0(SALU_CYCLE_1)
	v_cmpx_gt_i32_e64 s2, v8
	s_cbranch_execz .LBB141_7
; %bb.5:
	v_ashrrev_i32_e32 v2, 31, v1
	s_delay_alu instid0(VALU_DEP_1) | instskip(SKIP_1) | instid1(VALU_DEP_1)
	v_lshlrev_b64 v[2:3], 3, v[1:2]
	s_waitcnt lgkmcnt(0)
	v_add_co_u32 v2, s0, s10, v2
	s_delay_alu instid0(VALU_DEP_1)
	v_add_co_ci_u32_e64 v3, s0, s11, v3, s0
	s_ashr_i32 s0, s3, 31
	global_load_b64 v[2:3], v[2:3], off
	s_waitcnt vmcnt(0)
	v_mul_lo_u32 v5, v3, s3
	v_mul_lo_u32 v6, v2, s0
	v_mad_u64_u32 v[3:4], null, v2, s3, 0
	s_delay_alu instid0(VALU_DEP_1) | instskip(SKIP_1) | instid1(VALU_DEP_2)
	v_add3_u32 v4, v4, v6, v5
	v_lshlrev_b32_e32 v5, 1, v13
	v_lshlrev_b64 v[2:3], 1, v[3:4]
	v_lshlrev_b32_e32 v4, 4, v8
	s_delay_alu instid0(VALU_DEP_1) | instskip(NEXT) | instid1(VALU_DEP_1)
	v_add_co_u32 v2, s0, v2, v4
	v_add_co_ci_u32_e64 v3, s0, 0, v3, s0
	v_add3_u32 v4, v5, v4, 0
	v_mov_b32_e32 v5, v8
	s_delay_alu instid0(VALU_DEP_4) | instskip(NEXT) | instid1(VALU_DEP_1)
	v_add_co_u32 v2, s0, s8, v2
	v_add_co_ci_u32_e64 v3, s0, s9, v3, s0
	s_mov_b32 s8, 0
	.p2align	6
.LBB141_6:                              ; =>This Inner Loop Header: Depth=1
	global_load_b128 v[14:17], v[2:3], off
	v_add_nc_u32_e32 v5, 32, v5
	v_add_co_u32 v2, s0, 0x200, v2
	s_delay_alu instid0(VALU_DEP_1) | instskip(NEXT) | instid1(VALU_DEP_3)
	v_add_co_ci_u32_e64 v3, s0, 0, v3, s0
	v_cmp_le_i32_e64 s1, s2, v5
	s_delay_alu instid0(VALU_DEP_1)
	s_or_b32 s8, s1, s8
	s_waitcnt vmcnt(0)
	ds_store_b128 v4, v[14:17]
	v_add_nc_u32_e32 v4, 0x200, v4
	s_and_not1_b32 exec_lo, exec_lo, s8
	s_cbranch_execnz .LBB141_6
.LBB141_7:
	s_or_b32 exec_lo, exec_lo, s20
	s_delay_alu instid0(SALU_CYCLE_1)
	s_and_b32 exec_lo, exec_lo, vcc_lo
	s_cbranch_execz .LBB141_28
; %bb.8:
	s_waitcnt lgkmcnt(0)
	s_clause 0x1
	global_load_b64 v[4:5], v0, s[4:5]
	global_load_b64 v[6:7], v0, s[6:7]
	s_abs_i32 s2, s3
	s_lshr_b32 s0, s3, 31
	v_cvt_f32_u32_e32 v2, s2
	s_add_i32 s0, s3, s0
	v_lshl_add_u32 v3, v13, 1, 0
	s_and_b32 s0, s0, -2
	v_mbcnt_lo_u32_b32 v13, -1, 0
	v_rcp_iflag_f32_e32 v2, v2
	s_ashr_i32 s1, s3, 31
	v_add_nc_u32_e32 v30, s15, v12
	s_lshr_b32 s6, s1, 30
	s_lshr_b32 s1, s1, 29
	v_xor_b32_e32 v12, 16, v13
	s_add_i32 s6, s3, s6
	s_add_i32 s1, s3, s1
	s_sub_i32 s7, 0, s2
	s_waitcnt_depctr 0xfff
	v_dual_mul_f32 v2, 0x4f7ffffe, v2 :: v_dual_add_nc_u32 v25, s0, v3
	s_ashr_i32 s0, s6, 2
	s_ashr_i32 s1, s1, 3
	v_xor_b32_e32 v14, 8, v13
	v_cmp_gt_i32_e32 vcc_lo, s0, v8
	v_cvt_u32_f32_e32 v2, v2
	v_xor_b32_e32 v22, s1, v13
	v_cmp_gt_i32_e64 s0, s1, v8
	v_cmp_gt_i32_e64 s1, 32, v12
	v_xor_b32_e32 v19, 4, v13
	v_mul_lo_u32 v15, s7, v2
	v_xor_b32_e32 v20, 2, v13
	s_add_i32 s4, s18, s17
	v_cndmask_b32_e64 v12, v13, v12, s1
	v_cmp_gt_i32_e64 s1, 32, v14
	s_lshl_b32 s5, s14, 3
	s_add_i32 s4, s4, s16
	v_or_b32_e32 v16, 2, v0
	v_mul_hi_u32 v15, v2, v15
	v_cndmask_b32_e64 v14, v13, v14, s1
	v_cmp_gt_i32_e64 s1, 32, v19
	s_sub_i32 s3, s4, s5
	v_or_b32_e32 v17, 4, v0
	v_or_b32_e32 v18, 6, v0
	v_mul_lo_u32 v1, s3, v1
	v_xor_b32_e32 v21, 1, v13
	v_add_nc_u32_e32 v2, v2, v15
	v_cndmask_b32_e64 v15, v13, v19, s1
	v_cmp_gt_i32_e64 s1, 32, v20
	v_lshlrev_b32_e32 v12, 2, v12
	v_add3_u32 v30, v30, v0, 0
	v_mul_hi_u32 v23, v16, v2
	v_mul_hi_u32 v24, v17, v2
	v_cndmask_b32_e64 v19, v13, v20, s1
	v_mul_hi_u32 v20, v0, v2
	v_mul_hi_u32 v2, v18, v2
	v_lshl_add_u32 v1, v1, 7, v9
	v_cmp_gt_i32_e64 s1, 32, v21
	s_mov_b32 s3, 0
	s_mov_b32 s4, 0
	s_delay_alu instid0(VALU_DEP_2)
	v_lshl_or_b32 v8, v8, 2, v1
	v_mul_lo_u32 v9, v20, s2
	v_mul_lo_u32 v20, v23, s2
	;; [unrolled: 1-line block ×3, first 2 shown]
	v_cndmask_b32_e64 v21, v13, v21, s1
	v_cmp_gt_i32_e64 s1, 32, v22
	v_mul_lo_u32 v23, v24, s2
	v_sub_nc_u32_e32 v9, v0, v9
	s_delay_alu instid0(VALU_DEP_3)
	v_cndmask_b32_e64 v22, v13, v22, s1
	v_lshlrev_b32_e32 v13, 2, v14
	v_lshlrev_b32_e32 v14, 2, v15
	;; [unrolled: 1-line block ×3, first 2 shown]
	v_sub_nc_u32_e32 v19, v16, v20
	v_sub_nc_u32_e32 v2, v18, v2
	v_subrev_nc_u32_e32 v18, s2, v9
	v_cmp_le_u32_e64 s1, s2, v9
	v_sub_nc_u32_e32 v17, v17, v23
	v_subrev_nc_u32_e32 v20, s2, v19
	v_lshlrev_b32_e32 v16, 2, v21
	v_subrev_nc_u32_e32 v23, s2, v2
	v_cndmask_b32_e64 v9, v9, v18, s1
	v_cmp_le_u32_e64 s1, s2, v19
	v_subrev_nc_u32_e32 v21, s2, v17
	s_delay_alu instid0(VALU_DEP_2) | instskip(SKIP_2) | instid1(VALU_DEP_2)
	v_cndmask_b32_e64 v18, v19, v20, s1
	v_cmp_le_u32_e64 s1, s2, v17
	v_subrev_nc_u32_e32 v20, s2, v9
	v_cndmask_b32_e64 v19, v17, v21, s1
	v_cmp_le_u32_e64 s1, s2, v2
	v_subrev_nc_u32_e32 v21, s2, v18
	v_lshlrev_b32_e32 v17, 2, v22
	s_delay_alu instid0(VALU_DEP_4) | instskip(NEXT) | instid1(VALU_DEP_4)
	v_subrev_nc_u32_e32 v22, s2, v19
	v_cndmask_b32_e64 v2, v2, v23, s1
	v_cmp_le_u32_e64 s1, s2, v9
	s_delay_alu instid0(VALU_DEP_2) | instskip(NEXT) | instid1(VALU_DEP_2)
	v_subrev_nc_u32_e32 v23, s2, v2
	v_cndmask_b32_e64 v9, v9, v20, s1
	v_cmp_le_u32_e64 s1, s2, v18
	s_delay_alu instid0(VALU_DEP_2) | instskip(NEXT) | instid1(VALU_DEP_2)
	v_and_b32_e32 v9, -2, v9
	v_cndmask_b32_e64 v18, v18, v21, s1
	v_cmp_le_u32_e64 s1, s2, v19
	s_delay_alu instid0(VALU_DEP_2) | instskip(NEXT) | instid1(VALU_DEP_2)
	v_and_b32_e32 v1, -2, v18
	v_cndmask_b32_e64 v19, v19, v22, s1
	v_cmp_le_u32_e64 s1, s2, v2
	v_add_nc_u32_e32 v18, v3, v9
	s_delay_alu instid0(VALU_DEP_4) | instskip(SKIP_1) | instid1(VALU_DEP_4)
	v_add_nc_u32_e32 v20, v3, v1
	v_add_nc_u32_e32 v21, v25, v1
	v_cndmask_b32_e64 v2, v2, v23, s1
	v_and_b32_e32 v23, -2, v19
	v_add_nc_u32_e32 v19, v25, v9
	s_delay_alu instid0(VALU_DEP_3) | instskip(NEXT) | instid1(VALU_DEP_3)
	v_and_b32_e32 v2, -2, v2
	v_add_nc_u32_e32 v22, v3, v23
	v_add_nc_u32_e32 v23, v25, v23
	s_delay_alu instid0(VALU_DEP_3)
	v_add_nc_u32_e32 v24, v3, v2
	v_add_nc_u32_e32 v25, v25, v2
	s_waitcnt vmcnt(1)
	v_lshrrev_b32_e32 v26, 16, v4
	v_lshrrev_b32_e32 v27, 16, v5
	s_waitcnt vmcnt(0)
	v_lshrrev_b32_e32 v28, 16, v6
	v_lshrrev_b32_e32 v29, 16, v7
	s_branch .LBB141_10
.LBB141_9:                              ;   in Loop: Header=BB141_10 Depth=1
	s_or_b32 exec_lo, exec_lo, s2
	v_ashrrev_i32_e32 v9, 31, v8
	v_lshrrev_b32_e32 v2, 16, v33
	v_and_b32_e32 v3, 0xffff0000, v34
	s_add_i32 s4, s4, 1
	v_add_nc_u32_e32 v30, 0x100, v30
	v_lshlrev_b64 v[0:1], 1, v[8:9]
	v_lshrrev_b32_e32 v9, 16, v31
	v_cmp_ge_i32_e64 s1, s4, v11
	v_or_b32_e32 v2, v3, v2
	v_add_nc_u32_e32 v8, 0x80, v8
	v_add_co_u32 v33, s2, s12, v0
	s_delay_alu instid0(VALU_DEP_1)
	v_add_co_ci_u32_e64 v34, s2, s13, v1, s2
	v_and_or_b32 v1, 0xffff0000, v32, v9
	s_or_b32 s3, s1, s3
	global_store_b64 v[33:34], v[1:2], off
	s_and_not1_b32 exec_lo, exec_lo, s3
	s_cbranch_execz .LBB141_28
.LBB141_10:                             ; =>This Inner Loop Header: Depth=1
	ds_load_b64 v[0:1], v30
	s_waitcnt lgkmcnt(0)
	v_lshlrev_b32_e32 v3, 16, v0
	v_and_b32_e32 v2, 0xffff0000, v0
	v_alignbit_b32 v0, v1, v0, 16
	s_delay_alu instid0(VALU_DEP_2) | instskip(NEXT) | instid1(VALU_DEP_2)
	v_dual_mul_f32 v9, v2, v2 :: v_dual_and_b32 v32, 0xffff0000, v1
	v_and_b32_e32 v31, 0xffff0000, v0
	s_delay_alu instid0(VALU_DEP_2) | instskip(NEXT) | instid1(VALU_DEP_1)
	v_fmac_f32_e32 v9, v3, v3
	v_fmac_f32_e32 v9, v31, v31
	s_delay_alu instid0(VALU_DEP_1)
	v_fmac_f32_e32 v9, v32, v32
	ds_bpermute_b32 v0, v12, v9
	s_waitcnt lgkmcnt(0)
	v_add_f32_e32 v0, v9, v0
	ds_bpermute_b32 v1, v13, v0
	s_waitcnt lgkmcnt(0)
	v_add_f32_e32 v0, v0, v1
	;; [unrolled: 3-line block ×5, first 2 shown]
	s_delay_alu instid0(VALU_DEP_1) | instskip(NEXT) | instid1(VALU_DEP_1)
	v_fma_f32 v0, 0x3c000000, v0, s19
	v_mul_f32_e32 v1, 0x4b800000, v0
	v_cmp_gt_f32_e64 s1, 0x800000, v0
	s_delay_alu instid0(VALU_DEP_1) | instskip(SKIP_1) | instid1(VALU_DEP_2)
	v_cndmask_b32_e64 v0, v0, v1, s1
	v_add_nc_u32_e32 v1, s4, v10
	v_rsq_f32_e32 v0, v0
	s_delay_alu instid0(VALU_DEP_1) | instskip(NEXT) | instid1(VALU_DEP_1)
	v_cmp_gt_i32_e64 s2, s16, v1
	v_cndmask_b32_e64 v33, v28, v26, s2
	v_cndmask_b32_e64 v34, v7, v5, s2
	;; [unrolled: 1-line block ×4, first 2 shown]
	s_waitcnt_depctr 0xfff
	v_mul_f32_e32 v9, 0x45800000, v0
	s_delay_alu instid0(VALU_DEP_1) | instskip(SKIP_2) | instid1(VALU_DEP_2)
	v_cndmask_b32_e64 v0, v0, v9, s1
	v_lshlrev_b32_e32 v9, 16, v33
	v_lshlrev_b32_e32 v33, 16, v34
	v_dual_mul_f32 v9, v0, v9 :: v_dual_lshlrev_b32 v34, 16, v35
	s_delay_alu instid0(VALU_DEP_2) | instskip(NEXT) | instid1(VALU_DEP_2)
	v_mul_f32_e32 v33, v0, v33
	v_dual_mul_f32 v34, v0, v34 :: v_dual_lshlrev_b32 v1, 16, v1
	s_delay_alu instid0(VALU_DEP_1) | instskip(NEXT) | instid1(VALU_DEP_1)
	v_mul_f32_e32 v1, v0, v1
	v_mul_f32_e32 v0, v1, v3
	;; [unrolled: 1-line block ×3, first 2 shown]
	s_delay_alu instid0(VALU_DEP_4)
	v_dual_mul_f32 v2, v33, v31 :: v_dual_mul_f32 v3, v34, v32
	s_and_saveexec_b32 s1, vcc_lo
	s_cbranch_execz .LBB141_12
; %bb.11:                               ;   in Loop: Header=BB141_10 Depth=1
	; wave barrier
	ds_load_u16 v31, v18
	ds_load_u16 v32, v19
	ds_bpermute_b32 v33, v17, v1
	ds_load_u16 v34, v20
	ds_load_u16 v35, v21
	ds_bpermute_b32 v9, v17, v0
	ds_bpermute_b32 v36, v17, v2
	ds_load_u16 v37, v23
	ds_bpermute_b32 v38, v17, v3
	ds_load_u16 v39, v25
	ds_load_u16 v40, v22
	;; [unrolled: 1-line block ×3, first 2 shown]
	; wave barrier
	s_waitcnt lgkmcnt(11)
	v_lshlrev_b32_e32 v42, 16, v31
	s_waitcnt lgkmcnt(10)
	v_lshlrev_b32_e32 v31, 16, v32
	s_waitcnt lgkmcnt(9)
	v_cndmask_b32_e64 v32, v33, -v33, s0
	s_waitcnt lgkmcnt(7)
	v_lshlrev_b32_e32 v33, 16, v35
	s_waitcnt lgkmcnt(6)
	v_cndmask_b32_e64 v9, v9, -v9, s0
	s_delay_alu instid0(VALU_DEP_2)
	v_mul_f32_e32 v32, v32, v33
	s_waitcnt lgkmcnt(4)
	v_lshlrev_b32_e32 v35, 16, v37
	s_waitcnt lgkmcnt(2)
	v_lshlrev_b32_e32 v37, 16, v39
	v_lshlrev_b32_e32 v43, 16, v34
	v_cndmask_b32_e64 v34, v36, -v36, s0
	v_cndmask_b32_e64 v36, v38, -v38, s0
	v_mul_f32_e32 v31, v9, v31
	s_delay_alu instid0(VALU_DEP_2) | instskip(SKIP_2) | instid1(VALU_DEP_1)
	v_dual_mul_f32 v33, v34, v35 :: v_dual_mul_f32 v34, v36, v37
	s_waitcnt lgkmcnt(0)
	v_dual_fmac_f32 v32, v1, v43 :: v_dual_lshlrev_b32 v35, 16, v41
	v_dual_fmac_f32 v34, v3, v35 :: v_dual_lshlrev_b32 v9, 16, v40
	s_delay_alu instid0(VALU_DEP_1) | instskip(SKIP_1) | instid1(VALU_DEP_1)
	v_fmac_f32_e32 v33, v2, v9
	v_fmac_f32_e32 v31, v0, v42
	v_dual_mov_b32 v0, v31 :: v_dual_mov_b32 v1, v32
	s_delay_alu instid0(VALU_DEP_3)
	v_dual_mov_b32 v2, v33 :: v_dual_mov_b32 v3, v34
.LBB141_12:                             ;   in Loop: Header=BB141_10 Depth=1
	s_or_b32 exec_lo, exec_lo, s1
	s_delay_alu instid0(VALU_DEP_2) | instskip(NEXT) | instid1(VALU_DEP_1)
	v_and_b32_e32 v9, 0x7f800000, v0
                                        ; implicit-def: $vgpr31
	v_cmp_ne_u32_e64 s1, 0x7f800000, v9
	s_delay_alu instid0(VALU_DEP_1) | instskip(NEXT) | instid1(SALU_CYCLE_1)
	s_and_saveexec_b32 s2, s1
	s_xor_b32 s1, exec_lo, s2
; %bb.13:                               ;   in Loop: Header=BB141_10 Depth=1
	v_bfe_u32 v9, v0, 16, 1
	s_delay_alu instid0(VALU_DEP_1)
	v_add3_u32 v31, v0, v9, 0x7fff
; %bb.14:                               ;   in Loop: Header=BB141_10 Depth=1
	s_and_not1_saveexec_b32 s2, s1
; %bb.15:                               ;   in Loop: Header=BB141_10 Depth=1
	v_and_b32_e32 v9, 0xffff, v0
	v_or_b32_e32 v31, 0x10000, v0
	s_delay_alu instid0(VALU_DEP_2) | instskip(NEXT) | instid1(VALU_DEP_1)
	v_cmp_eq_u32_e64 s1, 0, v9
	v_cndmask_b32_e64 v31, v31, v0, s1
; %bb.16:                               ;   in Loop: Header=BB141_10 Depth=1
	s_or_b32 exec_lo, exec_lo, s2
	v_and_b32_e32 v0, 0x7f800000, v1
                                        ; implicit-def: $vgpr32
	s_delay_alu instid0(VALU_DEP_1) | instskip(NEXT) | instid1(VALU_DEP_1)
	v_cmp_ne_u32_e64 s1, 0x7f800000, v0
	s_and_saveexec_b32 s2, s1
	s_delay_alu instid0(SALU_CYCLE_1)
	s_xor_b32 s1, exec_lo, s2
; %bb.17:                               ;   in Loop: Header=BB141_10 Depth=1
	v_bfe_u32 v0, v1, 16, 1
	s_delay_alu instid0(VALU_DEP_1)
	v_add3_u32 v32, v1, v0, 0x7fff
; %bb.18:                               ;   in Loop: Header=BB141_10 Depth=1
	s_and_not1_saveexec_b32 s2, s1
; %bb.19:                               ;   in Loop: Header=BB141_10 Depth=1
	v_and_b32_e32 v0, 0xffff, v1
	v_or_b32_e32 v9, 0x10000, v1
	s_delay_alu instid0(VALU_DEP_2) | instskip(NEXT) | instid1(VALU_DEP_1)
	v_cmp_eq_u32_e64 s1, 0, v0
	v_cndmask_b32_e64 v32, v9, v1, s1
; %bb.20:                               ;   in Loop: Header=BB141_10 Depth=1
	s_or_b32 exec_lo, exec_lo, s2
	v_and_b32_e32 v0, 0x7f800000, v2
                                        ; implicit-def: $vgpr33
	s_delay_alu instid0(VALU_DEP_1) | instskip(NEXT) | instid1(VALU_DEP_1)
	v_cmp_ne_u32_e64 s1, 0x7f800000, v0
	s_and_saveexec_b32 s2, s1
	s_delay_alu instid0(SALU_CYCLE_1)
	s_xor_b32 s1, exec_lo, s2
; %bb.21:                               ;   in Loop: Header=BB141_10 Depth=1
	v_bfe_u32 v0, v2, 16, 1
	s_delay_alu instid0(VALU_DEP_1)
	v_add3_u32 v33, v2, v0, 0x7fff
; %bb.22:                               ;   in Loop: Header=BB141_10 Depth=1
	s_and_not1_saveexec_b32 s2, s1
; %bb.23:                               ;   in Loop: Header=BB141_10 Depth=1
	v_and_b32_e32 v0, 0xffff, v2
	v_or_b32_e32 v1, 0x10000, v2
	s_delay_alu instid0(VALU_DEP_2) | instskip(NEXT) | instid1(VALU_DEP_1)
	v_cmp_eq_u32_e64 s1, 0, v0
	v_cndmask_b32_e64 v33, v1, v2, s1
; %bb.24:                               ;   in Loop: Header=BB141_10 Depth=1
	s_or_b32 exec_lo, exec_lo, s2
	v_and_b32_e32 v0, 0x7f800000, v3
                                        ; implicit-def: $vgpr34
	s_delay_alu instid0(VALU_DEP_1) | instskip(NEXT) | instid1(VALU_DEP_1)
	v_cmp_ne_u32_e64 s1, 0x7f800000, v0
	s_and_saveexec_b32 s2, s1
	s_delay_alu instid0(SALU_CYCLE_1)
	s_xor_b32 s1, exec_lo, s2
; %bb.25:                               ;   in Loop: Header=BB141_10 Depth=1
	v_bfe_u32 v0, v3, 16, 1
	s_delay_alu instid0(VALU_DEP_1)
	v_add3_u32 v34, v3, v0, 0x7fff
                                        ; implicit-def: $vgpr0_vgpr1_vgpr2_vgpr3
; %bb.26:                               ;   in Loop: Header=BB141_10 Depth=1
	s_and_not1_saveexec_b32 s2, s1
	s_cbranch_execz .LBB141_9
; %bb.27:                               ;   in Loop: Header=BB141_10 Depth=1
	v_and_b32_e32 v0, 0xffff, v3
	v_or_b32_e32 v1, 0x10000, v3
	s_delay_alu instid0(VALU_DEP_2) | instskip(NEXT) | instid1(VALU_DEP_1)
	v_cmp_eq_u32_e64 s1, 0, v0
	v_cndmask_b32_e64 v34, v1, v3, s1
	s_branch .LBB141_9
.LBB141_28:
	s_nop 0
	s_sendmsg sendmsg(MSG_DEALLOC_VGPRS)
	s_endpgm
	.section	.rodata,"a",@progbits
	.p2align	6, 0x0
	.amdhsa_kernel _ZN12tensorrt_llm7kernels32fusedQKNormRopeKernelNTokenHeadsIN3c108BFloat16ES3_Li128ELb0ELi8EEEvPviiifPKvS6_S6_PKlii
		.amdhsa_group_segment_fixed_size 0
		.amdhsa_private_segment_fixed_size 0
		.amdhsa_kernarg_size 320
		.amdhsa_user_sgpr_count 15
		.amdhsa_user_sgpr_dispatch_ptr 0
		.amdhsa_user_sgpr_queue_ptr 0
		.amdhsa_user_sgpr_kernarg_segment_ptr 1
		.amdhsa_user_sgpr_dispatch_id 0
		.amdhsa_user_sgpr_private_segment_size 0
		.amdhsa_wavefront_size32 1
		.amdhsa_uses_dynamic_stack 0
		.amdhsa_enable_private_segment 0
		.amdhsa_system_sgpr_workgroup_id_x 1
		.amdhsa_system_sgpr_workgroup_id_y 0
		.amdhsa_system_sgpr_workgroup_id_z 0
		.amdhsa_system_sgpr_workgroup_info 0
		.amdhsa_system_vgpr_workitem_id 0
		.amdhsa_next_free_vgpr 44
		.amdhsa_next_free_sgpr 21
		.amdhsa_reserve_vcc 1
		.amdhsa_float_round_mode_32 0
		.amdhsa_float_round_mode_16_64 0
		.amdhsa_float_denorm_mode_32 3
		.amdhsa_float_denorm_mode_16_64 3
		.amdhsa_dx10_clamp 1
		.amdhsa_ieee_mode 1
		.amdhsa_fp16_overflow 0
		.amdhsa_workgroup_processor_mode 1
		.amdhsa_memory_ordered 1
		.amdhsa_forward_progress 0
		.amdhsa_shared_vgpr_count 0
		.amdhsa_exception_fp_ieee_invalid_op 0
		.amdhsa_exception_fp_denorm_src 0
		.amdhsa_exception_fp_ieee_div_zero 0
		.amdhsa_exception_fp_ieee_overflow 0
		.amdhsa_exception_fp_ieee_underflow 0
		.amdhsa_exception_fp_ieee_inexact 0
		.amdhsa_exception_int_div_zero 0
	.end_amdhsa_kernel
	.section	.text._ZN12tensorrt_llm7kernels32fusedQKNormRopeKernelNTokenHeadsIN3c108BFloat16ES3_Li128ELb0ELi8EEEvPviiifPKvS6_S6_PKlii,"axG",@progbits,_ZN12tensorrt_llm7kernels32fusedQKNormRopeKernelNTokenHeadsIN3c108BFloat16ES3_Li128ELb0ELi8EEEvPviiifPKvS6_S6_PKlii,comdat
.Lfunc_end141:
	.size	_ZN12tensorrt_llm7kernels32fusedQKNormRopeKernelNTokenHeadsIN3c108BFloat16ES3_Li128ELb0ELi8EEEvPviiifPKvS6_S6_PKlii, .Lfunc_end141-_ZN12tensorrt_llm7kernels32fusedQKNormRopeKernelNTokenHeadsIN3c108BFloat16ES3_Li128ELb0ELi8EEEvPviiifPKvS6_S6_PKlii
                                        ; -- End function
	.section	.AMDGPU.csdata,"",@progbits
; Kernel info:
; codeLenInByte = 2728
; NumSgprs: 23
; NumVgprs: 44
; ScratchSize: 0
; MemoryBound: 0
; FloatMode: 240
; IeeeMode: 1
; LDSByteSize: 0 bytes/workgroup (compile time only)
; SGPRBlocks: 2
; VGPRBlocks: 5
; NumSGPRsForWavesPerEU: 23
; NumVGPRsForWavesPerEU: 44
; Occupancy: 16
; WaveLimiterHint : 0
; COMPUTE_PGM_RSRC2:SCRATCH_EN: 0
; COMPUTE_PGM_RSRC2:USER_SGPR: 15
; COMPUTE_PGM_RSRC2:TRAP_HANDLER: 0
; COMPUTE_PGM_RSRC2:TGID_X_EN: 1
; COMPUTE_PGM_RSRC2:TGID_Y_EN: 0
; COMPUTE_PGM_RSRC2:TGID_Z_EN: 0
; COMPUTE_PGM_RSRC2:TIDIG_COMP_CNT: 0
	.section	.text._ZN12tensorrt_llm7kernels32fusedQKNormRopeKernelNTokenHeadsIN3c108BFloat16ES3_Li256ELb1ELi8EEEvPviiifPKvS6_S6_PKlii,"axG",@progbits,_ZN12tensorrt_llm7kernels32fusedQKNormRopeKernelNTokenHeadsIN3c108BFloat16ES3_Li256ELb1ELi8EEEvPviiifPKvS6_S6_PKlii,comdat
	.protected	_ZN12tensorrt_llm7kernels32fusedQKNormRopeKernelNTokenHeadsIN3c108BFloat16ES3_Li256ELb1ELi8EEEvPviiifPKvS6_S6_PKlii ; -- Begin function _ZN12tensorrt_llm7kernels32fusedQKNormRopeKernelNTokenHeadsIN3c108BFloat16ES3_Li256ELb1ELi8EEEvPviiifPKvS6_S6_PKlii
	.globl	_ZN12tensorrt_llm7kernels32fusedQKNormRopeKernelNTokenHeadsIN3c108BFloat16ES3_Li256ELb1ELi8EEEvPviiifPKvS6_S6_PKlii
	.p2align	8
	.type	_ZN12tensorrt_llm7kernels32fusedQKNormRopeKernelNTokenHeadsIN3c108BFloat16ES3_Li256ELb1ELi8EEEvPviiifPKvS6_S6_PKlii,@function
_ZN12tensorrt_llm7kernels32fusedQKNormRopeKernelNTokenHeadsIN3c108BFloat16ES3_Li256ELb1ELi8EEEvPviiifPKvS6_S6_PKlii: ; @_ZN12tensorrt_llm7kernels32fusedQKNormRopeKernelNTokenHeadsIN3c108BFloat16ES3_Li256ELb1ELi8EEEvPviiifPKvS6_S6_PKlii
; %bb.0:
	s_clause 0x1
	s_load_b128 s[16:19], s[0:1], 0x8
	s_load_b64 s[2:3], s[0:1], 0x38
	v_lshrrev_b32_e32 v2, 5, v0
	s_waitcnt lgkmcnt(0)
	s_add_i32 s4, s17, s16
	s_delay_alu instid0(SALU_CYCLE_1) | instskip(NEXT) | instid1(SALU_CYCLE_1)
	s_add_i32 s5, s4, 7
	s_ashr_i32 s6, s5, 31
	s_delay_alu instid0(SALU_CYCLE_1) | instskip(NEXT) | instid1(SALU_CYCLE_1)
	s_lshr_b32 s6, s6, 29
	s_add_i32 s5, s5, s6
	s_delay_alu instid0(SALU_CYCLE_1) | instskip(SKIP_2) | instid1(SALU_CYCLE_1)
	s_ashr_i32 s14, s5, 3
	s_load_b32 s5, s[0:1], 0x4c
	s_abs_i32 s6, s14
	v_cvt_f32_u32_e32 v1, s6
	s_sub_i32 s7, 0, s6
	s_delay_alu instid0(VALU_DEP_1) | instskip(SKIP_4) | instid1(SALU_CYCLE_1)
	v_rcp_iflag_f32_e32 v1, v1
	s_waitcnt_depctr 0xfff
	v_mul_f32_e32 v1, 0x4f7ffffe, v1
	s_waitcnt lgkmcnt(0)
	s_bfe_u32 s5, s5, 0xb0005
	v_mad_u64_u32 v[3:4], null, s15, s5, v[2:3]
	s_delay_alu instid0(VALU_DEP_2) | instskip(NEXT) | instid1(VALU_DEP_1)
	v_cvt_u32_f32_e32 v1, v1
	v_mul_lo_u32 v5, s7, v1
	s_delay_alu instid0(VALU_DEP_1) | instskip(NEXT) | instid1(VALU_DEP_4)
	v_mul_hi_u32 v4, v1, v5
	v_sub_nc_u32_e32 v5, 0, v3
	s_delay_alu instid0(VALU_DEP_1) | instskip(NEXT) | instid1(VALU_DEP_3)
	v_max_i32_e32 v5, v3, v5
	v_add_nc_u32_e32 v1, v1, v4
	s_delay_alu instid0(VALU_DEP_1) | instskip(NEXT) | instid1(VALU_DEP_1)
	v_mul_hi_u32 v1, v5, v1
	v_mul_lo_u32 v4, v1, s6
	s_delay_alu instid0(VALU_DEP_1) | instskip(SKIP_1) | instid1(VALU_DEP_2)
	v_sub_nc_u32_e32 v4, v5, v4
	v_add_nc_u32_e32 v5, 1, v1
	v_subrev_nc_u32_e32 v6, s6, v4
	v_cmp_le_u32_e32 vcc_lo, s6, v4
	s_delay_alu instid0(VALU_DEP_2) | instskip(SKIP_1) | instid1(VALU_DEP_2)
	v_dual_cndmask_b32 v4, v4, v6 :: v_dual_cndmask_b32 v1, v1, v5
	v_xor_b32_e32 v5, s14, v3
	v_cmp_le_u32_e32 vcc_lo, s6, v4
	s_delay_alu instid0(VALU_DEP_3) | instskip(NEXT) | instid1(VALU_DEP_3)
	v_add_nc_u32_e32 v6, 1, v1
	v_ashrrev_i32_e32 v5, 31, v5
	s_delay_alu instid0(VALU_DEP_2) | instskip(NEXT) | instid1(VALU_DEP_1)
	v_cndmask_b32_e32 v1, v1, v6, vcc_lo
	v_xor_b32_e32 v1, v1, v5
	s_delay_alu instid0(VALU_DEP_1) | instskip(NEXT) | instid1(VALU_DEP_1)
	v_sub_nc_u32_e32 v1, v1, v5
	v_cmp_gt_i32_e32 vcc_lo, s2, v1
	s_and_saveexec_b32 s2, vcc_lo
	s_cbranch_execz .LBB142_44
; %bb.1:
	v_mul_lo_u32 v4, v1, s14
	s_load_b64 s[12:13], s[0:1], 0x0
	v_and_b32_e32 v6, 31, v0
	v_lshlrev_b32_e32 v12, 12, v2
	s_lshl_b32 s20, s3, 1
	s_delay_alu instid0(SALU_CYCLE_1) | instskip(NEXT) | instid1(VALU_DEP_2)
	s_mul_i32 s15, s20, s5
	v_lshlrev_b32_e32 v7, 4, v6
	s_delay_alu instid0(VALU_DEP_4) | instskip(NEXT) | instid1(VALU_DEP_1)
	v_sub_nc_u32_e32 v4, v3, v4
	v_lshlrev_b32_e32 v14, 3, v4
	s_delay_alu instid0(VALU_DEP_1) | instskip(SKIP_1) | instid1(VALU_DEP_2)
	v_add_nc_u32_e32 v4, 8, v14
	v_sub_nc_u32_e32 v5, s4, v14
	v_cmp_lt_i32_e32 vcc_lo, s4, v4
	s_delay_alu instid0(VALU_DEP_2) | instskip(SKIP_1) | instid1(VALU_DEP_2)
	v_cndmask_b32_e32 v15, 8, v5, vcc_lo
	v_lshlrev_b32_e32 v5, 11, v3
	v_cmp_lt_i32_e32 vcc_lo, 0, v15
	s_and_saveexec_b32 s4, vcc_lo
	s_cbranch_execz .LBB142_4
; %bb.2:
	s_add_i32 s2, s18, s17
	s_lshl_b32 s5, s14, 3
	s_add_i32 s2, s2, s16
	s_mov_b32 s6, 0
	s_sub_i32 s2, s2, s5
	s_mov_b32 s5, 0
	v_mul_lo_u32 v3, s2, v1
	s_add_i32 s2, s15, 0
	s_delay_alu instid0(SALU_CYCLE_1) | instskip(NEXT) | instid1(VALU_DEP_2)
	v_add3_u32 v8, s2, v12, v7
	v_lshl_add_u32 v3, v3, 8, v5
	s_delay_alu instid0(VALU_DEP_1)
	v_lshl_or_b32 v3, v6, 3, v3
	.p2align	6
.LBB142_3:                              ; =>This Inner Loop Header: Depth=1
	s_delay_alu instid0(VALU_DEP_1) | instskip(SKIP_1) | instid1(VALU_DEP_1)
	v_ashrrev_i32_e32 v4, 31, v3
	s_add_i32 s6, s6, 1
	v_lshlrev_b64 v[9:10], 1, v[3:4]
	v_add_nc_u32_e32 v3, 0x100, v3
	s_waitcnt lgkmcnt(0)
	s_delay_alu instid0(VALU_DEP_2) | instskip(NEXT) | instid1(VALU_DEP_1)
	v_add_co_u32 v9, s2, s12, v9
	v_add_co_ci_u32_e64 v10, s2, s13, v10, s2
	v_cmp_ge_i32_e64 s2, s6, v15
	global_load_b128 v[16:19], v[9:10], off
	s_or_b32 s5, s2, s5
	s_waitcnt vmcnt(0)
	ds_store_b128 v8, v[16:19]
	v_add_nc_u32_e32 v8, 0x200, v8
	s_and_not1_b32 exec_lo, exec_lo, s5
	s_cbranch_execnz .LBB142_3
.LBB142_4:
	s_or_b32 exec_lo, exec_lo, s4
	s_load_b256 s[4:11], s[0:1], 0x18
	v_mul_lo_u32 v2, v2, s3
	s_add_i32 s0, s20, 15
	s_mov_b32 s20, exec_lo
	s_ashr_i32 s1, s0, 31
	s_delay_alu instid0(SALU_CYCLE_1) | instskip(NEXT) | instid1(SALU_CYCLE_1)
	s_lshr_b32 s1, s1, 28
	s_add_i32 s0, s0, s1
	s_delay_alu instid0(VALU_DEP_1) | instskip(SKIP_1) | instid1(SALU_CYCLE_1)
	v_lshlrev_b32_e32 v4, 1, v2
	s_ashr_i32 s2, s0, 4
	v_cmpx_gt_i32_e64 s2, v6
	s_cbranch_execz .LBB142_7
; %bb.5:
	v_ashrrev_i32_e32 v2, 31, v1
	v_and_b32_e32 v0, 31, v0
	s_delay_alu instid0(VALU_DEP_2) | instskip(NEXT) | instid1(VALU_DEP_2)
	v_lshlrev_b64 v[2:3], 3, v[1:2]
	v_lshlrev_b32_e32 v0, 4, v0
	s_waitcnt lgkmcnt(0)
	s_delay_alu instid0(VALU_DEP_2) | instskip(NEXT) | instid1(VALU_DEP_1)
	v_add_co_u32 v2, s0, s10, v2
	v_add_co_ci_u32_e64 v3, s0, s11, v3, s0
	s_ashr_i32 s0, s3, 31
	global_load_b64 v[2:3], v[2:3], off
	s_waitcnt vmcnt(0)
	v_mul_lo_u32 v3, v3, s3
	v_mul_lo_u32 v10, v2, s0
	v_mad_u64_u32 v[8:9], null, v2, s3, 0
	s_delay_alu instid0(VALU_DEP_1) | instskip(NEXT) | instid1(VALU_DEP_1)
	v_add3_u32 v9, v9, v10, v3
	v_lshlrev_b64 v[2:3], 1, v[8:9]
	v_mov_b32_e32 v8, v6
	s_delay_alu instid0(VALU_DEP_2) | instskip(NEXT) | instid1(VALU_DEP_1)
	v_add_co_u32 v2, s0, v2, v0
	v_add_co_ci_u32_e64 v3, s0, 0, v3, s0
	v_add3_u32 v0, v4, v7, 0
	s_delay_alu instid0(VALU_DEP_3) | instskip(NEXT) | instid1(VALU_DEP_1)
	v_add_co_u32 v2, s0, s8, v2
	v_add_co_ci_u32_e64 v3, s0, s9, v3, s0
	s_mov_b32 s8, 0
	.p2align	6
.LBB142_6:                              ; =>This Inner Loop Header: Depth=1
	global_load_b128 v[16:19], v[2:3], off
	v_add_nc_u32_e32 v8, 32, v8
	v_add_co_u32 v2, s0, 0x200, v2
	s_delay_alu instid0(VALU_DEP_1) | instskip(NEXT) | instid1(VALU_DEP_3)
	v_add_co_ci_u32_e64 v3, s0, 0, v3, s0
	v_cmp_le_i32_e64 s1, s2, v8
	s_delay_alu instid0(VALU_DEP_1)
	s_or_b32 s8, s1, s8
	s_waitcnt vmcnt(0)
	ds_store_b128 v0, v[16:19]
	v_add_nc_u32_e32 v0, 0x200, v0
	s_and_not1_b32 exec_lo, exec_lo, s8
	s_cbranch_execnz .LBB142_6
.LBB142_7:
	s_or_b32 exec_lo, exec_lo, s20
	s_delay_alu instid0(SALU_CYCLE_1)
	s_and_b32 exec_lo, exec_lo, vcc_lo
	s_cbranch_execz .LBB142_44
; %bb.8:
	s_waitcnt lgkmcnt(0)
	s_clause 0x5
	global_load_b32 v16, v7, s[6:7] offset:2
	global_load_b64 v[8:9], v7, s[4:5] offset:8
	global_load_u16 v17, v7, s[4:5]
	global_load_u16 v18, v7, s[6:7]
	global_load_b32 v19, v7, s[4:5] offset:2
	global_load_b64 v[10:11], v7, s[6:7] offset:8
	v_mbcnt_lo_u32_b32 v2, -1, 0
	s_lshr_b32 s0, s3, 31
	s_ashr_i32 s1, s3, 31
	s_add_i32 s0, s3, s0
	s_lshr_b32 s1, s1, 29
	v_add_nc_u32_e32 v3, s15, v12
	v_xor_b32_e32 v12, 16, v2
	v_xor_b32_e32 v13, 8, v2
	v_lshlrev_b32_e32 v0, 3, v6
	v_xor_b32_e32 v22, 4, v2
	v_add3_u32 v21, v3, v7, 0
	v_xor_b32_e32 v23, 2, v2
	s_add_i32 s2, s18, s17
	v_add3_u32 v20, 0, v4, v0
	s_add_i32 s2, s2, s16
	v_xor_b32_e32 v24, 1, v2
	s_clause 0x1
	global_load_d16_hi_b16 v17, v7, s[4:5] offset:6
	global_load_d16_hi_b16 v18, v7, s[6:7] offset:6
	s_and_b32 s5, s0, -2
	s_add_i32 s0, s3, s1
	s_lshl_b32 s4, s14, 3
	s_ashr_i32 s0, s0, 3
	s_sub_i32 s1, s2, s4
	v_cmp_le_i32_e32 vcc_lo, s0, v6
	v_cmp_gt_i32_e64 s0, 32, v12
	v_mul_lo_u32 v1, s1, v1
	s_waitcnt vmcnt(3)
	v_lshrrev_b32_e32 v28, 16, v19
	v_lshrrev_b32_e32 v29, 16, v16
	;; [unrolled: 1-line block ×3, first 2 shown]
	v_cndmask_b32_e64 v3, v2, v12, s0
	v_cmp_gt_i32_e64 s0, 32, v13
	s_waitcnt vmcnt(2)
	v_lshrrev_b32_e32 v31, 16, v10
	v_lshrrev_b32_e32 v32, 16, v9
	v_lshl_add_u32 v1, v1, 8, v5
	v_lshrrev_b32_e32 v35, 16, v11
	v_cndmask_b32_e64 v4, v2, v13, s0
	v_cmp_gt_i32_e64 s0, 32, v22
	s_mov_b32 s2, 0
	v_or_b32_e32 v12, v1, v0
	s_mov_b32 s3, 0
	s_delay_alu instid0(VALU_DEP_2) | instskip(SKIP_2) | instid1(VALU_DEP_3)
	v_cndmask_b32_e64 v6, v2, v22, s0
	v_cmp_gt_i32_e64 s0, 32, v23
	v_add_nc_u32_e32 v22, s5, v20
	v_lshlrev_b32_e32 v25, 2, v6
	s_delay_alu instid0(VALU_DEP_3) | instskip(SKIP_2) | instid1(VALU_DEP_3)
	v_cndmask_b32_e64 v7, v2, v23, s0
	v_cmp_gt_i32_e64 s0, 32, v24
	v_lshlrev_b32_e32 v23, 2, v3
	v_lshlrev_b32_e32 v26, 2, v7
	s_delay_alu instid0(VALU_DEP_3) | instskip(SKIP_1) | instid1(VALU_DEP_2)
	v_cndmask_b32_e64 v2, v2, v24, s0
	v_lshlrev_b32_e32 v24, 2, v4
	v_lshlrev_b32_e32 v27, 2, v2
	s_waitcnt vmcnt(1)
	v_lshrrev_b32_e32 v33, 16, v17
	s_waitcnt vmcnt(0)
	v_lshrrev_b32_e32 v34, 16, v18
	s_branch .LBB142_10
.LBB142_9:                              ;   in Loop: Header=BB142_10 Depth=1
	s_or_b32 exec_lo, exec_lo, s1
	v_ashrrev_i32_e32 v13, 31, v12
	s_delay_alu instid0(VALU_DEP_2)
	v_perm_b32 v5, v6, v5, 0x7060302
	s_add_i32 s3, s3, 1
	v_perm_b32 v4, v4, v3, 0x7060302
	v_perm_b32 v3, v2, v1, 0x7060302
	v_lshlrev_b64 v[6:7], 1, v[12:13]
	v_perm_b32 v2, v0, v39, 0x7060302
	v_cmp_ge_i32_e64 s0, s3, v15
	v_add_nc_u32_e32 v12, 0x100, v12
	v_add_nc_u32_e32 v21, 0x200, v21
	v_add_co_u32 v0, s1, s12, v6
	s_delay_alu instid0(VALU_DEP_1)
	v_add_co_ci_u32_e64 v1, s1, s13, v7, s1
	s_or_b32 s2, s0, s2
	global_store_b128 v[0:1], v[2:5], off
	s_and_not1_b32 exec_lo, exec_lo, s2
	s_cbranch_execz .LBB142_44
.LBB142_10:                             ; =>This Inner Loop Header: Depth=1
	ds_load_b128 v[0:3], v21
	v_add_nc_u32_e32 v37, s3, v14
	s_delay_alu instid0(VALU_DEP_1) | instskip(NEXT) | instid1(VALU_DEP_1)
	v_cmp_gt_i32_e64 s1, s16, v37
	v_cndmask_b32_e64 v38, v34, v33, s1
	v_cndmask_b32_e64 v39, v18, v17, s1
	;; [unrolled: 1-line block ×6, first 2 shown]
	v_lshlrev_b32_e32 v39, 16, v39
	v_lshlrev_b32_e32 v38, 16, v38
	;; [unrolled: 1-line block ×3, first 2 shown]
	s_waitcnt lgkmcnt(0)
	v_lshlrev_b32_e32 v6, 16, v1
	v_and_b32_e32 v4, 0xffff0000, v0
	v_and_b32_e32 v1, 0xffff0000, v1
	v_lshlrev_b32_e32 v0, 16, v0
	v_lshlrev_b32_e32 v7, 16, v2
	s_delay_alu instid0(VALU_DEP_4) | instskip(SKIP_3) | instid1(VALU_DEP_4)
	v_dual_mul_f32 v5, v4, v4 :: v_dual_and_b32 v2, 0xffff0000, v2
	v_cndmask_b32_e64 v44, v11, v9, s1
	v_lshlrev_b32_e32 v37, 16, v37
	v_lshlrev_b32_e32 v40, 16, v40
	v_dual_fmac_f32 v5, v0, v0 :: v_dual_lshlrev_b32 v42, 16, v42
	s_delay_alu instid0(VALU_DEP_1) | instskip(NEXT) | instid1(VALU_DEP_1)
	v_fmac_f32_e32 v5, v6, v6
	v_fmac_f32_e32 v5, v1, v1
	s_delay_alu instid0(VALU_DEP_1) | instskip(SKIP_2) | instid1(VALU_DEP_3)
	v_fmac_f32_e32 v5, v7, v7
	v_lshlrev_b32_e32 v36, 16, v3
	v_and_b32_e32 v3, 0xffff0000, v3
	v_fmac_f32_e32 v5, v2, v2
	s_delay_alu instid0(VALU_DEP_1) | instskip(NEXT) | instid1(VALU_DEP_1)
	v_fmac_f32_e32 v5, v36, v36
	v_fmac_f32_e32 v5, v3, v3
	ds_bpermute_b32 v13, v23, v5
	s_waitcnt lgkmcnt(0)
	v_add_f32_e32 v5, v5, v13
	ds_bpermute_b32 v13, v24, v5
	s_waitcnt lgkmcnt(0)
	v_add_f32_e32 v5, v5, v13
	;; [unrolled: 3-line block ×5, first 2 shown]
	s_delay_alu instid0(VALU_DEP_1) | instskip(NEXT) | instid1(VALU_DEP_1)
	v_fma_f32 v5, 0x3b800000, v5, s19
	v_mul_f32_e32 v13, 0x4b800000, v5
	v_cmp_gt_f32_e64 s0, 0x800000, v5
	s_delay_alu instid0(VALU_DEP_1) | instskip(SKIP_1) | instid1(VALU_DEP_2)
	v_cndmask_b32_e64 v5, v5, v13, s0
	v_cndmask_b32_e64 v13, v29, v28, s1
	v_rsq_f32_e32 v5, v5
	s_delay_alu instid0(VALU_DEP_1) | instskip(SKIP_2) | instid1(VALU_DEP_1)
	v_lshlrev_b32_e32 v13, 16, v13
	s_waitcnt_depctr 0xfff
	v_mul_f32_e32 v43, 0x45800000, v5
	v_cndmask_b32_e64 v5, v5, v43, s0
	v_lshlrev_b32_e32 v43, 16, v44
	s_delay_alu instid0(VALU_DEP_2)
	v_mul_f32_e32 v39, v5, v39
	v_mul_f32_e32 v38, v5, v38
	;; [unrolled: 1-line block ×7, first 2 shown]
	v_dual_mul_f32 v5, v5, v42 :: v_dual_mul_f32 v40, v38, v1
	v_dual_mul_f32 v0, v39, v0 :: v_dual_mul_f32 v41, v13, v6
	s_delay_alu instid0(VALU_DEP_3) | instskip(SKIP_4) | instid1(SALU_CYCLE_1)
	v_mul_f32_e32 v36, v43, v36
	v_mul_f32_e32 v42, v37, v4
	v_dual_mul_f32 v37, v45, v2 :: v_dual_mul_f32 v38, v44, v7
	v_mul_f32_e32 v13, v5, v3
	s_and_saveexec_b32 s0, vcc_lo
	s_xor_b32 s0, exec_lo, s0
	s_delay_alu instid0(SALU_CYCLE_1)
	s_and_not1_saveexec_b32 s0, s0
	s_cbranch_execz .LBB142_12
; %bb.11:                               ;   in Loop: Header=BB142_10 Depth=1
	ds_load_b64 v[1:2], v20
	ds_load_b64 v[3:4], v22
	s_waitcnt lgkmcnt(0)
	v_lshlrev_b32_e32 v39, 16, v4
	v_and_b32_e32 v4, 0xffff0000, v4
	v_lshlrev_b32_e32 v7, 16, v2
	v_and_b32_e32 v2, 0xffff0000, v2
	v_and_b32_e32 v6, 0xffff0000, v3
	s_delay_alu instid0(VALU_DEP_4) | instskip(NEXT) | instid1(VALU_DEP_3)
	v_mul_f32_e32 v46, v13, v4
	v_mul_f32_e32 v13, v13, v2
	s_delay_alu instid0(VALU_DEP_3)
	v_dual_mul_f32 v44, v40, v6 :: v_dual_and_b32 v5, 0xffff0000, v1
	v_lshlrev_b32_e32 v1, 16, v1
	v_mul_f32_e32 v45, v41, v6
	v_mul_f32_e32 v6, v37, v39
	v_lshlrev_b32_e32 v3, 16, v3
	v_mul_f32_e32 v37, v37, v7
	v_fma_f32 v41, v41, v5, -v44
	v_fmac_f32_e32 v13, v36, v4
	s_delay_alu instid0(VALU_DEP_4) | instskip(SKIP_1) | instid1(VALU_DEP_2)
	v_mul_f32_e32 v43, v42, v3
	v_mul_f32_e32 v42, v42, v1
	v_fma_f32 v1, v0, v1, -v43
	v_fmac_f32_e32 v45, v40, v5
	v_fma_f32 v43, v38, v7, -v6
	s_delay_alu instid0(VALU_DEP_4)
	v_fmac_f32_e32 v42, v0, v3
	v_fmac_f32_e32 v37, v38, v39
	v_fma_f32 v39, v36, v2, -v46
	v_mov_b32_e32 v0, v1
	v_dual_mov_b32 v1, v2 :: v_dual_mov_b32 v40, v45
	v_mov_b32_e32 v2, v3
	v_dual_mov_b32 v3, v4 :: v_dual_mov_b32 v38, v43
	;; [unrolled: 2-line block ×3, first 2 shown]
	v_mov_b32_e32 v6, v7
	v_mov_b32_e32 v7, v8
.LBB142_12:                             ;   in Loop: Header=BB142_10 Depth=1
	s_or_b32 exec_lo, exec_lo, s0
	v_and_b32_e32 v1, 0x7f800000, v0
                                        ; implicit-def: $vgpr39
	s_delay_alu instid0(VALU_DEP_1) | instskip(NEXT) | instid1(VALU_DEP_1)
	v_cmp_ne_u32_e64 s0, 0x7f800000, v1
	s_and_saveexec_b32 s1, s0
	s_delay_alu instid0(SALU_CYCLE_1)
	s_xor_b32 s0, exec_lo, s1
; %bb.13:                               ;   in Loop: Header=BB142_10 Depth=1
	v_bfe_u32 v1, v0, 16, 1
	s_delay_alu instid0(VALU_DEP_1)
	v_add3_u32 v39, v0, v1, 0x7fff
                                        ; implicit-def: $vgpr0_vgpr1_vgpr2_vgpr3_vgpr4_vgpr5_vgpr6_vgpr7
; %bb.14:                               ;   in Loop: Header=BB142_10 Depth=1
	s_and_not1_saveexec_b32 s1, s0
; %bb.15:                               ;   in Loop: Header=BB142_10 Depth=1
	v_and_b32_e32 v1, 0xffff, v0
	v_or_b32_e32 v2, 0x10000, v0
	s_delay_alu instid0(VALU_DEP_2) | instskip(NEXT) | instid1(VALU_DEP_1)
	v_cmp_eq_u32_e64 s0, 0, v1
	v_cndmask_b32_e64 v39, v2, v0, s0
; %bb.16:                               ;   in Loop: Header=BB142_10 Depth=1
	s_or_b32 exec_lo, exec_lo, s1
	v_and_b32_e32 v0, 0x7f800000, v42
	s_delay_alu instid0(VALU_DEP_1) | instskip(NEXT) | instid1(VALU_DEP_1)
	v_cmp_ne_u32_e64 s0, 0x7f800000, v0
                                        ; implicit-def: $vgpr0
	s_and_saveexec_b32 s1, s0
	s_delay_alu instid0(SALU_CYCLE_1)
	s_xor_b32 s0, exec_lo, s1
; %bb.17:                               ;   in Loop: Header=BB142_10 Depth=1
	v_bfe_u32 v0, v42, 16, 1
	s_delay_alu instid0(VALU_DEP_1)
	v_add3_u32 v0, v42, v0, 0x7fff
                                        ; implicit-def: $vgpr42
; %bb.18:                               ;   in Loop: Header=BB142_10 Depth=1
	s_and_not1_saveexec_b32 s1, s0
; %bb.19:                               ;   in Loop: Header=BB142_10 Depth=1
	v_and_b32_e32 v0, 0xffff, v42
	v_or_b32_e32 v1, 0x10000, v42
	s_delay_alu instid0(VALU_DEP_2) | instskip(NEXT) | instid1(VALU_DEP_1)
	v_cmp_eq_u32_e64 s0, 0, v0
	v_cndmask_b32_e64 v0, v1, v42, s0
; %bb.20:                               ;   in Loop: Header=BB142_10 Depth=1
	s_or_b32 exec_lo, exec_lo, s1
	v_and_b32_e32 v1, 0x7f800000, v41
	s_delay_alu instid0(VALU_DEP_1) | instskip(NEXT) | instid1(VALU_DEP_1)
	v_cmp_ne_u32_e64 s0, 0x7f800000, v1
                                        ; implicit-def: $vgpr1
	s_and_saveexec_b32 s1, s0
	s_delay_alu instid0(SALU_CYCLE_1)
	s_xor_b32 s0, exec_lo, s1
; %bb.21:                               ;   in Loop: Header=BB142_10 Depth=1
	v_bfe_u32 v1, v41, 16, 1
	s_delay_alu instid0(VALU_DEP_1)
	v_add3_u32 v1, v41, v1, 0x7fff
                                        ; implicit-def: $vgpr41
; %bb.22:                               ;   in Loop: Header=BB142_10 Depth=1
	s_and_not1_saveexec_b32 s1, s0
; %bb.23:                               ;   in Loop: Header=BB142_10 Depth=1
	v_and_b32_e32 v1, 0xffff, v41
	v_or_b32_e32 v2, 0x10000, v41
	s_delay_alu instid0(VALU_DEP_2) | instskip(NEXT) | instid1(VALU_DEP_1)
	v_cmp_eq_u32_e64 s0, 0, v1
	v_cndmask_b32_e64 v1, v2, v41, s0
; %bb.24:                               ;   in Loop: Header=BB142_10 Depth=1
	s_or_b32 exec_lo, exec_lo, s1
	v_and_b32_e32 v2, 0x7f800000, v40
	s_delay_alu instid0(VALU_DEP_1) | instskip(NEXT) | instid1(VALU_DEP_1)
	v_cmp_ne_u32_e64 s0, 0x7f800000, v2
                                        ; implicit-def: $vgpr2
	s_and_saveexec_b32 s1, s0
	s_delay_alu instid0(SALU_CYCLE_1)
	s_xor_b32 s0, exec_lo, s1
; %bb.25:                               ;   in Loop: Header=BB142_10 Depth=1
	v_bfe_u32 v2, v40, 16, 1
	s_delay_alu instid0(VALU_DEP_1)
	v_add3_u32 v2, v40, v2, 0x7fff
                                        ; implicit-def: $vgpr40
; %bb.26:                               ;   in Loop: Header=BB142_10 Depth=1
	s_and_not1_saveexec_b32 s1, s0
; %bb.27:                               ;   in Loop: Header=BB142_10 Depth=1
	v_and_b32_e32 v2, 0xffff, v40
	v_or_b32_e32 v3, 0x10000, v40
	s_delay_alu instid0(VALU_DEP_2) | instskip(NEXT) | instid1(VALU_DEP_1)
	v_cmp_eq_u32_e64 s0, 0, v2
	v_cndmask_b32_e64 v2, v3, v40, s0
; %bb.28:                               ;   in Loop: Header=BB142_10 Depth=1
	s_or_b32 exec_lo, exec_lo, s1
	v_and_b32_e32 v3, 0x7f800000, v38
	s_delay_alu instid0(VALU_DEP_1) | instskip(NEXT) | instid1(VALU_DEP_1)
	v_cmp_ne_u32_e64 s0, 0x7f800000, v3
                                        ; implicit-def: $vgpr3
	s_and_saveexec_b32 s1, s0
	s_delay_alu instid0(SALU_CYCLE_1)
	s_xor_b32 s0, exec_lo, s1
; %bb.29:                               ;   in Loop: Header=BB142_10 Depth=1
	v_bfe_u32 v3, v38, 16, 1
	s_delay_alu instid0(VALU_DEP_1)
	v_add3_u32 v3, v38, v3, 0x7fff
                                        ; implicit-def: $vgpr38
; %bb.30:                               ;   in Loop: Header=BB142_10 Depth=1
	s_and_not1_saveexec_b32 s1, s0
; %bb.31:                               ;   in Loop: Header=BB142_10 Depth=1
	v_and_b32_e32 v3, 0xffff, v38
	v_or_b32_e32 v4, 0x10000, v38
	s_delay_alu instid0(VALU_DEP_2) | instskip(NEXT) | instid1(VALU_DEP_1)
	v_cmp_eq_u32_e64 s0, 0, v3
	v_cndmask_b32_e64 v3, v4, v38, s0
; %bb.32:                               ;   in Loop: Header=BB142_10 Depth=1
	s_or_b32 exec_lo, exec_lo, s1
	v_and_b32_e32 v4, 0x7f800000, v37
	s_delay_alu instid0(VALU_DEP_1) | instskip(NEXT) | instid1(VALU_DEP_1)
	v_cmp_ne_u32_e64 s0, 0x7f800000, v4
                                        ; implicit-def: $vgpr4
	s_and_saveexec_b32 s1, s0
	s_delay_alu instid0(SALU_CYCLE_1)
	s_xor_b32 s0, exec_lo, s1
; %bb.33:                               ;   in Loop: Header=BB142_10 Depth=1
	v_bfe_u32 v4, v37, 16, 1
	s_delay_alu instid0(VALU_DEP_1)
	v_add3_u32 v4, v37, v4, 0x7fff
                                        ; implicit-def: $vgpr37
; %bb.34:                               ;   in Loop: Header=BB142_10 Depth=1
	s_and_not1_saveexec_b32 s1, s0
; %bb.35:                               ;   in Loop: Header=BB142_10 Depth=1
	v_and_b32_e32 v4, 0xffff, v37
	v_or_b32_e32 v5, 0x10000, v37
	s_delay_alu instid0(VALU_DEP_2) | instskip(NEXT) | instid1(VALU_DEP_1)
	v_cmp_eq_u32_e64 s0, 0, v4
	v_cndmask_b32_e64 v4, v5, v37, s0
; %bb.36:                               ;   in Loop: Header=BB142_10 Depth=1
	s_or_b32 exec_lo, exec_lo, s1
	v_and_b32_e32 v5, 0x7f800000, v36
	s_delay_alu instid0(VALU_DEP_1) | instskip(NEXT) | instid1(VALU_DEP_1)
	v_cmp_ne_u32_e64 s0, 0x7f800000, v5
                                        ; implicit-def: $vgpr5
	s_and_saveexec_b32 s1, s0
	s_delay_alu instid0(SALU_CYCLE_1)
	s_xor_b32 s0, exec_lo, s1
; %bb.37:                               ;   in Loop: Header=BB142_10 Depth=1
	v_bfe_u32 v5, v36, 16, 1
	s_delay_alu instid0(VALU_DEP_1)
	v_add3_u32 v5, v36, v5, 0x7fff
                                        ; implicit-def: $vgpr36
; %bb.38:                               ;   in Loop: Header=BB142_10 Depth=1
	s_and_not1_saveexec_b32 s1, s0
; %bb.39:                               ;   in Loop: Header=BB142_10 Depth=1
	v_and_b32_e32 v5, 0xffff, v36
	v_or_b32_e32 v6, 0x10000, v36
	s_delay_alu instid0(VALU_DEP_2) | instskip(NEXT) | instid1(VALU_DEP_1)
	v_cmp_eq_u32_e64 s0, 0, v5
	v_cndmask_b32_e64 v5, v6, v36, s0
; %bb.40:                               ;   in Loop: Header=BB142_10 Depth=1
	s_or_b32 exec_lo, exec_lo, s1
	v_and_b32_e32 v6, 0x7f800000, v13
	s_delay_alu instid0(VALU_DEP_1) | instskip(NEXT) | instid1(VALU_DEP_1)
	v_cmp_ne_u32_e64 s0, 0x7f800000, v6
                                        ; implicit-def: $vgpr6
	s_and_saveexec_b32 s1, s0
	s_delay_alu instid0(SALU_CYCLE_1)
	s_xor_b32 s0, exec_lo, s1
; %bb.41:                               ;   in Loop: Header=BB142_10 Depth=1
	v_bfe_u32 v6, v13, 16, 1
	s_delay_alu instid0(VALU_DEP_1)
	v_add3_u32 v6, v13, v6, 0x7fff
                                        ; implicit-def: $vgpr13
; %bb.42:                               ;   in Loop: Header=BB142_10 Depth=1
	s_and_not1_saveexec_b32 s1, s0
	s_cbranch_execz .LBB142_9
; %bb.43:                               ;   in Loop: Header=BB142_10 Depth=1
	v_and_b32_e32 v6, 0xffff, v13
	v_or_b32_e32 v7, 0x10000, v13
	s_delay_alu instid0(VALU_DEP_2) | instskip(NEXT) | instid1(VALU_DEP_1)
	v_cmp_eq_u32_e64 s0, 0, v6
	v_cndmask_b32_e64 v6, v7, v13, s0
	s_branch .LBB142_9
.LBB142_44:
	s_nop 0
	s_sendmsg sendmsg(MSG_DEALLOC_VGPRS)
	s_endpgm
	.section	.rodata,"a",@progbits
	.p2align	6, 0x0
	.amdhsa_kernel _ZN12tensorrt_llm7kernels32fusedQKNormRopeKernelNTokenHeadsIN3c108BFloat16ES3_Li256ELb1ELi8EEEvPviiifPKvS6_S6_PKlii
		.amdhsa_group_segment_fixed_size 0
		.amdhsa_private_segment_fixed_size 0
		.amdhsa_kernarg_size 320
		.amdhsa_user_sgpr_count 15
		.amdhsa_user_sgpr_dispatch_ptr 0
		.amdhsa_user_sgpr_queue_ptr 0
		.amdhsa_user_sgpr_kernarg_segment_ptr 1
		.amdhsa_user_sgpr_dispatch_id 0
		.amdhsa_user_sgpr_private_segment_size 0
		.amdhsa_wavefront_size32 1
		.amdhsa_uses_dynamic_stack 0
		.amdhsa_enable_private_segment 0
		.amdhsa_system_sgpr_workgroup_id_x 1
		.amdhsa_system_sgpr_workgroup_id_y 0
		.amdhsa_system_sgpr_workgroup_id_z 0
		.amdhsa_system_sgpr_workgroup_info 0
		.amdhsa_system_vgpr_workitem_id 0
		.amdhsa_next_free_vgpr 47
		.amdhsa_next_free_sgpr 21
		.amdhsa_reserve_vcc 1
		.amdhsa_float_round_mode_32 0
		.amdhsa_float_round_mode_16_64 0
		.amdhsa_float_denorm_mode_32 3
		.amdhsa_float_denorm_mode_16_64 3
		.amdhsa_dx10_clamp 1
		.amdhsa_ieee_mode 1
		.amdhsa_fp16_overflow 0
		.amdhsa_workgroup_processor_mode 1
		.amdhsa_memory_ordered 1
		.amdhsa_forward_progress 0
		.amdhsa_shared_vgpr_count 0
		.amdhsa_exception_fp_ieee_invalid_op 0
		.amdhsa_exception_fp_denorm_src 0
		.amdhsa_exception_fp_ieee_div_zero 0
		.amdhsa_exception_fp_ieee_overflow 0
		.amdhsa_exception_fp_ieee_underflow 0
		.amdhsa_exception_fp_ieee_inexact 0
		.amdhsa_exception_int_div_zero 0
	.end_amdhsa_kernel
	.section	.text._ZN12tensorrt_llm7kernels32fusedQKNormRopeKernelNTokenHeadsIN3c108BFloat16ES3_Li256ELb1ELi8EEEvPviiifPKvS6_S6_PKlii,"axG",@progbits,_ZN12tensorrt_llm7kernels32fusedQKNormRopeKernelNTokenHeadsIN3c108BFloat16ES3_Li256ELb1ELi8EEEvPviiifPKvS6_S6_PKlii,comdat
.Lfunc_end142:
	.size	_ZN12tensorrt_llm7kernels32fusedQKNormRopeKernelNTokenHeadsIN3c108BFloat16ES3_Li256ELb1ELi8EEEvPviiifPKvS6_S6_PKlii, .Lfunc_end142-_ZN12tensorrt_llm7kernels32fusedQKNormRopeKernelNTokenHeadsIN3c108BFloat16ES3_Li256ELb1ELi8EEEvPviiifPKvS6_S6_PKlii
                                        ; -- End function
	.section	.AMDGPU.csdata,"",@progbits
; Kernel info:
; codeLenInByte = 2896
; NumSgprs: 23
; NumVgprs: 47
; ScratchSize: 0
; MemoryBound: 0
; FloatMode: 240
; IeeeMode: 1
; LDSByteSize: 0 bytes/workgroup (compile time only)
; SGPRBlocks: 2
; VGPRBlocks: 5
; NumSGPRsForWavesPerEU: 23
; NumVGPRsForWavesPerEU: 47
; Occupancy: 16
; WaveLimiterHint : 0
; COMPUTE_PGM_RSRC2:SCRATCH_EN: 0
; COMPUTE_PGM_RSRC2:USER_SGPR: 15
; COMPUTE_PGM_RSRC2:TRAP_HANDLER: 0
; COMPUTE_PGM_RSRC2:TGID_X_EN: 1
; COMPUTE_PGM_RSRC2:TGID_Y_EN: 0
; COMPUTE_PGM_RSRC2:TGID_Z_EN: 0
; COMPUTE_PGM_RSRC2:TIDIG_COMP_CNT: 0
	.section	.text._ZN12tensorrt_llm7kernels32fusedQKNormRopeKernelNTokenHeadsIN3c108BFloat16ES3_Li256ELb0ELi8EEEvPviiifPKvS6_S6_PKlii,"axG",@progbits,_ZN12tensorrt_llm7kernels32fusedQKNormRopeKernelNTokenHeadsIN3c108BFloat16ES3_Li256ELb0ELi8EEEvPviiifPKvS6_S6_PKlii,comdat
	.protected	_ZN12tensorrt_llm7kernels32fusedQKNormRopeKernelNTokenHeadsIN3c108BFloat16ES3_Li256ELb0ELi8EEEvPviiifPKvS6_S6_PKlii ; -- Begin function _ZN12tensorrt_llm7kernels32fusedQKNormRopeKernelNTokenHeadsIN3c108BFloat16ES3_Li256ELb0ELi8EEEvPviiifPKvS6_S6_PKlii
	.globl	_ZN12tensorrt_llm7kernels32fusedQKNormRopeKernelNTokenHeadsIN3c108BFloat16ES3_Li256ELb0ELi8EEEvPviiifPKvS6_S6_PKlii
	.p2align	8
	.type	_ZN12tensorrt_llm7kernels32fusedQKNormRopeKernelNTokenHeadsIN3c108BFloat16ES3_Li256ELb0ELi8EEEvPviiifPKvS6_S6_PKlii,@function
_ZN12tensorrt_llm7kernels32fusedQKNormRopeKernelNTokenHeadsIN3c108BFloat16ES3_Li256ELb0ELi8EEEvPviiifPKvS6_S6_PKlii: ; @_ZN12tensorrt_llm7kernels32fusedQKNormRopeKernelNTokenHeadsIN3c108BFloat16ES3_Li256ELb0ELi8EEEvPviiifPKvS6_S6_PKlii
; %bb.0:
	s_clause 0x1
	s_load_b128 s[16:19], s[0:1], 0x8
	s_load_b64 s[2:3], s[0:1], 0x38
	v_lshrrev_b32_e32 v2, 5, v0
	s_waitcnt lgkmcnt(0)
	s_add_i32 s4, s17, s16
	s_delay_alu instid0(SALU_CYCLE_1) | instskip(NEXT) | instid1(SALU_CYCLE_1)
	s_add_i32 s5, s4, 7
	s_ashr_i32 s6, s5, 31
	s_delay_alu instid0(SALU_CYCLE_1) | instskip(NEXT) | instid1(SALU_CYCLE_1)
	s_lshr_b32 s6, s6, 29
	s_add_i32 s5, s5, s6
	s_delay_alu instid0(SALU_CYCLE_1) | instskip(SKIP_2) | instid1(SALU_CYCLE_1)
	s_ashr_i32 s14, s5, 3
	s_load_b32 s5, s[0:1], 0x4c
	s_abs_i32 s6, s14
	v_cvt_f32_u32_e32 v1, s6
	s_sub_i32 s7, 0, s6
	s_delay_alu instid0(VALU_DEP_1) | instskip(SKIP_4) | instid1(SALU_CYCLE_1)
	v_rcp_iflag_f32_e32 v1, v1
	s_waitcnt_depctr 0xfff
	v_mul_f32_e32 v1, 0x4f7ffffe, v1
	s_waitcnt lgkmcnt(0)
	s_bfe_u32 s5, s5, 0xb0005
	v_mad_u64_u32 v[3:4], null, s15, s5, v[2:3]
	s_delay_alu instid0(VALU_DEP_2) | instskip(NEXT) | instid1(VALU_DEP_1)
	v_cvt_u32_f32_e32 v1, v1
	v_mul_lo_u32 v5, s7, v1
	s_delay_alu instid0(VALU_DEP_1) | instskip(NEXT) | instid1(VALU_DEP_4)
	v_mul_hi_u32 v4, v1, v5
	v_sub_nc_u32_e32 v5, 0, v3
	s_delay_alu instid0(VALU_DEP_1) | instskip(NEXT) | instid1(VALU_DEP_3)
	v_max_i32_e32 v5, v3, v5
	v_add_nc_u32_e32 v1, v1, v4
	s_delay_alu instid0(VALU_DEP_1) | instskip(NEXT) | instid1(VALU_DEP_1)
	v_mul_hi_u32 v1, v5, v1
	v_mul_lo_u32 v4, v1, s6
	s_delay_alu instid0(VALU_DEP_1) | instskip(SKIP_1) | instid1(VALU_DEP_2)
	v_sub_nc_u32_e32 v4, v5, v4
	v_add_nc_u32_e32 v5, 1, v1
	v_subrev_nc_u32_e32 v6, s6, v4
	v_cmp_le_u32_e32 vcc_lo, s6, v4
	s_delay_alu instid0(VALU_DEP_2) | instskip(SKIP_1) | instid1(VALU_DEP_2)
	v_dual_cndmask_b32 v4, v4, v6 :: v_dual_cndmask_b32 v1, v1, v5
	v_xor_b32_e32 v5, s14, v3
	v_cmp_le_u32_e32 vcc_lo, s6, v4
	s_delay_alu instid0(VALU_DEP_3) | instskip(NEXT) | instid1(VALU_DEP_3)
	v_add_nc_u32_e32 v6, 1, v1
	v_ashrrev_i32_e32 v5, 31, v5
	s_delay_alu instid0(VALU_DEP_2) | instskip(NEXT) | instid1(VALU_DEP_1)
	v_cndmask_b32_e32 v1, v1, v6, vcc_lo
	v_xor_b32_e32 v1, v1, v5
	s_delay_alu instid0(VALU_DEP_1) | instskip(NEXT) | instid1(VALU_DEP_1)
	v_sub_nc_u32_e32 v1, v1, v5
	v_cmp_gt_i32_e32 vcc_lo, s2, v1
	s_and_saveexec_b32 s2, vcc_lo
	s_cbranch_execz .LBB143_44
; %bb.1:
	v_mul_lo_u32 v4, v1, s14
	s_load_b64 s[12:13], s[0:1], 0x0
	v_and_b32_e32 v6, 31, v0
	v_lshlrev_b32_e32 v16, 12, v2
	v_lshlrev_b32_e32 v7, 11, v3
	s_lshl_b32 s20, s3, 1
	s_delay_alu instid0(SALU_CYCLE_1) | instskip(NEXT) | instid1(VALU_DEP_4)
	s_mul_i32 s15, s20, s5
	v_sub_nc_u32_e32 v4, v3, v4
	s_delay_alu instid0(VALU_DEP_1) | instskip(NEXT) | instid1(VALU_DEP_1)
	v_lshlrev_b32_e32 v18, 3, v4
	v_add_nc_u32_e32 v4, 8, v18
	v_sub_nc_u32_e32 v5, s4, v18
	s_delay_alu instid0(VALU_DEP_2) | instskip(NEXT) | instid1(VALU_DEP_2)
	v_cmp_lt_i32_e32 vcc_lo, s4, v4
	v_cndmask_b32_e32 v19, 8, v5, vcc_lo
	v_lshlrev_b32_e32 v5, 4, v6
	s_delay_alu instid0(VALU_DEP_2)
	v_cmp_lt_i32_e32 vcc_lo, 0, v19
	s_and_saveexec_b32 s4, vcc_lo
	s_cbranch_execz .LBB143_4
; %bb.2:
	s_add_i32 s2, s18, s17
	s_lshl_b32 s5, s14, 3
	s_add_i32 s2, s2, s16
	s_mov_b32 s6, 0
	s_sub_i32 s2, s2, s5
	s_mov_b32 s5, 0
	v_mul_lo_u32 v3, s2, v1
	s_add_i32 s2, s15, 0
	s_delay_alu instid0(SALU_CYCLE_1) | instskip(NEXT) | instid1(VALU_DEP_2)
	v_add3_u32 v8, s2, v16, v5
	v_lshl_add_u32 v3, v3, 8, v7
	s_delay_alu instid0(VALU_DEP_1)
	v_lshl_or_b32 v3, v6, 3, v3
	.p2align	6
.LBB143_3:                              ; =>This Inner Loop Header: Depth=1
	s_delay_alu instid0(VALU_DEP_1) | instskip(SKIP_1) | instid1(VALU_DEP_1)
	v_ashrrev_i32_e32 v4, 31, v3
	s_add_i32 s6, s6, 1
	v_lshlrev_b64 v[9:10], 1, v[3:4]
	v_add_nc_u32_e32 v3, 0x100, v3
	s_waitcnt lgkmcnt(0)
	s_delay_alu instid0(VALU_DEP_2) | instskip(NEXT) | instid1(VALU_DEP_1)
	v_add_co_u32 v9, s2, s12, v9
	v_add_co_ci_u32_e64 v10, s2, s13, v10, s2
	v_cmp_ge_i32_e64 s2, s6, v19
	global_load_b128 v[9:12], v[9:10], off
	s_or_b32 s5, s2, s5
	s_waitcnt vmcnt(0)
	ds_store_b128 v8, v[9:12]
	v_add_nc_u32_e32 v8, 0x200, v8
	s_and_not1_b32 exec_lo, exec_lo, s5
	s_cbranch_execnz .LBB143_3
.LBB143_4:
	s_or_b32 exec_lo, exec_lo, s4
	s_load_b256 s[4:11], s[0:1], 0x18
	s_add_i32 s0, s20, 15
	v_mul_lo_u32 v4, v2, s3
	s_ashr_i32 s1, s0, 31
	s_mov_b32 s20, exec_lo
	s_lshr_b32 s1, s1, 28
	s_delay_alu instid0(SALU_CYCLE_1) | instskip(NEXT) | instid1(SALU_CYCLE_1)
	s_add_i32 s0, s0, s1
	s_ashr_i32 s2, s0, 4
	s_delay_alu instid0(SALU_CYCLE_1)
	v_cmpx_gt_i32_e64 s2, v6
	s_cbranch_execz .LBB143_7
; %bb.5:
	v_ashrrev_i32_e32 v2, 31, v1
	v_and_b32_e32 v0, 31, v0
	s_delay_alu instid0(VALU_DEP_2) | instskip(NEXT) | instid1(VALU_DEP_2)
	v_lshlrev_b64 v[2:3], 3, v[1:2]
	v_lshlrev_b32_e32 v0, 4, v0
	s_waitcnt lgkmcnt(0)
	s_delay_alu instid0(VALU_DEP_2) | instskip(NEXT) | instid1(VALU_DEP_1)
	v_add_co_u32 v2, s0, s10, v2
	v_add_co_ci_u32_e64 v3, s0, s11, v3, s0
	s_ashr_i32 s0, s3, 31
	global_load_b64 v[2:3], v[2:3], off
	s_waitcnt vmcnt(0)
	v_mul_lo_u32 v3, v3, s3
	v_mul_lo_u32 v10, v2, s0
	v_mad_u64_u32 v[8:9], null, v2, s3, 0
	s_delay_alu instid0(VALU_DEP_1) | instskip(NEXT) | instid1(VALU_DEP_1)
	v_add3_u32 v9, v9, v10, v3
	v_lshlrev_b64 v[2:3], 1, v[8:9]
	v_lshlrev_b32_e32 v8, 1, v4
	s_delay_alu instid0(VALU_DEP_2) | instskip(NEXT) | instid1(VALU_DEP_1)
	v_add_co_u32 v2, s0, v2, v0
	v_add_co_ci_u32_e64 v3, s0, 0, v3, s0
	s_delay_alu instid0(VALU_DEP_3) | instskip(NEXT) | instid1(VALU_DEP_3)
	v_add3_u32 v0, v8, v5, 0
	v_add_co_u32 v2, s0, s8, v2
	s_delay_alu instid0(VALU_DEP_1)
	v_add_co_ci_u32_e64 v3, s0, s9, v3, s0
	v_mov_b32_e32 v8, v6
	s_mov_b32 s8, 0
	.p2align	6
.LBB143_6:                              ; =>This Inner Loop Header: Depth=1
	global_load_b128 v[9:12], v[2:3], off
	v_add_nc_u32_e32 v8, 32, v8
	v_add_co_u32 v2, s0, 0x200, v2
	s_delay_alu instid0(VALU_DEP_1) | instskip(NEXT) | instid1(VALU_DEP_3)
	v_add_co_ci_u32_e64 v3, s0, 0, v3, s0
	v_cmp_le_i32_e64 s1, s2, v8
	s_delay_alu instid0(VALU_DEP_1)
	s_or_b32 s8, s1, s8
	s_waitcnt vmcnt(0)
	ds_store_b128 v0, v[9:12]
	v_add_nc_u32_e32 v0, 0x200, v0
	s_and_not1_b32 exec_lo, exec_lo, s8
	s_cbranch_execnz .LBB143_6
.LBB143_7:
	s_or_b32 exec_lo, exec_lo, s20
	s_delay_alu instid0(SALU_CYCLE_1)
	s_and_b32 exec_lo, exec_lo, vcc_lo
	s_cbranch_execz .LBB143_44
; %bb.8:
	s_waitcnt lgkmcnt(0)
	s_clause 0x1
	global_load_b128 v[8:11], v5, s[4:5]
	global_load_b128 v[12:15], v5, s[6:7]
	v_mbcnt_lo_u32_b32 v2, -1, 0
	s_lshr_b32 s0, s3, 31
	s_ashr_i32 s1, s3, 31
	v_lshl_add_u32 v0, v4, 1, 0
	s_abs_i32 s2, s3
	s_add_i32 s0, s3, s0
	s_lshr_b32 s6, s1, 29
	s_lshr_b32 s1, s1, 28
	v_add_nc_u32_e32 v50, s15, v16
	v_cvt_f32_u32_e32 v16, s2
	v_xor_b32_e32 v20, 16, v2
	s_and_b32 s0, s0, -2
	s_add_i32 s6, s3, s6
	s_add_i32 s1, s3, s1
	v_add_nc_u32_e32 v41, s0, v0
	s_ashr_i32 s0, s6, 3
	s_ashr_i32 s1, s1, 4
	v_rcp_iflag_f32_e32 v16, v16
	v_xor_b32_e32 v21, 8, v2
	v_cmp_gt_i32_e32 vcc_lo, s0, v6
	v_xor_b32_e32 v25, s1, v2
	v_cmp_gt_i32_e64 s0, s1, v6
	v_cmp_gt_i32_e64 s1, 32, v20
	v_xor_b32_e32 v22, 4, v2
	s_sub_i32 s7, 0, s2
	v_xor_b32_e32 v23, 2, v2
	s_add_i32 s4, s18, s17
	v_cndmask_b32_e64 v20, v2, v20, s1
	v_cmp_gt_i32_e64 s1, 32, v21
	s_lshl_b32 s5, s14, 3
	s_add_i32 s4, s4, s16
	v_xor_b32_e32 v24, 1, v2
	s_sub_i32 s3, s4, s5
	v_cndmask_b32_e64 v21, v2, v21, s1
	v_mul_f32_e32 v16, 0x4f7ffffe, v16
	v_cmp_gt_i32_e64 s1, 32, v22
	v_mul_lo_u32 v1, s3, v1
	v_or_b32_e32 v3, 2, v5
	v_lshlrev_b32_e32 v21, 2, v21
	v_cvt_u32_f32_e32 v16, v16
	v_cndmask_b32_e64 v22, v2, v22, s1
	v_cmp_gt_i32_e64 s1, 32, v23
	v_or_b32_e32 v4, 4, v5
	v_or_b32_e32 v17, 6, v5
	v_mul_lo_u32 v30, s7, v16
	v_lshl_add_u32 v1, v1, 8, v7
	v_cndmask_b32_e64 v23, v2, v23, s1
	v_cmp_gt_i32_e64 s1, 32, v24
	v_or_b32_e32 v27, 10, v5
	v_or_b32_e32 v26, 8, v5
	;; [unrolled: 1-line block ×4, first 2 shown]
	v_mul_hi_u32 v30, v16, v30
	v_cndmask_b32_e64 v24, v2, v24, s1
	v_cmp_gt_i32_e64 s1, 32, v25
	v_lshlrev_b32_e32 v20, 2, v20
	v_lshlrev_b32_e32 v22, 2, v22
	;; [unrolled: 1-line block ×4, first 2 shown]
	v_cndmask_b32_e64 v2, v2, v25, s1
	v_add_nc_u32_e32 v7, v16, v30
	v_lshl_or_b32 v16, v6, 3, v1
	v_add3_u32 v50, v50, v5, 0
	s_mov_b32 s3, 0
	v_lshlrev_b32_e32 v25, 2, v2
	v_mul_hi_u32 v1, v5, v7
	v_mul_hi_u32 v2, v3, v7
	;; [unrolled: 1-line block ×8, first 2 shown]
	v_mul_lo_u32 v1, v1, s2
	v_mul_lo_u32 v2, v2, s2
	;; [unrolled: 1-line block ×8, first 2 shown]
	v_sub_nc_u32_e32 v1, v5, v1
	v_sub_nc_u32_e32 v2, v3, v2
	;; [unrolled: 1-line block ×5, first 2 shown]
	v_subrev_nc_u32_e32 v27, s2, v1
	v_cmp_le_u32_e64 s1, s2, v1
	v_sub_nc_u32_e32 v6, v26, v31
	v_sub_nc_u32_e32 v26, v28, v33
	v_subrev_nc_u32_e32 v28, s2, v2
	v_sub_nc_u32_e32 v7, v29, v7
	v_cndmask_b32_e64 v1, v1, v27, s1
	v_cmp_le_u32_e64 s1, s2, v2
	v_subrev_nc_u32_e32 v29, s2, v3
	v_subrev_nc_u32_e32 v30, s2, v4
	;; [unrolled: 1-line block ×4, first 2 shown]
	v_cndmask_b32_e64 v2, v2, v28, s1
	v_cmp_le_u32_e64 s1, s2, v3
	v_subrev_nc_u32_e32 v33, s2, v26
	v_subrev_nc_u32_e32 v34, s2, v7
	v_subrev_nc_u32_e32 v27, s2, v1
	v_subrev_nc_u32_e32 v28, s2, v2
	v_cndmask_b32_e64 v3, v3, v29, s1
	v_cmp_le_u32_e64 s1, s2, v4
	s_mov_b32 s4, 0
	s_delay_alu instid0(VALU_DEP_2) | instskip(NEXT) | instid1(VALU_DEP_2)
	v_subrev_nc_u32_e32 v29, s2, v3
	v_cndmask_b32_e64 v4, v4, v30, s1
	v_cmp_le_u32_e64 s1, s2, v6
	s_delay_alu instid0(VALU_DEP_2) | instskip(NEXT) | instid1(VALU_DEP_2)
	v_subrev_nc_u32_e32 v30, s2, v4
	v_cndmask_b32_e64 v6, v6, v31, s1
	v_cmp_le_u32_e64 s1, s2, v17
	s_delay_alu instid0(VALU_DEP_2) | instskip(NEXT) | instid1(VALU_DEP_2)
	v_subrev_nc_u32_e32 v31, s2, v6
	v_cndmask_b32_e64 v17, v17, v32, s1
	v_cmp_le_u32_e64 s1, s2, v26
	s_delay_alu instid0(VALU_DEP_2) | instskip(NEXT) | instid1(VALU_DEP_2)
	v_subrev_nc_u32_e32 v32, s2, v17
	v_cndmask_b32_e64 v26, v26, v33, s1
	v_cmp_le_u32_e64 s1, s2, v7
	s_delay_alu instid0(VALU_DEP_2) | instskip(NEXT) | instid1(VALU_DEP_2)
	v_subrev_nc_u32_e32 v33, s2, v26
	v_cndmask_b32_e64 v7, v7, v34, s1
	v_cmp_le_u32_e64 s1, s2, v1
	s_delay_alu instid0(VALU_DEP_2) | instskip(NEXT) | instid1(VALU_DEP_2)
	v_subrev_nc_u32_e32 v34, s2, v7
	v_cndmask_b32_e64 v1, v1, v27, s1
	v_cmp_le_u32_e64 s1, s2, v2
	s_delay_alu instid0(VALU_DEP_2) | instskip(NEXT) | instid1(VALU_DEP_2)
	v_and_b32_e32 v1, -2, v1
	v_cndmask_b32_e64 v2, v2, v28, s1
	v_cmp_le_u32_e64 s1, s2, v3
	s_delay_alu instid0(VALU_DEP_3) | instskip(NEXT) | instid1(VALU_DEP_3)
	v_add_nc_u32_e32 v27, v41, v1
	v_and_b32_e32 v2, -2, v2
	s_delay_alu instid0(VALU_DEP_3) | instskip(SKIP_1) | instid1(VALU_DEP_3)
	v_cndmask_b32_e64 v3, v3, v29, s1
	v_cmp_le_u32_e64 s1, s2, v4
	v_add_nc_u32_e32 v28, v0, v2
	s_delay_alu instid0(VALU_DEP_3) | instskip(NEXT) | instid1(VALU_DEP_3)
	v_and_b32_e32 v3, -2, v3
	v_cndmask_b32_e64 v4, v4, v30, s1
	v_cmp_le_u32_e64 s1, s2, v6
	v_add_nc_u32_e32 v29, v41, v2
	s_delay_alu instid0(VALU_DEP_4) | instskip(NEXT) | instid1(VALU_DEP_4)
	v_add_nc_u32_e32 v30, v0, v3
	v_and_b32_e32 v4, -2, v4
	s_delay_alu instid0(VALU_DEP_4) | instskip(SKIP_2) | instid1(VALU_DEP_3)
	v_cndmask_b32_e64 v6, v6, v31, s1
	v_cmp_le_u32_e64 s1, s2, v17
	v_add_nc_u32_e32 v31, v41, v3
	v_and_b32_e32 v6, -2, v6
	s_delay_alu instid0(VALU_DEP_3) | instskip(SKIP_2) | instid1(VALU_DEP_4)
	v_cndmask_b32_e64 v17, v17, v32, s1
	v_cmp_le_u32_e64 s1, s2, v26
	v_add_nc_u32_e32 v32, v0, v4
	v_add_nc_u32_e32 v35, v41, v6
	s_delay_alu instid0(VALU_DEP_4) | instskip(NEXT) | instid1(VALU_DEP_4)
	v_and_b32_e32 v17, -2, v17
	v_cndmask_b32_e64 v26, v26, v33, s1
	v_cmp_le_u32_e64 s1, s2, v7
	v_add_nc_u32_e32 v33, v41, v4
	s_delay_alu instid0(VALU_DEP_4) | instskip(NEXT) | instid1(VALU_DEP_4)
	v_add_nc_u32_e32 v36, v0, v17
	v_and_b32_e32 v39, -2, v26
	s_delay_alu instid0(VALU_DEP_4)
	v_cndmask_b32_e64 v7, v7, v34, s1
	v_add_nc_u32_e32 v26, v0, v1
	v_add_nc_u32_e32 v34, v0, v6
	;; [unrolled: 1-line block ×4, first 2 shown]
	v_and_b32_e32 v7, -2, v7
	v_add_nc_u32_e32 v39, v41, v39
	s_delay_alu instid0(VALU_DEP_2)
	v_add_nc_u32_e32 v40, v0, v7
	v_add_nc_u32_e32 v41, v41, v7
	s_waitcnt vmcnt(1)
	v_lshrrev_b32_e32 v42, 16, v8
	v_lshrrev_b32_e32 v43, 16, v9
	;; [unrolled: 1-line block ×4, first 2 shown]
	s_waitcnt vmcnt(0)
	v_lshrrev_b32_e32 v46, 16, v12
	v_lshrrev_b32_e32 v47, 16, v13
	;; [unrolled: 1-line block ×4, first 2 shown]
	s_branch .LBB143_10
.LBB143_9:                              ;   in Loop: Header=BB143_10 Depth=1
	s_or_b32 exec_lo, exec_lo, s2
	v_ashrrev_i32_e32 v17, 31, v16
	s_add_i32 s4, s4, 1
	v_perm_b32 v3, v58, v57, 0x7060302
	v_cmp_ge_i32_e64 s1, s4, v19
	v_perm_b32 v2, v56, v55, 0x7060302
	v_lshlrev_b64 v[4:5], 1, v[16:17]
	v_perm_b32 v1, v54, v53, 0x7060302
	v_perm_b32 v0, v52, v51, 0x7060302
	v_add_nc_u32_e32 v16, 0x100, v16
	v_add_nc_u32_e32 v50, 0x200, v50
	s_or_b32 s3, s1, s3
	v_add_co_u32 v4, s2, s12, v4
	s_delay_alu instid0(VALU_DEP_1)
	v_add_co_ci_u32_e64 v5, s2, s13, v5, s2
	global_store_b128 v[4:5], v[0:3], off
	s_and_not1_b32 exec_lo, exec_lo, s3
	s_cbranch_execz .LBB143_44
.LBB143_10:                             ; =>This Inner Loop Header: Depth=1
	ds_load_b128 v[0:3], v50
	s_waitcnt lgkmcnt(0)
	v_lshlrev_b32_e32 v6, 16, v1
	v_and_b32_e32 v4, 0xffff0000, v0
	v_and_b32_e32 v7, 0xffff0000, v1
	v_lshlrev_b32_e32 v0, 16, v0
	v_and_b32_e32 v53, 0xffff0000, v3
	s_delay_alu instid0(VALU_DEP_4) | instskip(SKIP_2) | instid1(VALU_DEP_3)
	v_dual_mul_f32 v5, v4, v4 :: v_dual_lshlrev_b32 v52, 16, v3
	v_add_nc_u32_e32 v3, s4, v18
	v_lshlrev_b32_e32 v17, 16, v2
	v_fmac_f32_e32 v5, v0, v0
	s_delay_alu instid0(VALU_DEP_3) | instskip(NEXT) | instid1(VALU_DEP_2)
	v_cmp_gt_i32_e64 s2, s16, v3
	v_fmac_f32_e32 v5, v6, v6
	s_delay_alu instid0(VALU_DEP_2) | instskip(SKIP_3) | instid1(VALU_DEP_4)
	v_cndmask_b32_e64 v56, v48, v44, s2
	v_cndmask_b32_e64 v54, v47, v43, s2
	;; [unrolled: 1-line block ×4, first 2 shown]
	v_dual_fmac_f32 v5, v7, v7 :: v_dual_lshlrev_b32 v56, 16, v56
	v_and_b32_e32 v51, 0xffff0000, v2
	v_cndmask_b32_e64 v55, v14, v10, s2
	v_cndmask_b32_e64 v57, v15, v11, s2
	s_delay_alu instid0(VALU_DEP_4) | instskip(NEXT) | instid1(VALU_DEP_2)
	v_dual_fmac_f32 v5, v17, v17 :: v_dual_lshlrev_b32 v54, 16, v54
	v_lshlrev_b32_e32 v57, 16, v57
	s_delay_alu instid0(VALU_DEP_2) | instskip(NEXT) | instid1(VALU_DEP_1)
	v_fmac_f32_e32 v5, v51, v51
	v_fmac_f32_e32 v5, v52, v52
	s_delay_alu instid0(VALU_DEP_1)
	v_fmac_f32_e32 v5, v53, v53
	ds_bpermute_b32 v1, v20, v5
	s_waitcnt lgkmcnt(0)
	v_add_f32_e32 v1, v5, v1
	v_cndmask_b32_e64 v5, v13, v9, s2
	ds_bpermute_b32 v2, v21, v1
	v_lshlrev_b32_e32 v5, 16, v5
	s_waitcnt lgkmcnt(0)
	v_add_f32_e32 v1, v1, v2
	ds_bpermute_b32 v2, v22, v1
	s_waitcnt lgkmcnt(0)
	v_add_f32_e32 v1, v1, v2
	ds_bpermute_b32 v2, v23, v1
	;; [unrolled: 3-line block ×3, first 2 shown]
	s_waitcnt lgkmcnt(0)
	v_add_f32_e32 v1, v1, v2
	s_delay_alu instid0(VALU_DEP_1) | instskip(NEXT) | instid1(VALU_DEP_1)
	v_fma_f32 v1, 0x3b800000, v1, s19
	v_mul_f32_e32 v2, 0x4b800000, v1
	v_cmp_gt_f32_e64 s1, 0x800000, v1
	s_delay_alu instid0(VALU_DEP_1) | instskip(SKIP_1) | instid1(VALU_DEP_2)
	v_cndmask_b32_e64 v1, v1, v2, s1
	v_cndmask_b32_e64 v2, v12, v8, s2
	v_rsq_f32_e32 v1, v1
	s_delay_alu instid0(VALU_DEP_1) | instskip(SKIP_2) | instid1(VALU_DEP_1)
	v_lshlrev_b32_e32 v2, 16, v2
	s_waitcnt_depctr 0xfff
	v_mul_f32_e32 v58, 0x45800000, v1
	v_cndmask_b32_e64 v1, v1, v58, s1
	v_lshlrev_b32_e32 v58, 16, v59
	s_delay_alu instid0(VALU_DEP_2) | instskip(NEXT) | instid1(VALU_DEP_2)
	v_dual_mul_f32 v2, v1, v2 :: v_dual_lshlrev_b32 v3, 16, v3
	v_mul_f32_e32 v58, v1, v58
	v_mul_f32_e32 v5, v1, v5
	v_lshlrev_b32_e32 v55, 16, v55
	s_delay_alu instid0(VALU_DEP_4)
	v_mul_f32_e32 v3, v1, v3
	v_mul_f32_e32 v54, v1, v54
	;; [unrolled: 1-line block ×3, first 2 shown]
	v_dual_mul_f32 v57, v1, v57 :: v_dual_mul_f32 v0, v2, v0
	v_mul_f32_e32 v2, v5, v6
	v_mul_f32_e32 v55, v1, v55
	;; [unrolled: 1-line block ×4, first 2 shown]
	v_dual_mul_f32 v5, v56, v51 :: v_dual_mul_f32 v6, v57, v52
	s_delay_alu instid0(VALU_DEP_4)
	v_mul_f32_e32 v4, v55, v17
	v_mul_f32_e32 v7, v58, v53
	s_and_saveexec_b32 s1, vcc_lo
	s_cbranch_execz .LBB143_12
; %bb.11:                               ;   in Loop: Header=BB143_10 Depth=1
	; wave barrier
	ds_load_u16 v51, v26
	ds_load_u16 v52, v27
	ds_bpermute_b32 v53, v25, v1
	ds_load_u16 v54, v28
	ds_load_u16 v55, v29
	ds_bpermute_b32 v17, v25, v0
	ds_bpermute_b32 v56, v25, v2
	ds_load_u16 v57, v31
	ds_load_u16 v58, v30
	;; [unrolled: 1-line block ×4, first 2 shown]
	ds_bpermute_b32 v62, v25, v4
	ds_bpermute_b32 v65, v25, v6
	;; [unrolled: 1-line block ×4, first 2 shown]
	s_waitcnt lgkmcnt(14)
	v_lshlrev_b32_e32 v63, 16, v51
	s_waitcnt lgkmcnt(13)
	v_lshlrev_b32_e32 v51, 16, v52
	s_waitcnt lgkmcnt(12)
	v_cndmask_b32_e64 v52, v53, -v53, s0
	s_waitcnt lgkmcnt(11)
	v_lshlrev_b32_e32 v53, 16, v54
	s_waitcnt lgkmcnt(10)
	v_lshlrev_b32_e32 v54, 16, v55
	s_waitcnt lgkmcnt(9)
	v_cndmask_b32_e64 v17, v17, -v17, s0
	s_waitcnt lgkmcnt(8)
	v_cndmask_b32_e64 v55, v56, -v56, s0
	ds_load_u16 v56, v34
	ds_load_u16 v64, v35
	;; [unrolled: 1-line block ×8, first 2 shown]
	v_mul_f32_e32 v52, v52, v54
	; wave barrier
	s_delay_alu instid0(VALU_DEP_1)
	v_fmac_f32_e32 v52, v1, v53
	v_mul_f32_e32 v51, v17, v51
	s_waitcnt lgkmcnt(15)
	v_lshlrev_b32_e32 v17, 16, v57
	ds_bpermute_b32 v57, v25, v5
	s_waitcnt lgkmcnt(10)
	v_cndmask_b32_e64 v1, v59, -v59, s0
	s_waitcnt lgkmcnt(9)
	v_cndmask_b32_e64 v59, v66, -v66, s0
	v_dual_fmac_f32 v51, v0, v63 :: v_dual_lshlrev_b32 v0, 16, v58
	v_mul_f32_e32 v53, v55, v17
	v_cndmask_b32_e64 v55, v62, -v62, s0
	s_waitcnt lgkmcnt(7)
	v_lshlrev_b32_e32 v58, 16, v64
	s_delay_alu instid0(VALU_DEP_3) | instskip(NEXT) | instid1(VALU_DEP_2)
	v_fmac_f32_e32 v53, v2, v0
	v_dual_mul_f32 v55, v55, v58 :: v_dual_lshlrev_b32 v0, 16, v60
	s_waitcnt lgkmcnt(3)
	v_lshlrev_b32_e32 v58, 16, v70
	s_waitcnt lgkmcnt(0)
	v_cndmask_b32_e64 v2, v57, -v57, s0
	v_cndmask_b32_e64 v57, v65, -v65, s0
	s_delay_alu instid0(VALU_DEP_1) | instskip(NEXT) | instid1(VALU_DEP_1)
	v_dual_mul_f32 v57, v57, v58 :: v_dual_lshlrev_b32 v60, 16, v72
	v_dual_mul_f32 v58, v59, v60 :: v_dual_lshlrev_b32 v17, 16, v61
	s_delay_alu instid0(VALU_DEP_1) | instskip(NEXT) | instid1(VALU_DEP_1)
	v_dual_mul_f32 v54, v1, v17 :: v_dual_lshlrev_b32 v17, 16, v67
	v_fmac_f32_e32 v54, v3, v0
	v_lshlrev_b32_e32 v1, 16, v56
	v_lshlrev_b32_e32 v56, 16, v68
	s_delay_alu instid0(VALU_DEP_1) | instskip(NEXT) | instid1(VALU_DEP_1)
	v_mul_f32_e32 v56, v2, v56
	v_fmac_f32_e32 v56, v5, v17
	s_delay_alu instid0(VALU_DEP_4) | instskip(SKIP_1) | instid1(VALU_DEP_1)
	v_fmac_f32_e32 v55, v4, v1
	v_lshlrev_b32_e32 v61, 16, v71
	v_fmac_f32_e32 v58, v7, v61
	v_lshlrev_b32_e32 v2, 16, v69
	s_delay_alu instid0(VALU_DEP_1) | instskip(SKIP_3) | instid1(VALU_DEP_4)
	v_fmac_f32_e32 v57, v6, v2
	v_dual_mov_b32 v0, v51 :: v_dual_mov_b32 v1, v52
	v_dual_mov_b32 v2, v53 :: v_dual_mov_b32 v3, v54
	;; [unrolled: 1-line block ×4, first 2 shown]
.LBB143_12:                             ;   in Loop: Header=BB143_10 Depth=1
	s_or_b32 exec_lo, exec_lo, s1
	v_and_b32_e32 v17, 0x7f800000, v0
                                        ; implicit-def: $vgpr51
	s_delay_alu instid0(VALU_DEP_1) | instskip(NEXT) | instid1(VALU_DEP_1)
	v_cmp_ne_u32_e64 s1, 0x7f800000, v17
	s_and_saveexec_b32 s2, s1
	s_delay_alu instid0(SALU_CYCLE_1)
	s_xor_b32 s1, exec_lo, s2
; %bb.13:                               ;   in Loop: Header=BB143_10 Depth=1
	v_bfe_u32 v17, v0, 16, 1
	s_delay_alu instid0(VALU_DEP_1)
	v_add3_u32 v51, v0, v17, 0x7fff
; %bb.14:                               ;   in Loop: Header=BB143_10 Depth=1
	s_and_not1_saveexec_b32 s2, s1
; %bb.15:                               ;   in Loop: Header=BB143_10 Depth=1
	v_and_b32_e32 v17, 0xffff, v0
	v_or_b32_e32 v51, 0x10000, v0
	s_delay_alu instid0(VALU_DEP_2) | instskip(NEXT) | instid1(VALU_DEP_1)
	v_cmp_eq_u32_e64 s1, 0, v17
	v_cndmask_b32_e64 v51, v51, v0, s1
; %bb.16:                               ;   in Loop: Header=BB143_10 Depth=1
	s_or_b32 exec_lo, exec_lo, s2
	v_and_b32_e32 v0, 0x7f800000, v1
                                        ; implicit-def: $vgpr52
	s_delay_alu instid0(VALU_DEP_1) | instskip(NEXT) | instid1(VALU_DEP_1)
	v_cmp_ne_u32_e64 s1, 0x7f800000, v0
	s_and_saveexec_b32 s2, s1
	s_delay_alu instid0(SALU_CYCLE_1)
	s_xor_b32 s1, exec_lo, s2
; %bb.17:                               ;   in Loop: Header=BB143_10 Depth=1
	v_bfe_u32 v0, v1, 16, 1
	s_delay_alu instid0(VALU_DEP_1)
	v_add3_u32 v52, v1, v0, 0x7fff
; %bb.18:                               ;   in Loop: Header=BB143_10 Depth=1
	s_and_not1_saveexec_b32 s2, s1
; %bb.19:                               ;   in Loop: Header=BB143_10 Depth=1
	v_and_b32_e32 v0, 0xffff, v1
	v_or_b32_e32 v17, 0x10000, v1
	s_delay_alu instid0(VALU_DEP_2) | instskip(NEXT) | instid1(VALU_DEP_1)
	v_cmp_eq_u32_e64 s1, 0, v0
	v_cndmask_b32_e64 v52, v17, v1, s1
; %bb.20:                               ;   in Loop: Header=BB143_10 Depth=1
	s_or_b32 exec_lo, exec_lo, s2
	v_and_b32_e32 v0, 0x7f800000, v2
                                        ; implicit-def: $vgpr53
	s_delay_alu instid0(VALU_DEP_1) | instskip(NEXT) | instid1(VALU_DEP_1)
	v_cmp_ne_u32_e64 s1, 0x7f800000, v0
	s_and_saveexec_b32 s2, s1
	s_delay_alu instid0(SALU_CYCLE_1)
	s_xor_b32 s1, exec_lo, s2
; %bb.21:                               ;   in Loop: Header=BB143_10 Depth=1
	v_bfe_u32 v0, v2, 16, 1
	s_delay_alu instid0(VALU_DEP_1)
	v_add3_u32 v53, v2, v0, 0x7fff
; %bb.22:                               ;   in Loop: Header=BB143_10 Depth=1
	s_and_not1_saveexec_b32 s2, s1
; %bb.23:                               ;   in Loop: Header=BB143_10 Depth=1
	v_and_b32_e32 v0, 0xffff, v2
	v_or_b32_e32 v1, 0x10000, v2
	s_delay_alu instid0(VALU_DEP_2) | instskip(NEXT) | instid1(VALU_DEP_1)
	v_cmp_eq_u32_e64 s1, 0, v0
	v_cndmask_b32_e64 v53, v1, v2, s1
; %bb.24:                               ;   in Loop: Header=BB143_10 Depth=1
	s_or_b32 exec_lo, exec_lo, s2
	v_and_b32_e32 v0, 0x7f800000, v3
                                        ; implicit-def: $vgpr54
	s_delay_alu instid0(VALU_DEP_1) | instskip(NEXT) | instid1(VALU_DEP_1)
	v_cmp_ne_u32_e64 s1, 0x7f800000, v0
	s_and_saveexec_b32 s2, s1
	s_delay_alu instid0(SALU_CYCLE_1)
	s_xor_b32 s1, exec_lo, s2
; %bb.25:                               ;   in Loop: Header=BB143_10 Depth=1
	v_bfe_u32 v0, v3, 16, 1
	s_delay_alu instid0(VALU_DEP_1)
	v_add3_u32 v54, v3, v0, 0x7fff
; %bb.26:                               ;   in Loop: Header=BB143_10 Depth=1
	s_and_not1_saveexec_b32 s2, s1
; %bb.27:                               ;   in Loop: Header=BB143_10 Depth=1
	v_and_b32_e32 v0, 0xffff, v3
	v_or_b32_e32 v1, 0x10000, v3
	s_delay_alu instid0(VALU_DEP_2) | instskip(NEXT) | instid1(VALU_DEP_1)
	v_cmp_eq_u32_e64 s1, 0, v0
	v_cndmask_b32_e64 v54, v1, v3, s1
; %bb.28:                               ;   in Loop: Header=BB143_10 Depth=1
	s_or_b32 exec_lo, exec_lo, s2
	v_and_b32_e32 v0, 0x7f800000, v4
                                        ; implicit-def: $vgpr55
	s_delay_alu instid0(VALU_DEP_1) | instskip(NEXT) | instid1(VALU_DEP_1)
	v_cmp_ne_u32_e64 s1, 0x7f800000, v0
	s_and_saveexec_b32 s2, s1
	s_delay_alu instid0(SALU_CYCLE_1)
	s_xor_b32 s1, exec_lo, s2
; %bb.29:                               ;   in Loop: Header=BB143_10 Depth=1
	v_bfe_u32 v0, v4, 16, 1
	s_delay_alu instid0(VALU_DEP_1)
	v_add3_u32 v55, v4, v0, 0x7fff
; %bb.30:                               ;   in Loop: Header=BB143_10 Depth=1
	s_and_not1_saveexec_b32 s2, s1
; %bb.31:                               ;   in Loop: Header=BB143_10 Depth=1
	v_and_b32_e32 v0, 0xffff, v4
	v_or_b32_e32 v1, 0x10000, v4
	s_delay_alu instid0(VALU_DEP_2) | instskip(NEXT) | instid1(VALU_DEP_1)
	v_cmp_eq_u32_e64 s1, 0, v0
	v_cndmask_b32_e64 v55, v1, v4, s1
; %bb.32:                               ;   in Loop: Header=BB143_10 Depth=1
	s_or_b32 exec_lo, exec_lo, s2
	v_and_b32_e32 v0, 0x7f800000, v5
                                        ; implicit-def: $vgpr56
	s_delay_alu instid0(VALU_DEP_1) | instskip(NEXT) | instid1(VALU_DEP_1)
	v_cmp_ne_u32_e64 s1, 0x7f800000, v0
	s_and_saveexec_b32 s2, s1
	s_delay_alu instid0(SALU_CYCLE_1)
	s_xor_b32 s1, exec_lo, s2
; %bb.33:                               ;   in Loop: Header=BB143_10 Depth=1
	v_bfe_u32 v0, v5, 16, 1
	s_delay_alu instid0(VALU_DEP_1)
	v_add3_u32 v56, v5, v0, 0x7fff
; %bb.34:                               ;   in Loop: Header=BB143_10 Depth=1
	s_and_not1_saveexec_b32 s2, s1
; %bb.35:                               ;   in Loop: Header=BB143_10 Depth=1
	v_and_b32_e32 v0, 0xffff, v5
	v_or_b32_e32 v1, 0x10000, v5
	s_delay_alu instid0(VALU_DEP_2) | instskip(NEXT) | instid1(VALU_DEP_1)
	v_cmp_eq_u32_e64 s1, 0, v0
	v_cndmask_b32_e64 v56, v1, v5, s1
; %bb.36:                               ;   in Loop: Header=BB143_10 Depth=1
	s_or_b32 exec_lo, exec_lo, s2
	v_and_b32_e32 v0, 0x7f800000, v6
                                        ; implicit-def: $vgpr57
	s_delay_alu instid0(VALU_DEP_1) | instskip(NEXT) | instid1(VALU_DEP_1)
	v_cmp_ne_u32_e64 s1, 0x7f800000, v0
	s_and_saveexec_b32 s2, s1
	s_delay_alu instid0(SALU_CYCLE_1)
	s_xor_b32 s1, exec_lo, s2
; %bb.37:                               ;   in Loop: Header=BB143_10 Depth=1
	v_bfe_u32 v0, v6, 16, 1
	s_delay_alu instid0(VALU_DEP_1)
	v_add3_u32 v57, v6, v0, 0x7fff
; %bb.38:                               ;   in Loop: Header=BB143_10 Depth=1
	s_and_not1_saveexec_b32 s2, s1
; %bb.39:                               ;   in Loop: Header=BB143_10 Depth=1
	v_and_b32_e32 v0, 0xffff, v6
	v_or_b32_e32 v1, 0x10000, v6
	s_delay_alu instid0(VALU_DEP_2) | instskip(NEXT) | instid1(VALU_DEP_1)
	v_cmp_eq_u32_e64 s1, 0, v0
	v_cndmask_b32_e64 v57, v1, v6, s1
; %bb.40:                               ;   in Loop: Header=BB143_10 Depth=1
	s_or_b32 exec_lo, exec_lo, s2
	v_and_b32_e32 v0, 0x7f800000, v7
                                        ; implicit-def: $vgpr58
	s_delay_alu instid0(VALU_DEP_1) | instskip(NEXT) | instid1(VALU_DEP_1)
	v_cmp_ne_u32_e64 s1, 0x7f800000, v0
	s_and_saveexec_b32 s2, s1
	s_delay_alu instid0(SALU_CYCLE_1)
	s_xor_b32 s1, exec_lo, s2
; %bb.41:                               ;   in Loop: Header=BB143_10 Depth=1
	v_bfe_u32 v0, v7, 16, 1
	s_delay_alu instid0(VALU_DEP_1)
	v_add3_u32 v58, v7, v0, 0x7fff
                                        ; implicit-def: $vgpr0_vgpr1_vgpr2_vgpr3_vgpr4_vgpr5_vgpr6_vgpr7
; %bb.42:                               ;   in Loop: Header=BB143_10 Depth=1
	s_and_not1_saveexec_b32 s2, s1
	s_cbranch_execz .LBB143_9
; %bb.43:                               ;   in Loop: Header=BB143_10 Depth=1
	v_and_b32_e32 v0, 0xffff, v7
	v_or_b32_e32 v1, 0x10000, v7
	s_delay_alu instid0(VALU_DEP_2) | instskip(NEXT) | instid1(VALU_DEP_1)
	v_cmp_eq_u32_e64 s1, 0, v0
	v_cndmask_b32_e64 v58, v1, v7, s1
	s_branch .LBB143_9
.LBB143_44:
	s_nop 0
	s_sendmsg sendmsg(MSG_DEALLOC_VGPRS)
	s_endpgm
	.section	.rodata,"a",@progbits
	.p2align	6, 0x0
	.amdhsa_kernel _ZN12tensorrt_llm7kernels32fusedQKNormRopeKernelNTokenHeadsIN3c108BFloat16ES3_Li256ELb0ELi8EEEvPviiifPKvS6_S6_PKlii
		.amdhsa_group_segment_fixed_size 0
		.amdhsa_private_segment_fixed_size 0
		.amdhsa_kernarg_size 320
		.amdhsa_user_sgpr_count 15
		.amdhsa_user_sgpr_dispatch_ptr 0
		.amdhsa_user_sgpr_queue_ptr 0
		.amdhsa_user_sgpr_kernarg_segment_ptr 1
		.amdhsa_user_sgpr_dispatch_id 0
		.amdhsa_user_sgpr_private_segment_size 0
		.amdhsa_wavefront_size32 1
		.amdhsa_uses_dynamic_stack 0
		.amdhsa_enable_private_segment 0
		.amdhsa_system_sgpr_workgroup_id_x 1
		.amdhsa_system_sgpr_workgroup_id_y 0
		.amdhsa_system_sgpr_workgroup_id_z 0
		.amdhsa_system_sgpr_workgroup_info 0
		.amdhsa_system_vgpr_workitem_id 0
		.amdhsa_next_free_vgpr 73
		.amdhsa_next_free_sgpr 21
		.amdhsa_reserve_vcc 1
		.amdhsa_float_round_mode_32 0
		.amdhsa_float_round_mode_16_64 0
		.amdhsa_float_denorm_mode_32 3
		.amdhsa_float_denorm_mode_16_64 3
		.amdhsa_dx10_clamp 1
		.amdhsa_ieee_mode 1
		.amdhsa_fp16_overflow 0
		.amdhsa_workgroup_processor_mode 1
		.amdhsa_memory_ordered 1
		.amdhsa_forward_progress 0
		.amdhsa_shared_vgpr_count 0
		.amdhsa_exception_fp_ieee_invalid_op 0
		.amdhsa_exception_fp_denorm_src 0
		.amdhsa_exception_fp_ieee_div_zero 0
		.amdhsa_exception_fp_ieee_overflow 0
		.amdhsa_exception_fp_ieee_underflow 0
		.amdhsa_exception_fp_ieee_inexact 0
		.amdhsa_exception_int_div_zero 0
	.end_amdhsa_kernel
	.section	.text._ZN12tensorrt_llm7kernels32fusedQKNormRopeKernelNTokenHeadsIN3c108BFloat16ES3_Li256ELb0ELi8EEEvPviiifPKvS6_S6_PKlii,"axG",@progbits,_ZN12tensorrt_llm7kernels32fusedQKNormRopeKernelNTokenHeadsIN3c108BFloat16ES3_Li256ELb0ELi8EEEvPviiifPKvS6_S6_PKlii,comdat
.Lfunc_end143:
	.size	_ZN12tensorrt_llm7kernels32fusedQKNormRopeKernelNTokenHeadsIN3c108BFloat16ES3_Li256ELb0ELi8EEEvPviiifPKvS6_S6_PKlii, .Lfunc_end143-_ZN12tensorrt_llm7kernels32fusedQKNormRopeKernelNTokenHeadsIN3c108BFloat16ES3_Li256ELb0ELi8EEEvPviiifPKvS6_S6_PKlii
                                        ; -- End function
	.section	.AMDGPU.csdata,"",@progbits
; Kernel info:
; codeLenInByte = 3872
; NumSgprs: 23
; NumVgprs: 73
; ScratchSize: 0
; MemoryBound: 0
; FloatMode: 240
; IeeeMode: 1
; LDSByteSize: 0 bytes/workgroup (compile time only)
; SGPRBlocks: 2
; VGPRBlocks: 9
; NumSGPRsForWavesPerEU: 23
; NumVGPRsForWavesPerEU: 73
; Occupancy: 16
; WaveLimiterHint : 0
; COMPUTE_PGM_RSRC2:SCRATCH_EN: 0
; COMPUTE_PGM_RSRC2:USER_SGPR: 15
; COMPUTE_PGM_RSRC2:TRAP_HANDLER: 0
; COMPUTE_PGM_RSRC2:TGID_X_EN: 1
; COMPUTE_PGM_RSRC2:TGID_Y_EN: 0
; COMPUTE_PGM_RSRC2:TGID_Z_EN: 0
; COMPUTE_PGM_RSRC2:TIDIG_COMP_CNT: 0
	.text
	.p2alignl 7, 3214868480
	.fill 96, 4, 3214868480
	.type	__hip_cuid_99ef899c32e3007c,@object ; @__hip_cuid_99ef899c32e3007c
	.section	.bss,"aw",@nobits
	.globl	__hip_cuid_99ef899c32e3007c
__hip_cuid_99ef899c32e3007c:
	.byte	0                               ; 0x0
	.size	__hip_cuid_99ef899c32e3007c, 1

	.ident	"AMD clang version 19.0.0git (https://github.com/RadeonOpenCompute/llvm-project roc-6.4.0 25133 c7fe45cf4b819c5991fe208aaa96edf142730f1d)"
	.section	".note.GNU-stack","",@progbits
	.addrsig
	.addrsig_sym __hip_cuid_99ef899c32e3007c
	.amdgpu_metadata
---
amdhsa.kernels:
  - .args:
      - .address_space:  global
        .offset:         0
        .size:           8
        .value_kind:     global_buffer
      - .offset:         8
        .size:           4
        .value_kind:     by_value
      - .offset:         12
        .size:           4
        .value_kind:     by_value
      - .offset:         16
        .size:           4
        .value_kind:     by_value
      - .offset:         20
        .size:           4
        .value_kind:     by_value
      - .address_space:  global
        .offset:         24
        .size:           8
        .value_kind:     global_buffer
      - .address_space:  global
        .offset:         32
        .size:           8
        .value_kind:     global_buffer
      - .address_space:  global
        .offset:         40
        .size:           8
        .value_kind:     global_buffer
      - .address_space:  global
        .offset:         48
        .size:           8
        .value_kind:     global_buffer
      - .offset:         56
        .size:           4
        .value_kind:     by_value
      - .offset:         60
        .size:           4
        .value_kind:     by_value
      - .offset:         64
        .size:           4
        .value_kind:     hidden_block_count_x
      - .offset:         68
        .size:           4
        .value_kind:     hidden_block_count_y
      - .offset:         72
        .size:           4
        .value_kind:     hidden_block_count_z
      - .offset:         76
        .size:           2
        .value_kind:     hidden_group_size_x
      - .offset:         78
        .size:           2
        .value_kind:     hidden_group_size_y
      - .offset:         80
        .size:           2
        .value_kind:     hidden_group_size_z
      - .offset:         82
        .size:           2
        .value_kind:     hidden_remainder_x
      - .offset:         84
        .size:           2
        .value_kind:     hidden_remainder_y
      - .offset:         86
        .size:           2
        .value_kind:     hidden_remainder_z
      - .offset:         104
        .size:           8
        .value_kind:     hidden_global_offset_x
      - .offset:         112
        .size:           8
        .value_kind:     hidden_global_offset_y
      - .offset:         120
        .size:           8
        .value_kind:     hidden_global_offset_z
      - .offset:         128
        .size:           2
        .value_kind:     hidden_grid_dims
    .group_segment_fixed_size: 0
    .kernarg_segment_align: 8
    .kernarg_segment_size: 320
    .language:       OpenCL C
    .language_version:
      - 2
      - 0
    .max_flat_workgroup_size: 1024
    .name:           _ZN12tensorrt_llm7kernels21fusedQKNormRopeKernelIN3c104HalfEfLi64ELb1EEEvPviiifPKvS6_S6_PKlii
    .private_segment_fixed_size: 0
    .sgpr_count:     18
    .sgpr_spill_count: 0
    .symbol:         _ZN12tensorrt_llm7kernels21fusedQKNormRopeKernelIN3c104HalfEfLi64ELb1EEEvPviiifPKvS6_S6_PKlii.kd
    .uniform_work_group_size: 1
    .uses_dynamic_stack: false
    .vgpr_count:     12
    .vgpr_spill_count: 0
    .wavefront_size: 32
    .workgroup_processor_mode: 1
  - .args:
      - .address_space:  global
        .offset:         0
        .size:           8
        .value_kind:     global_buffer
      - .offset:         8
        .size:           4
        .value_kind:     by_value
      - .offset:         12
        .size:           4
        .value_kind:     by_value
      - .offset:         16
        .size:           4
        .value_kind:     by_value
      - .offset:         20
        .size:           4
        .value_kind:     by_value
      - .address_space:  global
        .offset:         24
        .size:           8
        .value_kind:     global_buffer
      - .address_space:  global
        .offset:         32
        .size:           8
        .value_kind:     global_buffer
      - .address_space:  global
        .offset:         40
        .size:           8
        .value_kind:     global_buffer
      - .address_space:  global
        .offset:         48
        .size:           8
        .value_kind:     global_buffer
      - .offset:         56
        .size:           4
        .value_kind:     by_value
      - .offset:         60
        .size:           4
        .value_kind:     by_value
      - .offset:         64
        .size:           4
        .value_kind:     hidden_block_count_x
      - .offset:         68
        .size:           4
        .value_kind:     hidden_block_count_y
      - .offset:         72
        .size:           4
        .value_kind:     hidden_block_count_z
      - .offset:         76
        .size:           2
        .value_kind:     hidden_group_size_x
      - .offset:         78
        .size:           2
        .value_kind:     hidden_group_size_y
      - .offset:         80
        .size:           2
        .value_kind:     hidden_group_size_z
      - .offset:         82
        .size:           2
        .value_kind:     hidden_remainder_x
      - .offset:         84
        .size:           2
        .value_kind:     hidden_remainder_y
      - .offset:         86
        .size:           2
        .value_kind:     hidden_remainder_z
      - .offset:         104
        .size:           8
        .value_kind:     hidden_global_offset_x
      - .offset:         112
        .size:           8
        .value_kind:     hidden_global_offset_y
      - .offset:         120
        .size:           8
        .value_kind:     hidden_global_offset_z
      - .offset:         128
        .size:           2
        .value_kind:     hidden_grid_dims
    .group_segment_fixed_size: 0
    .kernarg_segment_align: 8
    .kernarg_segment_size: 320
    .language:       OpenCL C
    .language_version:
      - 2
      - 0
    .max_flat_workgroup_size: 1024
    .name:           _ZN12tensorrt_llm7kernels21fusedQKNormRopeKernelIN3c104HalfEfLi64ELb0EEEvPviiifPKvS6_S6_PKlii
    .private_segment_fixed_size: 0
    .sgpr_count:     18
    .sgpr_spill_count: 0
    .symbol:         _ZN12tensorrt_llm7kernels21fusedQKNormRopeKernelIN3c104HalfEfLi64ELb0EEEvPviiifPKvS6_S6_PKlii.kd
    .uniform_work_group_size: 1
    .uses_dynamic_stack: false
    .vgpr_count:     16
    .vgpr_spill_count: 0
    .wavefront_size: 32
    .workgroup_processor_mode: 1
  - .args:
      - .address_space:  global
        .offset:         0
        .size:           8
        .value_kind:     global_buffer
      - .offset:         8
        .size:           4
        .value_kind:     by_value
      - .offset:         12
        .size:           4
        .value_kind:     by_value
      - .offset:         16
        .size:           4
        .value_kind:     by_value
      - .offset:         20
        .size:           4
        .value_kind:     by_value
      - .address_space:  global
        .offset:         24
        .size:           8
        .value_kind:     global_buffer
      - .address_space:  global
        .offset:         32
        .size:           8
        .value_kind:     global_buffer
      - .address_space:  global
        .offset:         40
        .size:           8
        .value_kind:     global_buffer
      - .address_space:  global
        .offset:         48
        .size:           8
        .value_kind:     global_buffer
      - .offset:         56
        .size:           4
        .value_kind:     by_value
      - .offset:         60
        .size:           4
        .value_kind:     by_value
      - .offset:         64
        .size:           4
        .value_kind:     hidden_block_count_x
      - .offset:         68
        .size:           4
        .value_kind:     hidden_block_count_y
      - .offset:         72
        .size:           4
        .value_kind:     hidden_block_count_z
      - .offset:         76
        .size:           2
        .value_kind:     hidden_group_size_x
      - .offset:         78
        .size:           2
        .value_kind:     hidden_group_size_y
      - .offset:         80
        .size:           2
        .value_kind:     hidden_group_size_z
      - .offset:         82
        .size:           2
        .value_kind:     hidden_remainder_x
      - .offset:         84
        .size:           2
        .value_kind:     hidden_remainder_y
      - .offset:         86
        .size:           2
        .value_kind:     hidden_remainder_z
      - .offset:         104
        .size:           8
        .value_kind:     hidden_global_offset_x
      - .offset:         112
        .size:           8
        .value_kind:     hidden_global_offset_y
      - .offset:         120
        .size:           8
        .value_kind:     hidden_global_offset_z
      - .offset:         128
        .size:           2
        .value_kind:     hidden_grid_dims
    .group_segment_fixed_size: 0
    .kernarg_segment_align: 8
    .kernarg_segment_size: 320
    .language:       OpenCL C
    .language_version:
      - 2
      - 0
    .max_flat_workgroup_size: 1024
    .name:           _ZN12tensorrt_llm7kernels21fusedQKNormRopeKernelIN3c104HalfEfLi128ELb1EEEvPviiifPKvS6_S6_PKlii
    .private_segment_fixed_size: 0
    .sgpr_count:     18
    .sgpr_spill_count: 0
    .symbol:         _ZN12tensorrt_llm7kernels21fusedQKNormRopeKernelIN3c104HalfEfLi128ELb1EEEvPviiifPKvS6_S6_PKlii.kd
    .uniform_work_group_size: 1
    .uses_dynamic_stack: false
    .vgpr_count:     15
    .vgpr_spill_count: 0
    .wavefront_size: 32
    .workgroup_processor_mode: 1
  - .args:
      - .address_space:  global
        .offset:         0
        .size:           8
        .value_kind:     global_buffer
      - .offset:         8
        .size:           4
        .value_kind:     by_value
      - .offset:         12
        .size:           4
        .value_kind:     by_value
      - .offset:         16
        .size:           4
        .value_kind:     by_value
      - .offset:         20
        .size:           4
        .value_kind:     by_value
      - .address_space:  global
        .offset:         24
        .size:           8
        .value_kind:     global_buffer
      - .address_space:  global
        .offset:         32
        .size:           8
        .value_kind:     global_buffer
      - .address_space:  global
        .offset:         40
        .size:           8
        .value_kind:     global_buffer
      - .address_space:  global
        .offset:         48
        .size:           8
        .value_kind:     global_buffer
      - .offset:         56
        .size:           4
        .value_kind:     by_value
      - .offset:         60
        .size:           4
        .value_kind:     by_value
      - .offset:         64
        .size:           4
        .value_kind:     hidden_block_count_x
      - .offset:         68
        .size:           4
        .value_kind:     hidden_block_count_y
      - .offset:         72
        .size:           4
        .value_kind:     hidden_block_count_z
      - .offset:         76
        .size:           2
        .value_kind:     hidden_group_size_x
      - .offset:         78
        .size:           2
        .value_kind:     hidden_group_size_y
      - .offset:         80
        .size:           2
        .value_kind:     hidden_group_size_z
      - .offset:         82
        .size:           2
        .value_kind:     hidden_remainder_x
      - .offset:         84
        .size:           2
        .value_kind:     hidden_remainder_y
      - .offset:         86
        .size:           2
        .value_kind:     hidden_remainder_z
      - .offset:         104
        .size:           8
        .value_kind:     hidden_global_offset_x
      - .offset:         112
        .size:           8
        .value_kind:     hidden_global_offset_y
      - .offset:         120
        .size:           8
        .value_kind:     hidden_global_offset_z
      - .offset:         128
        .size:           2
        .value_kind:     hidden_grid_dims
    .group_segment_fixed_size: 0
    .kernarg_segment_align: 8
    .kernarg_segment_size: 320
    .language:       OpenCL C
    .language_version:
      - 2
      - 0
    .max_flat_workgroup_size: 1024
    .name:           _ZN12tensorrt_llm7kernels21fusedQKNormRopeKernelIN3c104HalfEfLi128ELb0EEEvPviiifPKvS6_S6_PKlii
    .private_segment_fixed_size: 0
    .sgpr_count:     18
    .sgpr_spill_count: 0
    .symbol:         _ZN12tensorrt_llm7kernels21fusedQKNormRopeKernelIN3c104HalfEfLi128ELb0EEEvPviiifPKvS6_S6_PKlii.kd
    .uniform_work_group_size: 1
    .uses_dynamic_stack: false
    .vgpr_count:     26
    .vgpr_spill_count: 0
    .wavefront_size: 32
    .workgroup_processor_mode: 1
  - .args:
      - .address_space:  global
        .offset:         0
        .size:           8
        .value_kind:     global_buffer
      - .offset:         8
        .size:           4
        .value_kind:     by_value
      - .offset:         12
        .size:           4
        .value_kind:     by_value
      - .offset:         16
        .size:           4
        .value_kind:     by_value
      - .offset:         20
        .size:           4
        .value_kind:     by_value
      - .address_space:  global
        .offset:         24
        .size:           8
        .value_kind:     global_buffer
      - .address_space:  global
        .offset:         32
        .size:           8
        .value_kind:     global_buffer
      - .address_space:  global
        .offset:         40
        .size:           8
        .value_kind:     global_buffer
      - .address_space:  global
        .offset:         48
        .size:           8
        .value_kind:     global_buffer
      - .offset:         56
        .size:           4
        .value_kind:     by_value
      - .offset:         60
        .size:           4
        .value_kind:     by_value
      - .offset:         64
        .size:           4
        .value_kind:     hidden_block_count_x
      - .offset:         68
        .size:           4
        .value_kind:     hidden_block_count_y
      - .offset:         72
        .size:           4
        .value_kind:     hidden_block_count_z
      - .offset:         76
        .size:           2
        .value_kind:     hidden_group_size_x
      - .offset:         78
        .size:           2
        .value_kind:     hidden_group_size_y
      - .offset:         80
        .size:           2
        .value_kind:     hidden_group_size_z
      - .offset:         82
        .size:           2
        .value_kind:     hidden_remainder_x
      - .offset:         84
        .size:           2
        .value_kind:     hidden_remainder_y
      - .offset:         86
        .size:           2
        .value_kind:     hidden_remainder_z
      - .offset:         104
        .size:           8
        .value_kind:     hidden_global_offset_x
      - .offset:         112
        .size:           8
        .value_kind:     hidden_global_offset_y
      - .offset:         120
        .size:           8
        .value_kind:     hidden_global_offset_z
      - .offset:         128
        .size:           2
        .value_kind:     hidden_grid_dims
    .group_segment_fixed_size: 0
    .kernarg_segment_align: 8
    .kernarg_segment_size: 320
    .language:       OpenCL C
    .language_version:
      - 2
      - 0
    .max_flat_workgroup_size: 1024
    .name:           _ZN12tensorrt_llm7kernels21fusedQKNormRopeKernelIN3c104HalfEfLi256ELb1EEEvPviiifPKvS6_S6_PKlii
    .private_segment_fixed_size: 0
    .sgpr_count:     18
    .sgpr_spill_count: 0
    .symbol:         _ZN12tensorrt_llm7kernels21fusedQKNormRopeKernelIN3c104HalfEfLi256ELb1EEEvPviiifPKvS6_S6_PKlii.kd
    .uniform_work_group_size: 1
    .uses_dynamic_stack: false
    .vgpr_count:     23
    .vgpr_spill_count: 0
    .wavefront_size: 32
    .workgroup_processor_mode: 1
  - .args:
      - .address_space:  global
        .offset:         0
        .size:           8
        .value_kind:     global_buffer
      - .offset:         8
        .size:           4
        .value_kind:     by_value
      - .offset:         12
        .size:           4
        .value_kind:     by_value
      - .offset:         16
        .size:           4
        .value_kind:     by_value
      - .offset:         20
        .size:           4
        .value_kind:     by_value
      - .address_space:  global
        .offset:         24
        .size:           8
        .value_kind:     global_buffer
      - .address_space:  global
        .offset:         32
        .size:           8
        .value_kind:     global_buffer
      - .address_space:  global
        .offset:         40
        .size:           8
        .value_kind:     global_buffer
      - .address_space:  global
        .offset:         48
        .size:           8
        .value_kind:     global_buffer
      - .offset:         56
        .size:           4
        .value_kind:     by_value
      - .offset:         60
        .size:           4
        .value_kind:     by_value
      - .offset:         64
        .size:           4
        .value_kind:     hidden_block_count_x
      - .offset:         68
        .size:           4
        .value_kind:     hidden_block_count_y
      - .offset:         72
        .size:           4
        .value_kind:     hidden_block_count_z
      - .offset:         76
        .size:           2
        .value_kind:     hidden_group_size_x
      - .offset:         78
        .size:           2
        .value_kind:     hidden_group_size_y
      - .offset:         80
        .size:           2
        .value_kind:     hidden_group_size_z
      - .offset:         82
        .size:           2
        .value_kind:     hidden_remainder_x
      - .offset:         84
        .size:           2
        .value_kind:     hidden_remainder_y
      - .offset:         86
        .size:           2
        .value_kind:     hidden_remainder_z
      - .offset:         104
        .size:           8
        .value_kind:     hidden_global_offset_x
      - .offset:         112
        .size:           8
        .value_kind:     hidden_global_offset_y
      - .offset:         120
        .size:           8
        .value_kind:     hidden_global_offset_z
      - .offset:         128
        .size:           2
        .value_kind:     hidden_grid_dims
    .group_segment_fixed_size: 0
    .kernarg_segment_align: 8
    .kernarg_segment_size: 320
    .language:       OpenCL C
    .language_version:
      - 2
      - 0
    .max_flat_workgroup_size: 1024
    .name:           _ZN12tensorrt_llm7kernels21fusedQKNormRopeKernelIN3c104HalfEfLi256ELb0EEEvPviiifPKvS6_S6_PKlii
    .private_segment_fixed_size: 0
    .sgpr_count:     18
    .sgpr_spill_count: 0
    .symbol:         _ZN12tensorrt_llm7kernels21fusedQKNormRopeKernelIN3c104HalfEfLi256ELb0EEEvPviiifPKvS6_S6_PKlii.kd
    .uniform_work_group_size: 1
    .uses_dynamic_stack: false
    .vgpr_count:     46
    .vgpr_spill_count: 0
    .wavefront_size: 32
    .workgroup_processor_mode: 1
  - .args:
      - .address_space:  global
        .offset:         0
        .size:           8
        .value_kind:     global_buffer
      - .offset:         8
        .size:           4
        .value_kind:     by_value
      - .offset:         12
        .size:           4
        .value_kind:     by_value
      - .offset:         16
        .size:           4
        .value_kind:     by_value
      - .offset:         20
        .size:           4
        .value_kind:     by_value
      - .address_space:  global
        .offset:         24
        .size:           8
        .value_kind:     global_buffer
      - .address_space:  global
        .offset:         32
        .size:           8
        .value_kind:     global_buffer
      - .address_space:  global
        .offset:         40
        .size:           8
        .value_kind:     global_buffer
      - .address_space:  global
        .offset:         48
        .size:           8
        .value_kind:     global_buffer
      - .offset:         56
        .size:           4
        .value_kind:     by_value
      - .offset:         60
        .size:           4
        .value_kind:     by_value
      - .offset:         64
        .size:           4
        .value_kind:     hidden_block_count_x
      - .offset:         68
        .size:           4
        .value_kind:     hidden_block_count_y
      - .offset:         72
        .size:           4
        .value_kind:     hidden_block_count_z
      - .offset:         76
        .size:           2
        .value_kind:     hidden_group_size_x
      - .offset:         78
        .size:           2
        .value_kind:     hidden_group_size_y
      - .offset:         80
        .size:           2
        .value_kind:     hidden_group_size_z
      - .offset:         82
        .size:           2
        .value_kind:     hidden_remainder_x
      - .offset:         84
        .size:           2
        .value_kind:     hidden_remainder_y
      - .offset:         86
        .size:           2
        .value_kind:     hidden_remainder_z
      - .offset:         104
        .size:           8
        .value_kind:     hidden_global_offset_x
      - .offset:         112
        .size:           8
        .value_kind:     hidden_global_offset_y
      - .offset:         120
        .size:           8
        .value_kind:     hidden_global_offset_z
      - .offset:         128
        .size:           2
        .value_kind:     hidden_grid_dims
      - .offset:         184
        .size:           4
        .value_kind:     hidden_dynamic_lds_size
    .group_segment_fixed_size: 0
    .kernarg_segment_align: 8
    .kernarg_segment_size: 320
    .language:       OpenCL C
    .language_version:
      - 2
      - 0
    .max_flat_workgroup_size: 1024
    .name:           _ZN12tensorrt_llm7kernels32fusedQKNormRopeKernelNTokenHeadsIN3c104HalfEfLi64ELb1ELi2EEEvPviiifPKvS6_S6_PKlii
    .private_segment_fixed_size: 0
    .sgpr_count:     23
    .sgpr_spill_count: 0
    .symbol:         _ZN12tensorrt_llm7kernels32fusedQKNormRopeKernelNTokenHeadsIN3c104HalfEfLi64ELb1ELi2EEEvPviiifPKvS6_S6_PKlii.kd
    .uniform_work_group_size: 1
    .uses_dynamic_stack: false
    .vgpr_count:     21
    .vgpr_spill_count: 0
    .wavefront_size: 32
    .workgroup_processor_mode: 1
  - .args:
      - .address_space:  global
        .offset:         0
        .size:           8
        .value_kind:     global_buffer
      - .offset:         8
        .size:           4
        .value_kind:     by_value
      - .offset:         12
        .size:           4
        .value_kind:     by_value
      - .offset:         16
        .size:           4
        .value_kind:     by_value
      - .offset:         20
        .size:           4
        .value_kind:     by_value
      - .address_space:  global
        .offset:         24
        .size:           8
        .value_kind:     global_buffer
      - .address_space:  global
        .offset:         32
        .size:           8
        .value_kind:     global_buffer
      - .address_space:  global
        .offset:         40
        .size:           8
        .value_kind:     global_buffer
      - .address_space:  global
        .offset:         48
        .size:           8
        .value_kind:     global_buffer
      - .offset:         56
        .size:           4
        .value_kind:     by_value
      - .offset:         60
        .size:           4
        .value_kind:     by_value
      - .offset:         64
        .size:           4
        .value_kind:     hidden_block_count_x
      - .offset:         68
        .size:           4
        .value_kind:     hidden_block_count_y
      - .offset:         72
        .size:           4
        .value_kind:     hidden_block_count_z
      - .offset:         76
        .size:           2
        .value_kind:     hidden_group_size_x
      - .offset:         78
        .size:           2
        .value_kind:     hidden_group_size_y
      - .offset:         80
        .size:           2
        .value_kind:     hidden_group_size_z
      - .offset:         82
        .size:           2
        .value_kind:     hidden_remainder_x
      - .offset:         84
        .size:           2
        .value_kind:     hidden_remainder_y
      - .offset:         86
        .size:           2
        .value_kind:     hidden_remainder_z
      - .offset:         104
        .size:           8
        .value_kind:     hidden_global_offset_x
      - .offset:         112
        .size:           8
        .value_kind:     hidden_global_offset_y
      - .offset:         120
        .size:           8
        .value_kind:     hidden_global_offset_z
      - .offset:         128
        .size:           2
        .value_kind:     hidden_grid_dims
      - .offset:         184
        .size:           4
        .value_kind:     hidden_dynamic_lds_size
    .group_segment_fixed_size: 0
    .kernarg_segment_align: 8
    .kernarg_segment_size: 320
    .language:       OpenCL C
    .language_version:
      - 2
      - 0
    .max_flat_workgroup_size: 1024
    .name:           _ZN12tensorrt_llm7kernels32fusedQKNormRopeKernelNTokenHeadsIN3c104HalfEfLi64ELb0ELi2EEEvPviiifPKvS6_S6_PKlii
    .private_segment_fixed_size: 0
    .sgpr_count:     23
    .sgpr_spill_count: 0
    .symbol:         _ZN12tensorrt_llm7kernels32fusedQKNormRopeKernelNTokenHeadsIN3c104HalfEfLi64ELb0ELi2EEEvPviiifPKvS6_S6_PKlii.kd
    .uniform_work_group_size: 1
    .uses_dynamic_stack: false
    .vgpr_count:     26
    .vgpr_spill_count: 0
    .wavefront_size: 32
    .workgroup_processor_mode: 1
  - .args:
      - .address_space:  global
        .offset:         0
        .size:           8
        .value_kind:     global_buffer
      - .offset:         8
        .size:           4
        .value_kind:     by_value
      - .offset:         12
        .size:           4
        .value_kind:     by_value
      - .offset:         16
        .size:           4
        .value_kind:     by_value
      - .offset:         20
        .size:           4
        .value_kind:     by_value
      - .address_space:  global
        .offset:         24
        .size:           8
        .value_kind:     global_buffer
      - .address_space:  global
        .offset:         32
        .size:           8
        .value_kind:     global_buffer
      - .address_space:  global
        .offset:         40
        .size:           8
        .value_kind:     global_buffer
      - .address_space:  global
        .offset:         48
        .size:           8
        .value_kind:     global_buffer
      - .offset:         56
        .size:           4
        .value_kind:     by_value
      - .offset:         60
        .size:           4
        .value_kind:     by_value
      - .offset:         64
        .size:           4
        .value_kind:     hidden_block_count_x
      - .offset:         68
        .size:           4
        .value_kind:     hidden_block_count_y
      - .offset:         72
        .size:           4
        .value_kind:     hidden_block_count_z
      - .offset:         76
        .size:           2
        .value_kind:     hidden_group_size_x
      - .offset:         78
        .size:           2
        .value_kind:     hidden_group_size_y
      - .offset:         80
        .size:           2
        .value_kind:     hidden_group_size_z
      - .offset:         82
        .size:           2
        .value_kind:     hidden_remainder_x
      - .offset:         84
        .size:           2
        .value_kind:     hidden_remainder_y
      - .offset:         86
        .size:           2
        .value_kind:     hidden_remainder_z
      - .offset:         104
        .size:           8
        .value_kind:     hidden_global_offset_x
      - .offset:         112
        .size:           8
        .value_kind:     hidden_global_offset_y
      - .offset:         120
        .size:           8
        .value_kind:     hidden_global_offset_z
      - .offset:         128
        .size:           2
        .value_kind:     hidden_grid_dims
      - .offset:         184
        .size:           4
        .value_kind:     hidden_dynamic_lds_size
    .group_segment_fixed_size: 0
    .kernarg_segment_align: 8
    .kernarg_segment_size: 320
    .language:       OpenCL C
    .language_version:
      - 2
      - 0
    .max_flat_workgroup_size: 1024
    .name:           _ZN12tensorrt_llm7kernels32fusedQKNormRopeKernelNTokenHeadsIN3c104HalfEfLi128ELb1ELi2EEEvPviiifPKvS6_S6_PKlii
    .private_segment_fixed_size: 0
    .sgpr_count:     23
    .sgpr_spill_count: 0
    .symbol:         _ZN12tensorrt_llm7kernels32fusedQKNormRopeKernelNTokenHeadsIN3c104HalfEfLi128ELb1ELi2EEEvPviiifPKvS6_S6_PKlii.kd
    .uniform_work_group_size: 1
    .uses_dynamic_stack: false
    .vgpr_count:     29
    .vgpr_spill_count: 0
    .wavefront_size: 32
    .workgroup_processor_mode: 1
  - .args:
      - .address_space:  global
        .offset:         0
        .size:           8
        .value_kind:     global_buffer
      - .offset:         8
        .size:           4
        .value_kind:     by_value
      - .offset:         12
        .size:           4
        .value_kind:     by_value
      - .offset:         16
        .size:           4
        .value_kind:     by_value
      - .offset:         20
        .size:           4
        .value_kind:     by_value
      - .address_space:  global
        .offset:         24
        .size:           8
        .value_kind:     global_buffer
      - .address_space:  global
        .offset:         32
        .size:           8
        .value_kind:     global_buffer
      - .address_space:  global
        .offset:         40
        .size:           8
        .value_kind:     global_buffer
      - .address_space:  global
        .offset:         48
        .size:           8
        .value_kind:     global_buffer
      - .offset:         56
        .size:           4
        .value_kind:     by_value
      - .offset:         60
        .size:           4
        .value_kind:     by_value
      - .offset:         64
        .size:           4
        .value_kind:     hidden_block_count_x
      - .offset:         68
        .size:           4
        .value_kind:     hidden_block_count_y
      - .offset:         72
        .size:           4
        .value_kind:     hidden_block_count_z
      - .offset:         76
        .size:           2
        .value_kind:     hidden_group_size_x
      - .offset:         78
        .size:           2
        .value_kind:     hidden_group_size_y
      - .offset:         80
        .size:           2
        .value_kind:     hidden_group_size_z
      - .offset:         82
        .size:           2
        .value_kind:     hidden_remainder_x
      - .offset:         84
        .size:           2
        .value_kind:     hidden_remainder_y
      - .offset:         86
        .size:           2
        .value_kind:     hidden_remainder_z
      - .offset:         104
        .size:           8
        .value_kind:     hidden_global_offset_x
      - .offset:         112
        .size:           8
        .value_kind:     hidden_global_offset_y
      - .offset:         120
        .size:           8
        .value_kind:     hidden_global_offset_z
      - .offset:         128
        .size:           2
        .value_kind:     hidden_grid_dims
      - .offset:         184
        .size:           4
        .value_kind:     hidden_dynamic_lds_size
    .group_segment_fixed_size: 0
    .kernarg_segment_align: 8
    .kernarg_segment_size: 320
    .language:       OpenCL C
    .language_version:
      - 2
      - 0
    .max_flat_workgroup_size: 1024
    .name:           _ZN12tensorrt_llm7kernels32fusedQKNormRopeKernelNTokenHeadsIN3c104HalfEfLi128ELb0ELi2EEEvPviiifPKvS6_S6_PKlii
    .private_segment_fixed_size: 0
    .sgpr_count:     23
    .sgpr_spill_count: 0
    .symbol:         _ZN12tensorrt_llm7kernels32fusedQKNormRopeKernelNTokenHeadsIN3c104HalfEfLi128ELb0ELi2EEEvPviiifPKvS6_S6_PKlii.kd
    .uniform_work_group_size: 1
    .uses_dynamic_stack: false
    .vgpr_count:     42
    .vgpr_spill_count: 0
    .wavefront_size: 32
    .workgroup_processor_mode: 1
  - .args:
      - .address_space:  global
        .offset:         0
        .size:           8
        .value_kind:     global_buffer
      - .offset:         8
        .size:           4
        .value_kind:     by_value
      - .offset:         12
        .size:           4
        .value_kind:     by_value
      - .offset:         16
        .size:           4
        .value_kind:     by_value
      - .offset:         20
        .size:           4
        .value_kind:     by_value
      - .address_space:  global
        .offset:         24
        .size:           8
        .value_kind:     global_buffer
      - .address_space:  global
        .offset:         32
        .size:           8
        .value_kind:     global_buffer
      - .address_space:  global
        .offset:         40
        .size:           8
        .value_kind:     global_buffer
      - .address_space:  global
        .offset:         48
        .size:           8
        .value_kind:     global_buffer
      - .offset:         56
        .size:           4
        .value_kind:     by_value
      - .offset:         60
        .size:           4
        .value_kind:     by_value
      - .offset:         64
        .size:           4
        .value_kind:     hidden_block_count_x
      - .offset:         68
        .size:           4
        .value_kind:     hidden_block_count_y
      - .offset:         72
        .size:           4
        .value_kind:     hidden_block_count_z
      - .offset:         76
        .size:           2
        .value_kind:     hidden_group_size_x
      - .offset:         78
        .size:           2
        .value_kind:     hidden_group_size_y
      - .offset:         80
        .size:           2
        .value_kind:     hidden_group_size_z
      - .offset:         82
        .size:           2
        .value_kind:     hidden_remainder_x
      - .offset:         84
        .size:           2
        .value_kind:     hidden_remainder_y
      - .offset:         86
        .size:           2
        .value_kind:     hidden_remainder_z
      - .offset:         104
        .size:           8
        .value_kind:     hidden_global_offset_x
      - .offset:         112
        .size:           8
        .value_kind:     hidden_global_offset_y
      - .offset:         120
        .size:           8
        .value_kind:     hidden_global_offset_z
      - .offset:         128
        .size:           2
        .value_kind:     hidden_grid_dims
      - .offset:         184
        .size:           4
        .value_kind:     hidden_dynamic_lds_size
    .group_segment_fixed_size: 0
    .kernarg_segment_align: 8
    .kernarg_segment_size: 320
    .language:       OpenCL C
    .language_version:
      - 2
      - 0
    .max_flat_workgroup_size: 1024
    .name:           _ZN12tensorrt_llm7kernels32fusedQKNormRopeKernelNTokenHeadsIN3c104HalfEfLi256ELb1ELi2EEEvPviiifPKvS6_S6_PKlii
    .private_segment_fixed_size: 0
    .sgpr_count:     23
    .sgpr_spill_count: 0
    .symbol:         _ZN12tensorrt_llm7kernels32fusedQKNormRopeKernelNTokenHeadsIN3c104HalfEfLi256ELb1ELi2EEEvPviiifPKvS6_S6_PKlii.kd
    .uniform_work_group_size: 1
    .uses_dynamic_stack: false
    .vgpr_count:     47
    .vgpr_spill_count: 0
    .wavefront_size: 32
    .workgroup_processor_mode: 1
  - .args:
      - .address_space:  global
        .offset:         0
        .size:           8
        .value_kind:     global_buffer
      - .offset:         8
        .size:           4
        .value_kind:     by_value
      - .offset:         12
        .size:           4
        .value_kind:     by_value
      - .offset:         16
        .size:           4
        .value_kind:     by_value
      - .offset:         20
        .size:           4
        .value_kind:     by_value
      - .address_space:  global
        .offset:         24
        .size:           8
        .value_kind:     global_buffer
      - .address_space:  global
        .offset:         32
        .size:           8
        .value_kind:     global_buffer
      - .address_space:  global
        .offset:         40
        .size:           8
        .value_kind:     global_buffer
      - .address_space:  global
        .offset:         48
        .size:           8
        .value_kind:     global_buffer
      - .offset:         56
        .size:           4
        .value_kind:     by_value
      - .offset:         60
        .size:           4
        .value_kind:     by_value
      - .offset:         64
        .size:           4
        .value_kind:     hidden_block_count_x
      - .offset:         68
        .size:           4
        .value_kind:     hidden_block_count_y
      - .offset:         72
        .size:           4
        .value_kind:     hidden_block_count_z
      - .offset:         76
        .size:           2
        .value_kind:     hidden_group_size_x
      - .offset:         78
        .size:           2
        .value_kind:     hidden_group_size_y
      - .offset:         80
        .size:           2
        .value_kind:     hidden_group_size_z
      - .offset:         82
        .size:           2
        .value_kind:     hidden_remainder_x
      - .offset:         84
        .size:           2
        .value_kind:     hidden_remainder_y
      - .offset:         86
        .size:           2
        .value_kind:     hidden_remainder_z
      - .offset:         104
        .size:           8
        .value_kind:     hidden_global_offset_x
      - .offset:         112
        .size:           8
        .value_kind:     hidden_global_offset_y
      - .offset:         120
        .size:           8
        .value_kind:     hidden_global_offset_z
      - .offset:         128
        .size:           2
        .value_kind:     hidden_grid_dims
      - .offset:         184
        .size:           4
        .value_kind:     hidden_dynamic_lds_size
    .group_segment_fixed_size: 0
    .kernarg_segment_align: 8
    .kernarg_segment_size: 320
    .language:       OpenCL C
    .language_version:
      - 2
      - 0
    .max_flat_workgroup_size: 1024
    .name:           _ZN12tensorrt_llm7kernels32fusedQKNormRopeKernelNTokenHeadsIN3c104HalfEfLi256ELb0ELi2EEEvPviiifPKvS6_S6_PKlii
    .private_segment_fixed_size: 0
    .sgpr_count:     23
    .sgpr_spill_count: 0
    .symbol:         _ZN12tensorrt_llm7kernels32fusedQKNormRopeKernelNTokenHeadsIN3c104HalfEfLi256ELb0ELi2EEEvPviiifPKvS6_S6_PKlii.kd
    .uniform_work_group_size: 1
    .uses_dynamic_stack: false
    .vgpr_count:     74
    .vgpr_spill_count: 0
    .wavefront_size: 32
    .workgroup_processor_mode: 1
  - .args:
      - .address_space:  global
        .offset:         0
        .size:           8
        .value_kind:     global_buffer
      - .offset:         8
        .size:           4
        .value_kind:     by_value
      - .offset:         12
        .size:           4
        .value_kind:     by_value
      - .offset:         16
        .size:           4
        .value_kind:     by_value
      - .offset:         20
        .size:           4
        .value_kind:     by_value
      - .address_space:  global
        .offset:         24
        .size:           8
        .value_kind:     global_buffer
      - .address_space:  global
        .offset:         32
        .size:           8
        .value_kind:     global_buffer
      - .address_space:  global
        .offset:         40
        .size:           8
        .value_kind:     global_buffer
      - .address_space:  global
        .offset:         48
        .size:           8
        .value_kind:     global_buffer
      - .offset:         56
        .size:           4
        .value_kind:     by_value
      - .offset:         60
        .size:           4
        .value_kind:     by_value
      - .offset:         64
        .size:           4
        .value_kind:     hidden_block_count_x
      - .offset:         68
        .size:           4
        .value_kind:     hidden_block_count_y
      - .offset:         72
        .size:           4
        .value_kind:     hidden_block_count_z
      - .offset:         76
        .size:           2
        .value_kind:     hidden_group_size_x
      - .offset:         78
        .size:           2
        .value_kind:     hidden_group_size_y
      - .offset:         80
        .size:           2
        .value_kind:     hidden_group_size_z
      - .offset:         82
        .size:           2
        .value_kind:     hidden_remainder_x
      - .offset:         84
        .size:           2
        .value_kind:     hidden_remainder_y
      - .offset:         86
        .size:           2
        .value_kind:     hidden_remainder_z
      - .offset:         104
        .size:           8
        .value_kind:     hidden_global_offset_x
      - .offset:         112
        .size:           8
        .value_kind:     hidden_global_offset_y
      - .offset:         120
        .size:           8
        .value_kind:     hidden_global_offset_z
      - .offset:         128
        .size:           2
        .value_kind:     hidden_grid_dims
      - .offset:         184
        .size:           4
        .value_kind:     hidden_dynamic_lds_size
    .group_segment_fixed_size: 0
    .kernarg_segment_align: 8
    .kernarg_segment_size: 320
    .language:       OpenCL C
    .language_version:
      - 2
      - 0
    .max_flat_workgroup_size: 1024
    .name:           _ZN12tensorrt_llm7kernels32fusedQKNormRopeKernelNTokenHeadsIN3c104HalfEfLi64ELb1ELi4EEEvPviiifPKvS6_S6_PKlii
    .private_segment_fixed_size: 0
    .sgpr_count:     23
    .sgpr_spill_count: 0
    .symbol:         _ZN12tensorrt_llm7kernels32fusedQKNormRopeKernelNTokenHeadsIN3c104HalfEfLi64ELb1ELi4EEEvPviiifPKvS6_S6_PKlii.kd
    .uniform_work_group_size: 1
    .uses_dynamic_stack: false
    .vgpr_count:     21
    .vgpr_spill_count: 0
    .wavefront_size: 32
    .workgroup_processor_mode: 1
  - .args:
      - .address_space:  global
        .offset:         0
        .size:           8
        .value_kind:     global_buffer
      - .offset:         8
        .size:           4
        .value_kind:     by_value
      - .offset:         12
        .size:           4
        .value_kind:     by_value
      - .offset:         16
        .size:           4
        .value_kind:     by_value
      - .offset:         20
        .size:           4
        .value_kind:     by_value
      - .address_space:  global
        .offset:         24
        .size:           8
        .value_kind:     global_buffer
      - .address_space:  global
        .offset:         32
        .size:           8
        .value_kind:     global_buffer
      - .address_space:  global
        .offset:         40
        .size:           8
        .value_kind:     global_buffer
      - .address_space:  global
        .offset:         48
        .size:           8
        .value_kind:     global_buffer
      - .offset:         56
        .size:           4
        .value_kind:     by_value
      - .offset:         60
        .size:           4
        .value_kind:     by_value
      - .offset:         64
        .size:           4
        .value_kind:     hidden_block_count_x
      - .offset:         68
        .size:           4
        .value_kind:     hidden_block_count_y
      - .offset:         72
        .size:           4
        .value_kind:     hidden_block_count_z
      - .offset:         76
        .size:           2
        .value_kind:     hidden_group_size_x
      - .offset:         78
        .size:           2
        .value_kind:     hidden_group_size_y
      - .offset:         80
        .size:           2
        .value_kind:     hidden_group_size_z
      - .offset:         82
        .size:           2
        .value_kind:     hidden_remainder_x
      - .offset:         84
        .size:           2
        .value_kind:     hidden_remainder_y
      - .offset:         86
        .size:           2
        .value_kind:     hidden_remainder_z
      - .offset:         104
        .size:           8
        .value_kind:     hidden_global_offset_x
      - .offset:         112
        .size:           8
        .value_kind:     hidden_global_offset_y
      - .offset:         120
        .size:           8
        .value_kind:     hidden_global_offset_z
      - .offset:         128
        .size:           2
        .value_kind:     hidden_grid_dims
      - .offset:         184
        .size:           4
        .value_kind:     hidden_dynamic_lds_size
    .group_segment_fixed_size: 0
    .kernarg_segment_align: 8
    .kernarg_segment_size: 320
    .language:       OpenCL C
    .language_version:
      - 2
      - 0
    .max_flat_workgroup_size: 1024
    .name:           _ZN12tensorrt_llm7kernels32fusedQKNormRopeKernelNTokenHeadsIN3c104HalfEfLi64ELb0ELi4EEEvPviiifPKvS6_S6_PKlii
    .private_segment_fixed_size: 0
    .sgpr_count:     23
    .sgpr_spill_count: 0
    .symbol:         _ZN12tensorrt_llm7kernels32fusedQKNormRopeKernelNTokenHeadsIN3c104HalfEfLi64ELb0ELi4EEEvPviiifPKvS6_S6_PKlii.kd
    .uniform_work_group_size: 1
    .uses_dynamic_stack: false
    .vgpr_count:     26
    .vgpr_spill_count: 0
    .wavefront_size: 32
    .workgroup_processor_mode: 1
  - .args:
      - .address_space:  global
        .offset:         0
        .size:           8
        .value_kind:     global_buffer
      - .offset:         8
        .size:           4
        .value_kind:     by_value
      - .offset:         12
        .size:           4
        .value_kind:     by_value
      - .offset:         16
        .size:           4
        .value_kind:     by_value
      - .offset:         20
        .size:           4
        .value_kind:     by_value
      - .address_space:  global
        .offset:         24
        .size:           8
        .value_kind:     global_buffer
      - .address_space:  global
        .offset:         32
        .size:           8
        .value_kind:     global_buffer
      - .address_space:  global
        .offset:         40
        .size:           8
        .value_kind:     global_buffer
      - .address_space:  global
        .offset:         48
        .size:           8
        .value_kind:     global_buffer
      - .offset:         56
        .size:           4
        .value_kind:     by_value
      - .offset:         60
        .size:           4
        .value_kind:     by_value
      - .offset:         64
        .size:           4
        .value_kind:     hidden_block_count_x
      - .offset:         68
        .size:           4
        .value_kind:     hidden_block_count_y
      - .offset:         72
        .size:           4
        .value_kind:     hidden_block_count_z
      - .offset:         76
        .size:           2
        .value_kind:     hidden_group_size_x
      - .offset:         78
        .size:           2
        .value_kind:     hidden_group_size_y
      - .offset:         80
        .size:           2
        .value_kind:     hidden_group_size_z
      - .offset:         82
        .size:           2
        .value_kind:     hidden_remainder_x
      - .offset:         84
        .size:           2
        .value_kind:     hidden_remainder_y
      - .offset:         86
        .size:           2
        .value_kind:     hidden_remainder_z
      - .offset:         104
        .size:           8
        .value_kind:     hidden_global_offset_x
      - .offset:         112
        .size:           8
        .value_kind:     hidden_global_offset_y
      - .offset:         120
        .size:           8
        .value_kind:     hidden_global_offset_z
      - .offset:         128
        .size:           2
        .value_kind:     hidden_grid_dims
      - .offset:         184
        .size:           4
        .value_kind:     hidden_dynamic_lds_size
    .group_segment_fixed_size: 0
    .kernarg_segment_align: 8
    .kernarg_segment_size: 320
    .language:       OpenCL C
    .language_version:
      - 2
      - 0
    .max_flat_workgroup_size: 1024
    .name:           _ZN12tensorrt_llm7kernels32fusedQKNormRopeKernelNTokenHeadsIN3c104HalfEfLi128ELb1ELi4EEEvPviiifPKvS6_S6_PKlii
    .private_segment_fixed_size: 0
    .sgpr_count:     23
    .sgpr_spill_count: 0
    .symbol:         _ZN12tensorrt_llm7kernels32fusedQKNormRopeKernelNTokenHeadsIN3c104HalfEfLi128ELb1ELi4EEEvPviiifPKvS6_S6_PKlii.kd
    .uniform_work_group_size: 1
    .uses_dynamic_stack: false
    .vgpr_count:     29
    .vgpr_spill_count: 0
    .wavefront_size: 32
    .workgroup_processor_mode: 1
  - .args:
      - .address_space:  global
        .offset:         0
        .size:           8
        .value_kind:     global_buffer
      - .offset:         8
        .size:           4
        .value_kind:     by_value
      - .offset:         12
        .size:           4
        .value_kind:     by_value
      - .offset:         16
        .size:           4
        .value_kind:     by_value
      - .offset:         20
        .size:           4
        .value_kind:     by_value
      - .address_space:  global
        .offset:         24
        .size:           8
        .value_kind:     global_buffer
      - .address_space:  global
        .offset:         32
        .size:           8
        .value_kind:     global_buffer
      - .address_space:  global
        .offset:         40
        .size:           8
        .value_kind:     global_buffer
      - .address_space:  global
        .offset:         48
        .size:           8
        .value_kind:     global_buffer
      - .offset:         56
        .size:           4
        .value_kind:     by_value
      - .offset:         60
        .size:           4
        .value_kind:     by_value
      - .offset:         64
        .size:           4
        .value_kind:     hidden_block_count_x
      - .offset:         68
        .size:           4
        .value_kind:     hidden_block_count_y
      - .offset:         72
        .size:           4
        .value_kind:     hidden_block_count_z
      - .offset:         76
        .size:           2
        .value_kind:     hidden_group_size_x
      - .offset:         78
        .size:           2
        .value_kind:     hidden_group_size_y
      - .offset:         80
        .size:           2
        .value_kind:     hidden_group_size_z
      - .offset:         82
        .size:           2
        .value_kind:     hidden_remainder_x
      - .offset:         84
        .size:           2
        .value_kind:     hidden_remainder_y
      - .offset:         86
        .size:           2
        .value_kind:     hidden_remainder_z
      - .offset:         104
        .size:           8
        .value_kind:     hidden_global_offset_x
      - .offset:         112
        .size:           8
        .value_kind:     hidden_global_offset_y
      - .offset:         120
        .size:           8
        .value_kind:     hidden_global_offset_z
      - .offset:         128
        .size:           2
        .value_kind:     hidden_grid_dims
      - .offset:         184
        .size:           4
        .value_kind:     hidden_dynamic_lds_size
    .group_segment_fixed_size: 0
    .kernarg_segment_align: 8
    .kernarg_segment_size: 320
    .language:       OpenCL C
    .language_version:
      - 2
      - 0
    .max_flat_workgroup_size: 1024
    .name:           _ZN12tensorrt_llm7kernels32fusedQKNormRopeKernelNTokenHeadsIN3c104HalfEfLi128ELb0ELi4EEEvPviiifPKvS6_S6_PKlii
    .private_segment_fixed_size: 0
    .sgpr_count:     23
    .sgpr_spill_count: 0
    .symbol:         _ZN12tensorrt_llm7kernels32fusedQKNormRopeKernelNTokenHeadsIN3c104HalfEfLi128ELb0ELi4EEEvPviiifPKvS6_S6_PKlii.kd
    .uniform_work_group_size: 1
    .uses_dynamic_stack: false
    .vgpr_count:     42
    .vgpr_spill_count: 0
    .wavefront_size: 32
    .workgroup_processor_mode: 1
  - .args:
      - .address_space:  global
        .offset:         0
        .size:           8
        .value_kind:     global_buffer
      - .offset:         8
        .size:           4
        .value_kind:     by_value
      - .offset:         12
        .size:           4
        .value_kind:     by_value
      - .offset:         16
        .size:           4
        .value_kind:     by_value
      - .offset:         20
        .size:           4
        .value_kind:     by_value
      - .address_space:  global
        .offset:         24
        .size:           8
        .value_kind:     global_buffer
      - .address_space:  global
        .offset:         32
        .size:           8
        .value_kind:     global_buffer
      - .address_space:  global
        .offset:         40
        .size:           8
        .value_kind:     global_buffer
      - .address_space:  global
        .offset:         48
        .size:           8
        .value_kind:     global_buffer
      - .offset:         56
        .size:           4
        .value_kind:     by_value
      - .offset:         60
        .size:           4
        .value_kind:     by_value
      - .offset:         64
        .size:           4
        .value_kind:     hidden_block_count_x
      - .offset:         68
        .size:           4
        .value_kind:     hidden_block_count_y
      - .offset:         72
        .size:           4
        .value_kind:     hidden_block_count_z
      - .offset:         76
        .size:           2
        .value_kind:     hidden_group_size_x
      - .offset:         78
        .size:           2
        .value_kind:     hidden_group_size_y
      - .offset:         80
        .size:           2
        .value_kind:     hidden_group_size_z
      - .offset:         82
        .size:           2
        .value_kind:     hidden_remainder_x
      - .offset:         84
        .size:           2
        .value_kind:     hidden_remainder_y
      - .offset:         86
        .size:           2
        .value_kind:     hidden_remainder_z
      - .offset:         104
        .size:           8
        .value_kind:     hidden_global_offset_x
      - .offset:         112
        .size:           8
        .value_kind:     hidden_global_offset_y
      - .offset:         120
        .size:           8
        .value_kind:     hidden_global_offset_z
      - .offset:         128
        .size:           2
        .value_kind:     hidden_grid_dims
      - .offset:         184
        .size:           4
        .value_kind:     hidden_dynamic_lds_size
    .group_segment_fixed_size: 0
    .kernarg_segment_align: 8
    .kernarg_segment_size: 320
    .language:       OpenCL C
    .language_version:
      - 2
      - 0
    .max_flat_workgroup_size: 1024
    .name:           _ZN12tensorrt_llm7kernels32fusedQKNormRopeKernelNTokenHeadsIN3c104HalfEfLi256ELb1ELi4EEEvPviiifPKvS6_S6_PKlii
    .private_segment_fixed_size: 0
    .sgpr_count:     23
    .sgpr_spill_count: 0
    .symbol:         _ZN12tensorrt_llm7kernels32fusedQKNormRopeKernelNTokenHeadsIN3c104HalfEfLi256ELb1ELi4EEEvPviiifPKvS6_S6_PKlii.kd
    .uniform_work_group_size: 1
    .uses_dynamic_stack: false
    .vgpr_count:     47
    .vgpr_spill_count: 0
    .wavefront_size: 32
    .workgroup_processor_mode: 1
  - .args:
      - .address_space:  global
        .offset:         0
        .size:           8
        .value_kind:     global_buffer
      - .offset:         8
        .size:           4
        .value_kind:     by_value
      - .offset:         12
        .size:           4
        .value_kind:     by_value
      - .offset:         16
        .size:           4
        .value_kind:     by_value
      - .offset:         20
        .size:           4
        .value_kind:     by_value
      - .address_space:  global
        .offset:         24
        .size:           8
        .value_kind:     global_buffer
      - .address_space:  global
        .offset:         32
        .size:           8
        .value_kind:     global_buffer
      - .address_space:  global
        .offset:         40
        .size:           8
        .value_kind:     global_buffer
      - .address_space:  global
        .offset:         48
        .size:           8
        .value_kind:     global_buffer
      - .offset:         56
        .size:           4
        .value_kind:     by_value
      - .offset:         60
        .size:           4
        .value_kind:     by_value
      - .offset:         64
        .size:           4
        .value_kind:     hidden_block_count_x
      - .offset:         68
        .size:           4
        .value_kind:     hidden_block_count_y
      - .offset:         72
        .size:           4
        .value_kind:     hidden_block_count_z
      - .offset:         76
        .size:           2
        .value_kind:     hidden_group_size_x
      - .offset:         78
        .size:           2
        .value_kind:     hidden_group_size_y
      - .offset:         80
        .size:           2
        .value_kind:     hidden_group_size_z
      - .offset:         82
        .size:           2
        .value_kind:     hidden_remainder_x
      - .offset:         84
        .size:           2
        .value_kind:     hidden_remainder_y
      - .offset:         86
        .size:           2
        .value_kind:     hidden_remainder_z
      - .offset:         104
        .size:           8
        .value_kind:     hidden_global_offset_x
      - .offset:         112
        .size:           8
        .value_kind:     hidden_global_offset_y
      - .offset:         120
        .size:           8
        .value_kind:     hidden_global_offset_z
      - .offset:         128
        .size:           2
        .value_kind:     hidden_grid_dims
      - .offset:         184
        .size:           4
        .value_kind:     hidden_dynamic_lds_size
    .group_segment_fixed_size: 0
    .kernarg_segment_align: 8
    .kernarg_segment_size: 320
    .language:       OpenCL C
    .language_version:
      - 2
      - 0
    .max_flat_workgroup_size: 1024
    .name:           _ZN12tensorrt_llm7kernels32fusedQKNormRopeKernelNTokenHeadsIN3c104HalfEfLi256ELb0ELi4EEEvPviiifPKvS6_S6_PKlii
    .private_segment_fixed_size: 0
    .sgpr_count:     23
    .sgpr_spill_count: 0
    .symbol:         _ZN12tensorrt_llm7kernels32fusedQKNormRopeKernelNTokenHeadsIN3c104HalfEfLi256ELb0ELi4EEEvPviiifPKvS6_S6_PKlii.kd
    .uniform_work_group_size: 1
    .uses_dynamic_stack: false
    .vgpr_count:     74
    .vgpr_spill_count: 0
    .wavefront_size: 32
    .workgroup_processor_mode: 1
  - .args:
      - .address_space:  global
        .offset:         0
        .size:           8
        .value_kind:     global_buffer
      - .offset:         8
        .size:           4
        .value_kind:     by_value
      - .offset:         12
        .size:           4
        .value_kind:     by_value
      - .offset:         16
        .size:           4
        .value_kind:     by_value
      - .offset:         20
        .size:           4
        .value_kind:     by_value
      - .address_space:  global
        .offset:         24
        .size:           8
        .value_kind:     global_buffer
      - .address_space:  global
        .offset:         32
        .size:           8
        .value_kind:     global_buffer
      - .address_space:  global
        .offset:         40
        .size:           8
        .value_kind:     global_buffer
      - .address_space:  global
        .offset:         48
        .size:           8
        .value_kind:     global_buffer
      - .offset:         56
        .size:           4
        .value_kind:     by_value
      - .offset:         60
        .size:           4
        .value_kind:     by_value
      - .offset:         64
        .size:           4
        .value_kind:     hidden_block_count_x
      - .offset:         68
        .size:           4
        .value_kind:     hidden_block_count_y
      - .offset:         72
        .size:           4
        .value_kind:     hidden_block_count_z
      - .offset:         76
        .size:           2
        .value_kind:     hidden_group_size_x
      - .offset:         78
        .size:           2
        .value_kind:     hidden_group_size_y
      - .offset:         80
        .size:           2
        .value_kind:     hidden_group_size_z
      - .offset:         82
        .size:           2
        .value_kind:     hidden_remainder_x
      - .offset:         84
        .size:           2
        .value_kind:     hidden_remainder_y
      - .offset:         86
        .size:           2
        .value_kind:     hidden_remainder_z
      - .offset:         104
        .size:           8
        .value_kind:     hidden_global_offset_x
      - .offset:         112
        .size:           8
        .value_kind:     hidden_global_offset_y
      - .offset:         120
        .size:           8
        .value_kind:     hidden_global_offset_z
      - .offset:         128
        .size:           2
        .value_kind:     hidden_grid_dims
      - .offset:         184
        .size:           4
        .value_kind:     hidden_dynamic_lds_size
    .group_segment_fixed_size: 0
    .kernarg_segment_align: 8
    .kernarg_segment_size: 320
    .language:       OpenCL C
    .language_version:
      - 2
      - 0
    .max_flat_workgroup_size: 1024
    .name:           _ZN12tensorrt_llm7kernels32fusedQKNormRopeKernelNTokenHeadsIN3c104HalfEfLi64ELb1ELi8EEEvPviiifPKvS6_S6_PKlii
    .private_segment_fixed_size: 0
    .sgpr_count:     23
    .sgpr_spill_count: 0
    .symbol:         _ZN12tensorrt_llm7kernels32fusedQKNormRopeKernelNTokenHeadsIN3c104HalfEfLi64ELb1ELi8EEEvPviiifPKvS6_S6_PKlii.kd
    .uniform_work_group_size: 1
    .uses_dynamic_stack: false
    .vgpr_count:     21
    .vgpr_spill_count: 0
    .wavefront_size: 32
    .workgroup_processor_mode: 1
  - .args:
      - .address_space:  global
        .offset:         0
        .size:           8
        .value_kind:     global_buffer
      - .offset:         8
        .size:           4
        .value_kind:     by_value
      - .offset:         12
        .size:           4
        .value_kind:     by_value
      - .offset:         16
        .size:           4
        .value_kind:     by_value
      - .offset:         20
        .size:           4
        .value_kind:     by_value
      - .address_space:  global
        .offset:         24
        .size:           8
        .value_kind:     global_buffer
      - .address_space:  global
        .offset:         32
        .size:           8
        .value_kind:     global_buffer
      - .address_space:  global
        .offset:         40
        .size:           8
        .value_kind:     global_buffer
      - .address_space:  global
        .offset:         48
        .size:           8
        .value_kind:     global_buffer
      - .offset:         56
        .size:           4
        .value_kind:     by_value
      - .offset:         60
        .size:           4
        .value_kind:     by_value
      - .offset:         64
        .size:           4
        .value_kind:     hidden_block_count_x
      - .offset:         68
        .size:           4
        .value_kind:     hidden_block_count_y
      - .offset:         72
        .size:           4
        .value_kind:     hidden_block_count_z
      - .offset:         76
        .size:           2
        .value_kind:     hidden_group_size_x
      - .offset:         78
        .size:           2
        .value_kind:     hidden_group_size_y
      - .offset:         80
        .size:           2
        .value_kind:     hidden_group_size_z
      - .offset:         82
        .size:           2
        .value_kind:     hidden_remainder_x
      - .offset:         84
        .size:           2
        .value_kind:     hidden_remainder_y
      - .offset:         86
        .size:           2
        .value_kind:     hidden_remainder_z
      - .offset:         104
        .size:           8
        .value_kind:     hidden_global_offset_x
      - .offset:         112
        .size:           8
        .value_kind:     hidden_global_offset_y
      - .offset:         120
        .size:           8
        .value_kind:     hidden_global_offset_z
      - .offset:         128
        .size:           2
        .value_kind:     hidden_grid_dims
      - .offset:         184
        .size:           4
        .value_kind:     hidden_dynamic_lds_size
    .group_segment_fixed_size: 0
    .kernarg_segment_align: 8
    .kernarg_segment_size: 320
    .language:       OpenCL C
    .language_version:
      - 2
      - 0
    .max_flat_workgroup_size: 1024
    .name:           _ZN12tensorrt_llm7kernels32fusedQKNormRopeKernelNTokenHeadsIN3c104HalfEfLi64ELb0ELi8EEEvPviiifPKvS6_S6_PKlii
    .private_segment_fixed_size: 0
    .sgpr_count:     23
    .sgpr_spill_count: 0
    .symbol:         _ZN12tensorrt_llm7kernels32fusedQKNormRopeKernelNTokenHeadsIN3c104HalfEfLi64ELb0ELi8EEEvPviiifPKvS6_S6_PKlii.kd
    .uniform_work_group_size: 1
    .uses_dynamic_stack: false
    .vgpr_count:     26
    .vgpr_spill_count: 0
    .wavefront_size: 32
    .workgroup_processor_mode: 1
  - .args:
      - .address_space:  global
        .offset:         0
        .size:           8
        .value_kind:     global_buffer
      - .offset:         8
        .size:           4
        .value_kind:     by_value
      - .offset:         12
        .size:           4
        .value_kind:     by_value
      - .offset:         16
        .size:           4
        .value_kind:     by_value
      - .offset:         20
        .size:           4
        .value_kind:     by_value
      - .address_space:  global
        .offset:         24
        .size:           8
        .value_kind:     global_buffer
      - .address_space:  global
        .offset:         32
        .size:           8
        .value_kind:     global_buffer
      - .address_space:  global
        .offset:         40
        .size:           8
        .value_kind:     global_buffer
      - .address_space:  global
        .offset:         48
        .size:           8
        .value_kind:     global_buffer
      - .offset:         56
        .size:           4
        .value_kind:     by_value
      - .offset:         60
        .size:           4
        .value_kind:     by_value
      - .offset:         64
        .size:           4
        .value_kind:     hidden_block_count_x
      - .offset:         68
        .size:           4
        .value_kind:     hidden_block_count_y
      - .offset:         72
        .size:           4
        .value_kind:     hidden_block_count_z
      - .offset:         76
        .size:           2
        .value_kind:     hidden_group_size_x
      - .offset:         78
        .size:           2
        .value_kind:     hidden_group_size_y
      - .offset:         80
        .size:           2
        .value_kind:     hidden_group_size_z
      - .offset:         82
        .size:           2
        .value_kind:     hidden_remainder_x
      - .offset:         84
        .size:           2
        .value_kind:     hidden_remainder_y
      - .offset:         86
        .size:           2
        .value_kind:     hidden_remainder_z
      - .offset:         104
        .size:           8
        .value_kind:     hidden_global_offset_x
      - .offset:         112
        .size:           8
        .value_kind:     hidden_global_offset_y
      - .offset:         120
        .size:           8
        .value_kind:     hidden_global_offset_z
      - .offset:         128
        .size:           2
        .value_kind:     hidden_grid_dims
      - .offset:         184
        .size:           4
        .value_kind:     hidden_dynamic_lds_size
    .group_segment_fixed_size: 0
    .kernarg_segment_align: 8
    .kernarg_segment_size: 320
    .language:       OpenCL C
    .language_version:
      - 2
      - 0
    .max_flat_workgroup_size: 1024
    .name:           _ZN12tensorrt_llm7kernels32fusedQKNormRopeKernelNTokenHeadsIN3c104HalfEfLi128ELb1ELi8EEEvPviiifPKvS6_S6_PKlii
    .private_segment_fixed_size: 0
    .sgpr_count:     23
    .sgpr_spill_count: 0
    .symbol:         _ZN12tensorrt_llm7kernels32fusedQKNormRopeKernelNTokenHeadsIN3c104HalfEfLi128ELb1ELi8EEEvPviiifPKvS6_S6_PKlii.kd
    .uniform_work_group_size: 1
    .uses_dynamic_stack: false
    .vgpr_count:     29
    .vgpr_spill_count: 0
    .wavefront_size: 32
    .workgroup_processor_mode: 1
  - .args:
      - .address_space:  global
        .offset:         0
        .size:           8
        .value_kind:     global_buffer
      - .offset:         8
        .size:           4
        .value_kind:     by_value
      - .offset:         12
        .size:           4
        .value_kind:     by_value
      - .offset:         16
        .size:           4
        .value_kind:     by_value
      - .offset:         20
        .size:           4
        .value_kind:     by_value
      - .address_space:  global
        .offset:         24
        .size:           8
        .value_kind:     global_buffer
      - .address_space:  global
        .offset:         32
        .size:           8
        .value_kind:     global_buffer
      - .address_space:  global
        .offset:         40
        .size:           8
        .value_kind:     global_buffer
      - .address_space:  global
        .offset:         48
        .size:           8
        .value_kind:     global_buffer
      - .offset:         56
        .size:           4
        .value_kind:     by_value
      - .offset:         60
        .size:           4
        .value_kind:     by_value
      - .offset:         64
        .size:           4
        .value_kind:     hidden_block_count_x
      - .offset:         68
        .size:           4
        .value_kind:     hidden_block_count_y
      - .offset:         72
        .size:           4
        .value_kind:     hidden_block_count_z
      - .offset:         76
        .size:           2
        .value_kind:     hidden_group_size_x
      - .offset:         78
        .size:           2
        .value_kind:     hidden_group_size_y
      - .offset:         80
        .size:           2
        .value_kind:     hidden_group_size_z
      - .offset:         82
        .size:           2
        .value_kind:     hidden_remainder_x
      - .offset:         84
        .size:           2
        .value_kind:     hidden_remainder_y
      - .offset:         86
        .size:           2
        .value_kind:     hidden_remainder_z
      - .offset:         104
        .size:           8
        .value_kind:     hidden_global_offset_x
      - .offset:         112
        .size:           8
        .value_kind:     hidden_global_offset_y
      - .offset:         120
        .size:           8
        .value_kind:     hidden_global_offset_z
      - .offset:         128
        .size:           2
        .value_kind:     hidden_grid_dims
      - .offset:         184
        .size:           4
        .value_kind:     hidden_dynamic_lds_size
    .group_segment_fixed_size: 0
    .kernarg_segment_align: 8
    .kernarg_segment_size: 320
    .language:       OpenCL C
    .language_version:
      - 2
      - 0
    .max_flat_workgroup_size: 1024
    .name:           _ZN12tensorrt_llm7kernels32fusedQKNormRopeKernelNTokenHeadsIN3c104HalfEfLi128ELb0ELi8EEEvPviiifPKvS6_S6_PKlii
    .private_segment_fixed_size: 0
    .sgpr_count:     23
    .sgpr_spill_count: 0
    .symbol:         _ZN12tensorrt_llm7kernels32fusedQKNormRopeKernelNTokenHeadsIN3c104HalfEfLi128ELb0ELi8EEEvPviiifPKvS6_S6_PKlii.kd
    .uniform_work_group_size: 1
    .uses_dynamic_stack: false
    .vgpr_count:     42
    .vgpr_spill_count: 0
    .wavefront_size: 32
    .workgroup_processor_mode: 1
  - .args:
      - .address_space:  global
        .offset:         0
        .size:           8
        .value_kind:     global_buffer
      - .offset:         8
        .size:           4
        .value_kind:     by_value
      - .offset:         12
        .size:           4
        .value_kind:     by_value
      - .offset:         16
        .size:           4
        .value_kind:     by_value
      - .offset:         20
        .size:           4
        .value_kind:     by_value
      - .address_space:  global
        .offset:         24
        .size:           8
        .value_kind:     global_buffer
      - .address_space:  global
        .offset:         32
        .size:           8
        .value_kind:     global_buffer
      - .address_space:  global
        .offset:         40
        .size:           8
        .value_kind:     global_buffer
      - .address_space:  global
        .offset:         48
        .size:           8
        .value_kind:     global_buffer
      - .offset:         56
        .size:           4
        .value_kind:     by_value
      - .offset:         60
        .size:           4
        .value_kind:     by_value
      - .offset:         64
        .size:           4
        .value_kind:     hidden_block_count_x
      - .offset:         68
        .size:           4
        .value_kind:     hidden_block_count_y
      - .offset:         72
        .size:           4
        .value_kind:     hidden_block_count_z
      - .offset:         76
        .size:           2
        .value_kind:     hidden_group_size_x
      - .offset:         78
        .size:           2
        .value_kind:     hidden_group_size_y
      - .offset:         80
        .size:           2
        .value_kind:     hidden_group_size_z
      - .offset:         82
        .size:           2
        .value_kind:     hidden_remainder_x
      - .offset:         84
        .size:           2
        .value_kind:     hidden_remainder_y
      - .offset:         86
        .size:           2
        .value_kind:     hidden_remainder_z
      - .offset:         104
        .size:           8
        .value_kind:     hidden_global_offset_x
      - .offset:         112
        .size:           8
        .value_kind:     hidden_global_offset_y
      - .offset:         120
        .size:           8
        .value_kind:     hidden_global_offset_z
      - .offset:         128
        .size:           2
        .value_kind:     hidden_grid_dims
      - .offset:         184
        .size:           4
        .value_kind:     hidden_dynamic_lds_size
    .group_segment_fixed_size: 0
    .kernarg_segment_align: 8
    .kernarg_segment_size: 320
    .language:       OpenCL C
    .language_version:
      - 2
      - 0
    .max_flat_workgroup_size: 1024
    .name:           _ZN12tensorrt_llm7kernels32fusedQKNormRopeKernelNTokenHeadsIN3c104HalfEfLi256ELb1ELi8EEEvPviiifPKvS6_S6_PKlii
    .private_segment_fixed_size: 0
    .sgpr_count:     23
    .sgpr_spill_count: 0
    .symbol:         _ZN12tensorrt_llm7kernels32fusedQKNormRopeKernelNTokenHeadsIN3c104HalfEfLi256ELb1ELi8EEEvPviiifPKvS6_S6_PKlii.kd
    .uniform_work_group_size: 1
    .uses_dynamic_stack: false
    .vgpr_count:     47
    .vgpr_spill_count: 0
    .wavefront_size: 32
    .workgroup_processor_mode: 1
  - .args:
      - .address_space:  global
        .offset:         0
        .size:           8
        .value_kind:     global_buffer
      - .offset:         8
        .size:           4
        .value_kind:     by_value
      - .offset:         12
        .size:           4
        .value_kind:     by_value
      - .offset:         16
        .size:           4
        .value_kind:     by_value
      - .offset:         20
        .size:           4
        .value_kind:     by_value
      - .address_space:  global
        .offset:         24
        .size:           8
        .value_kind:     global_buffer
      - .address_space:  global
        .offset:         32
        .size:           8
        .value_kind:     global_buffer
      - .address_space:  global
        .offset:         40
        .size:           8
        .value_kind:     global_buffer
      - .address_space:  global
        .offset:         48
        .size:           8
        .value_kind:     global_buffer
      - .offset:         56
        .size:           4
        .value_kind:     by_value
      - .offset:         60
        .size:           4
        .value_kind:     by_value
      - .offset:         64
        .size:           4
        .value_kind:     hidden_block_count_x
      - .offset:         68
        .size:           4
        .value_kind:     hidden_block_count_y
      - .offset:         72
        .size:           4
        .value_kind:     hidden_block_count_z
      - .offset:         76
        .size:           2
        .value_kind:     hidden_group_size_x
      - .offset:         78
        .size:           2
        .value_kind:     hidden_group_size_y
      - .offset:         80
        .size:           2
        .value_kind:     hidden_group_size_z
      - .offset:         82
        .size:           2
        .value_kind:     hidden_remainder_x
      - .offset:         84
        .size:           2
        .value_kind:     hidden_remainder_y
      - .offset:         86
        .size:           2
        .value_kind:     hidden_remainder_z
      - .offset:         104
        .size:           8
        .value_kind:     hidden_global_offset_x
      - .offset:         112
        .size:           8
        .value_kind:     hidden_global_offset_y
      - .offset:         120
        .size:           8
        .value_kind:     hidden_global_offset_z
      - .offset:         128
        .size:           2
        .value_kind:     hidden_grid_dims
      - .offset:         184
        .size:           4
        .value_kind:     hidden_dynamic_lds_size
    .group_segment_fixed_size: 0
    .kernarg_segment_align: 8
    .kernarg_segment_size: 320
    .language:       OpenCL C
    .language_version:
      - 2
      - 0
    .max_flat_workgroup_size: 1024
    .name:           _ZN12tensorrt_llm7kernels32fusedQKNormRopeKernelNTokenHeadsIN3c104HalfEfLi256ELb0ELi8EEEvPviiifPKvS6_S6_PKlii
    .private_segment_fixed_size: 0
    .sgpr_count:     23
    .sgpr_spill_count: 0
    .symbol:         _ZN12tensorrt_llm7kernels32fusedQKNormRopeKernelNTokenHeadsIN3c104HalfEfLi256ELb0ELi8EEEvPviiifPKvS6_S6_PKlii.kd
    .uniform_work_group_size: 1
    .uses_dynamic_stack: false
    .vgpr_count:     74
    .vgpr_spill_count: 0
    .wavefront_size: 32
    .workgroup_processor_mode: 1
  - .args:
      - .address_space:  global
        .offset:         0
        .size:           8
        .value_kind:     global_buffer
      - .offset:         8
        .size:           4
        .value_kind:     by_value
      - .offset:         12
        .size:           4
        .value_kind:     by_value
      - .offset:         16
        .size:           4
        .value_kind:     by_value
      - .offset:         20
        .size:           4
        .value_kind:     by_value
      - .address_space:  global
        .offset:         24
        .size:           8
        .value_kind:     global_buffer
      - .address_space:  global
        .offset:         32
        .size:           8
        .value_kind:     global_buffer
      - .address_space:  global
        .offset:         40
        .size:           8
        .value_kind:     global_buffer
      - .address_space:  global
        .offset:         48
        .size:           8
        .value_kind:     global_buffer
      - .offset:         56
        .size:           4
        .value_kind:     by_value
      - .offset:         60
        .size:           4
        .value_kind:     by_value
      - .offset:         64
        .size:           4
        .value_kind:     hidden_block_count_x
      - .offset:         68
        .size:           4
        .value_kind:     hidden_block_count_y
      - .offset:         72
        .size:           4
        .value_kind:     hidden_block_count_z
      - .offset:         76
        .size:           2
        .value_kind:     hidden_group_size_x
      - .offset:         78
        .size:           2
        .value_kind:     hidden_group_size_y
      - .offset:         80
        .size:           2
        .value_kind:     hidden_group_size_z
      - .offset:         82
        .size:           2
        .value_kind:     hidden_remainder_x
      - .offset:         84
        .size:           2
        .value_kind:     hidden_remainder_y
      - .offset:         86
        .size:           2
        .value_kind:     hidden_remainder_z
      - .offset:         104
        .size:           8
        .value_kind:     hidden_global_offset_x
      - .offset:         112
        .size:           8
        .value_kind:     hidden_global_offset_y
      - .offset:         120
        .size:           8
        .value_kind:     hidden_global_offset_z
      - .offset:         128
        .size:           2
        .value_kind:     hidden_grid_dims
    .group_segment_fixed_size: 0
    .kernarg_segment_align: 8
    .kernarg_segment_size: 320
    .language:       OpenCL C
    .language_version:
      - 2
      - 0
    .max_flat_workgroup_size: 1024
    .name:           _ZN12tensorrt_llm7kernels21fusedQKNormRopeKernelIN3c104HalfES3_Li64ELb1EEEvPviiifPKvS6_S6_PKlii
    .private_segment_fixed_size: 0
    .sgpr_count:     18
    .sgpr_spill_count: 0
    .symbol:         _ZN12tensorrt_llm7kernels21fusedQKNormRopeKernelIN3c104HalfES3_Li64ELb1EEEvPviiifPKvS6_S6_PKlii.kd
    .uniform_work_group_size: 1
    .uses_dynamic_stack: false
    .vgpr_count:     12
    .vgpr_spill_count: 0
    .wavefront_size: 32
    .workgroup_processor_mode: 1
  - .args:
      - .address_space:  global
        .offset:         0
        .size:           8
        .value_kind:     global_buffer
      - .offset:         8
        .size:           4
        .value_kind:     by_value
      - .offset:         12
        .size:           4
        .value_kind:     by_value
      - .offset:         16
        .size:           4
        .value_kind:     by_value
      - .offset:         20
        .size:           4
        .value_kind:     by_value
      - .address_space:  global
        .offset:         24
        .size:           8
        .value_kind:     global_buffer
      - .address_space:  global
        .offset:         32
        .size:           8
        .value_kind:     global_buffer
      - .address_space:  global
        .offset:         40
        .size:           8
        .value_kind:     global_buffer
      - .address_space:  global
        .offset:         48
        .size:           8
        .value_kind:     global_buffer
      - .offset:         56
        .size:           4
        .value_kind:     by_value
      - .offset:         60
        .size:           4
        .value_kind:     by_value
      - .offset:         64
        .size:           4
        .value_kind:     hidden_block_count_x
      - .offset:         68
        .size:           4
        .value_kind:     hidden_block_count_y
      - .offset:         72
        .size:           4
        .value_kind:     hidden_block_count_z
      - .offset:         76
        .size:           2
        .value_kind:     hidden_group_size_x
      - .offset:         78
        .size:           2
        .value_kind:     hidden_group_size_y
      - .offset:         80
        .size:           2
        .value_kind:     hidden_group_size_z
      - .offset:         82
        .size:           2
        .value_kind:     hidden_remainder_x
      - .offset:         84
        .size:           2
        .value_kind:     hidden_remainder_y
      - .offset:         86
        .size:           2
        .value_kind:     hidden_remainder_z
      - .offset:         104
        .size:           8
        .value_kind:     hidden_global_offset_x
      - .offset:         112
        .size:           8
        .value_kind:     hidden_global_offset_y
      - .offset:         120
        .size:           8
        .value_kind:     hidden_global_offset_z
      - .offset:         128
        .size:           2
        .value_kind:     hidden_grid_dims
    .group_segment_fixed_size: 0
    .kernarg_segment_align: 8
    .kernarg_segment_size: 320
    .language:       OpenCL C
    .language_version:
      - 2
      - 0
    .max_flat_workgroup_size: 1024
    .name:           _ZN12tensorrt_llm7kernels21fusedQKNormRopeKernelIN3c104HalfES3_Li64ELb0EEEvPviiifPKvS6_S6_PKlii
    .private_segment_fixed_size: 0
    .sgpr_count:     18
    .sgpr_spill_count: 0
    .symbol:         _ZN12tensorrt_llm7kernels21fusedQKNormRopeKernelIN3c104HalfES3_Li64ELb0EEEvPviiifPKvS6_S6_PKlii.kd
    .uniform_work_group_size: 1
    .uses_dynamic_stack: false
    .vgpr_count:     16
    .vgpr_spill_count: 0
    .wavefront_size: 32
    .workgroup_processor_mode: 1
  - .args:
      - .address_space:  global
        .offset:         0
        .size:           8
        .value_kind:     global_buffer
      - .offset:         8
        .size:           4
        .value_kind:     by_value
      - .offset:         12
        .size:           4
        .value_kind:     by_value
      - .offset:         16
        .size:           4
        .value_kind:     by_value
      - .offset:         20
        .size:           4
        .value_kind:     by_value
      - .address_space:  global
        .offset:         24
        .size:           8
        .value_kind:     global_buffer
      - .address_space:  global
        .offset:         32
        .size:           8
        .value_kind:     global_buffer
      - .address_space:  global
        .offset:         40
        .size:           8
        .value_kind:     global_buffer
      - .address_space:  global
        .offset:         48
        .size:           8
        .value_kind:     global_buffer
      - .offset:         56
        .size:           4
        .value_kind:     by_value
      - .offset:         60
        .size:           4
        .value_kind:     by_value
      - .offset:         64
        .size:           4
        .value_kind:     hidden_block_count_x
      - .offset:         68
        .size:           4
        .value_kind:     hidden_block_count_y
      - .offset:         72
        .size:           4
        .value_kind:     hidden_block_count_z
      - .offset:         76
        .size:           2
        .value_kind:     hidden_group_size_x
      - .offset:         78
        .size:           2
        .value_kind:     hidden_group_size_y
      - .offset:         80
        .size:           2
        .value_kind:     hidden_group_size_z
      - .offset:         82
        .size:           2
        .value_kind:     hidden_remainder_x
      - .offset:         84
        .size:           2
        .value_kind:     hidden_remainder_y
      - .offset:         86
        .size:           2
        .value_kind:     hidden_remainder_z
      - .offset:         104
        .size:           8
        .value_kind:     hidden_global_offset_x
      - .offset:         112
        .size:           8
        .value_kind:     hidden_global_offset_y
      - .offset:         120
        .size:           8
        .value_kind:     hidden_global_offset_z
      - .offset:         128
        .size:           2
        .value_kind:     hidden_grid_dims
    .group_segment_fixed_size: 0
    .kernarg_segment_align: 8
    .kernarg_segment_size: 320
    .language:       OpenCL C
    .language_version:
      - 2
      - 0
    .max_flat_workgroup_size: 1024
    .name:           _ZN12tensorrt_llm7kernels21fusedQKNormRopeKernelIN3c104HalfES3_Li128ELb1EEEvPviiifPKvS6_S6_PKlii
    .private_segment_fixed_size: 0
    .sgpr_count:     18
    .sgpr_spill_count: 0
    .symbol:         _ZN12tensorrt_llm7kernels21fusedQKNormRopeKernelIN3c104HalfES3_Li128ELb1EEEvPviiifPKvS6_S6_PKlii.kd
    .uniform_work_group_size: 1
    .uses_dynamic_stack: false
    .vgpr_count:     15
    .vgpr_spill_count: 0
    .wavefront_size: 32
    .workgroup_processor_mode: 1
  - .args:
      - .address_space:  global
        .offset:         0
        .size:           8
        .value_kind:     global_buffer
      - .offset:         8
        .size:           4
        .value_kind:     by_value
      - .offset:         12
        .size:           4
        .value_kind:     by_value
      - .offset:         16
        .size:           4
        .value_kind:     by_value
      - .offset:         20
        .size:           4
        .value_kind:     by_value
      - .address_space:  global
        .offset:         24
        .size:           8
        .value_kind:     global_buffer
      - .address_space:  global
        .offset:         32
        .size:           8
        .value_kind:     global_buffer
      - .address_space:  global
        .offset:         40
        .size:           8
        .value_kind:     global_buffer
      - .address_space:  global
        .offset:         48
        .size:           8
        .value_kind:     global_buffer
      - .offset:         56
        .size:           4
        .value_kind:     by_value
      - .offset:         60
        .size:           4
        .value_kind:     by_value
      - .offset:         64
        .size:           4
        .value_kind:     hidden_block_count_x
      - .offset:         68
        .size:           4
        .value_kind:     hidden_block_count_y
      - .offset:         72
        .size:           4
        .value_kind:     hidden_block_count_z
      - .offset:         76
        .size:           2
        .value_kind:     hidden_group_size_x
      - .offset:         78
        .size:           2
        .value_kind:     hidden_group_size_y
      - .offset:         80
        .size:           2
        .value_kind:     hidden_group_size_z
      - .offset:         82
        .size:           2
        .value_kind:     hidden_remainder_x
      - .offset:         84
        .size:           2
        .value_kind:     hidden_remainder_y
      - .offset:         86
        .size:           2
        .value_kind:     hidden_remainder_z
      - .offset:         104
        .size:           8
        .value_kind:     hidden_global_offset_x
      - .offset:         112
        .size:           8
        .value_kind:     hidden_global_offset_y
      - .offset:         120
        .size:           8
        .value_kind:     hidden_global_offset_z
      - .offset:         128
        .size:           2
        .value_kind:     hidden_grid_dims
    .group_segment_fixed_size: 0
    .kernarg_segment_align: 8
    .kernarg_segment_size: 320
    .language:       OpenCL C
    .language_version:
      - 2
      - 0
    .max_flat_workgroup_size: 1024
    .name:           _ZN12tensorrt_llm7kernels21fusedQKNormRopeKernelIN3c104HalfES3_Li128ELb0EEEvPviiifPKvS6_S6_PKlii
    .private_segment_fixed_size: 0
    .sgpr_count:     18
    .sgpr_spill_count: 0
    .symbol:         _ZN12tensorrt_llm7kernels21fusedQKNormRopeKernelIN3c104HalfES3_Li128ELb0EEEvPviiifPKvS6_S6_PKlii.kd
    .uniform_work_group_size: 1
    .uses_dynamic_stack: false
    .vgpr_count:     26
    .vgpr_spill_count: 0
    .wavefront_size: 32
    .workgroup_processor_mode: 1
  - .args:
      - .address_space:  global
        .offset:         0
        .size:           8
        .value_kind:     global_buffer
      - .offset:         8
        .size:           4
        .value_kind:     by_value
      - .offset:         12
        .size:           4
        .value_kind:     by_value
      - .offset:         16
        .size:           4
        .value_kind:     by_value
      - .offset:         20
        .size:           4
        .value_kind:     by_value
      - .address_space:  global
        .offset:         24
        .size:           8
        .value_kind:     global_buffer
      - .address_space:  global
        .offset:         32
        .size:           8
        .value_kind:     global_buffer
      - .address_space:  global
        .offset:         40
        .size:           8
        .value_kind:     global_buffer
      - .address_space:  global
        .offset:         48
        .size:           8
        .value_kind:     global_buffer
      - .offset:         56
        .size:           4
        .value_kind:     by_value
      - .offset:         60
        .size:           4
        .value_kind:     by_value
      - .offset:         64
        .size:           4
        .value_kind:     hidden_block_count_x
      - .offset:         68
        .size:           4
        .value_kind:     hidden_block_count_y
      - .offset:         72
        .size:           4
        .value_kind:     hidden_block_count_z
      - .offset:         76
        .size:           2
        .value_kind:     hidden_group_size_x
      - .offset:         78
        .size:           2
        .value_kind:     hidden_group_size_y
      - .offset:         80
        .size:           2
        .value_kind:     hidden_group_size_z
      - .offset:         82
        .size:           2
        .value_kind:     hidden_remainder_x
      - .offset:         84
        .size:           2
        .value_kind:     hidden_remainder_y
      - .offset:         86
        .size:           2
        .value_kind:     hidden_remainder_z
      - .offset:         104
        .size:           8
        .value_kind:     hidden_global_offset_x
      - .offset:         112
        .size:           8
        .value_kind:     hidden_global_offset_y
      - .offset:         120
        .size:           8
        .value_kind:     hidden_global_offset_z
      - .offset:         128
        .size:           2
        .value_kind:     hidden_grid_dims
    .group_segment_fixed_size: 0
    .kernarg_segment_align: 8
    .kernarg_segment_size: 320
    .language:       OpenCL C
    .language_version:
      - 2
      - 0
    .max_flat_workgroup_size: 1024
    .name:           _ZN12tensorrt_llm7kernels21fusedQKNormRopeKernelIN3c104HalfES3_Li256ELb1EEEvPviiifPKvS6_S6_PKlii
    .private_segment_fixed_size: 0
    .sgpr_count:     18
    .sgpr_spill_count: 0
    .symbol:         _ZN12tensorrt_llm7kernels21fusedQKNormRopeKernelIN3c104HalfES3_Li256ELb1EEEvPviiifPKvS6_S6_PKlii.kd
    .uniform_work_group_size: 1
    .uses_dynamic_stack: false
    .vgpr_count:     24
    .vgpr_spill_count: 0
    .wavefront_size: 32
    .workgroup_processor_mode: 1
  - .args:
      - .address_space:  global
        .offset:         0
        .size:           8
        .value_kind:     global_buffer
      - .offset:         8
        .size:           4
        .value_kind:     by_value
      - .offset:         12
        .size:           4
        .value_kind:     by_value
      - .offset:         16
        .size:           4
        .value_kind:     by_value
      - .offset:         20
        .size:           4
        .value_kind:     by_value
      - .address_space:  global
        .offset:         24
        .size:           8
        .value_kind:     global_buffer
      - .address_space:  global
        .offset:         32
        .size:           8
        .value_kind:     global_buffer
      - .address_space:  global
        .offset:         40
        .size:           8
        .value_kind:     global_buffer
      - .address_space:  global
        .offset:         48
        .size:           8
        .value_kind:     global_buffer
      - .offset:         56
        .size:           4
        .value_kind:     by_value
      - .offset:         60
        .size:           4
        .value_kind:     by_value
      - .offset:         64
        .size:           4
        .value_kind:     hidden_block_count_x
      - .offset:         68
        .size:           4
        .value_kind:     hidden_block_count_y
      - .offset:         72
        .size:           4
        .value_kind:     hidden_block_count_z
      - .offset:         76
        .size:           2
        .value_kind:     hidden_group_size_x
      - .offset:         78
        .size:           2
        .value_kind:     hidden_group_size_y
      - .offset:         80
        .size:           2
        .value_kind:     hidden_group_size_z
      - .offset:         82
        .size:           2
        .value_kind:     hidden_remainder_x
      - .offset:         84
        .size:           2
        .value_kind:     hidden_remainder_y
      - .offset:         86
        .size:           2
        .value_kind:     hidden_remainder_z
      - .offset:         104
        .size:           8
        .value_kind:     hidden_global_offset_x
      - .offset:         112
        .size:           8
        .value_kind:     hidden_global_offset_y
      - .offset:         120
        .size:           8
        .value_kind:     hidden_global_offset_z
      - .offset:         128
        .size:           2
        .value_kind:     hidden_grid_dims
    .group_segment_fixed_size: 0
    .kernarg_segment_align: 8
    .kernarg_segment_size: 320
    .language:       OpenCL C
    .language_version:
      - 2
      - 0
    .max_flat_workgroup_size: 1024
    .name:           _ZN12tensorrt_llm7kernels21fusedQKNormRopeKernelIN3c104HalfES3_Li256ELb0EEEvPviiifPKvS6_S6_PKlii
    .private_segment_fixed_size: 0
    .sgpr_count:     18
    .sgpr_spill_count: 0
    .symbol:         _ZN12tensorrt_llm7kernels21fusedQKNormRopeKernelIN3c104HalfES3_Li256ELb0EEEvPviiifPKvS6_S6_PKlii.kd
    .uniform_work_group_size: 1
    .uses_dynamic_stack: false
    .vgpr_count:     44
    .vgpr_spill_count: 0
    .wavefront_size: 32
    .workgroup_processor_mode: 1
  - .args:
      - .address_space:  global
        .offset:         0
        .size:           8
        .value_kind:     global_buffer
      - .offset:         8
        .size:           4
        .value_kind:     by_value
      - .offset:         12
        .size:           4
        .value_kind:     by_value
      - .offset:         16
        .size:           4
        .value_kind:     by_value
      - .offset:         20
        .size:           4
        .value_kind:     by_value
      - .address_space:  global
        .offset:         24
        .size:           8
        .value_kind:     global_buffer
      - .address_space:  global
        .offset:         32
        .size:           8
        .value_kind:     global_buffer
      - .address_space:  global
        .offset:         40
        .size:           8
        .value_kind:     global_buffer
      - .address_space:  global
        .offset:         48
        .size:           8
        .value_kind:     global_buffer
      - .offset:         56
        .size:           4
        .value_kind:     by_value
      - .offset:         60
        .size:           4
        .value_kind:     by_value
      - .offset:         64
        .size:           4
        .value_kind:     hidden_block_count_x
      - .offset:         68
        .size:           4
        .value_kind:     hidden_block_count_y
      - .offset:         72
        .size:           4
        .value_kind:     hidden_block_count_z
      - .offset:         76
        .size:           2
        .value_kind:     hidden_group_size_x
      - .offset:         78
        .size:           2
        .value_kind:     hidden_group_size_y
      - .offset:         80
        .size:           2
        .value_kind:     hidden_group_size_z
      - .offset:         82
        .size:           2
        .value_kind:     hidden_remainder_x
      - .offset:         84
        .size:           2
        .value_kind:     hidden_remainder_y
      - .offset:         86
        .size:           2
        .value_kind:     hidden_remainder_z
      - .offset:         104
        .size:           8
        .value_kind:     hidden_global_offset_x
      - .offset:         112
        .size:           8
        .value_kind:     hidden_global_offset_y
      - .offset:         120
        .size:           8
        .value_kind:     hidden_global_offset_z
      - .offset:         128
        .size:           2
        .value_kind:     hidden_grid_dims
      - .offset:         184
        .size:           4
        .value_kind:     hidden_dynamic_lds_size
    .group_segment_fixed_size: 0
    .kernarg_segment_align: 8
    .kernarg_segment_size: 320
    .language:       OpenCL C
    .language_version:
      - 2
      - 0
    .max_flat_workgroup_size: 1024
    .name:           _ZN12tensorrt_llm7kernels32fusedQKNormRopeKernelNTokenHeadsIN3c104HalfES3_Li64ELb1ELi2EEEvPviiifPKvS6_S6_PKlii
    .private_segment_fixed_size: 0
    .sgpr_count:     23
    .sgpr_spill_count: 0
    .symbol:         _ZN12tensorrt_llm7kernels32fusedQKNormRopeKernelNTokenHeadsIN3c104HalfES3_Li64ELb1ELi2EEEvPviiifPKvS6_S6_PKlii.kd
    .uniform_work_group_size: 1
    .uses_dynamic_stack: false
    .vgpr_count:     21
    .vgpr_spill_count: 0
    .wavefront_size: 32
    .workgroup_processor_mode: 1
  - .args:
      - .address_space:  global
        .offset:         0
        .size:           8
        .value_kind:     global_buffer
      - .offset:         8
        .size:           4
        .value_kind:     by_value
      - .offset:         12
        .size:           4
        .value_kind:     by_value
      - .offset:         16
        .size:           4
        .value_kind:     by_value
      - .offset:         20
        .size:           4
        .value_kind:     by_value
      - .address_space:  global
        .offset:         24
        .size:           8
        .value_kind:     global_buffer
      - .address_space:  global
        .offset:         32
        .size:           8
        .value_kind:     global_buffer
      - .address_space:  global
        .offset:         40
        .size:           8
        .value_kind:     global_buffer
      - .address_space:  global
        .offset:         48
        .size:           8
        .value_kind:     global_buffer
      - .offset:         56
        .size:           4
        .value_kind:     by_value
      - .offset:         60
        .size:           4
        .value_kind:     by_value
      - .offset:         64
        .size:           4
        .value_kind:     hidden_block_count_x
      - .offset:         68
        .size:           4
        .value_kind:     hidden_block_count_y
      - .offset:         72
        .size:           4
        .value_kind:     hidden_block_count_z
      - .offset:         76
        .size:           2
        .value_kind:     hidden_group_size_x
      - .offset:         78
        .size:           2
        .value_kind:     hidden_group_size_y
      - .offset:         80
        .size:           2
        .value_kind:     hidden_group_size_z
      - .offset:         82
        .size:           2
        .value_kind:     hidden_remainder_x
      - .offset:         84
        .size:           2
        .value_kind:     hidden_remainder_y
      - .offset:         86
        .size:           2
        .value_kind:     hidden_remainder_z
      - .offset:         104
        .size:           8
        .value_kind:     hidden_global_offset_x
      - .offset:         112
        .size:           8
        .value_kind:     hidden_global_offset_y
      - .offset:         120
        .size:           8
        .value_kind:     hidden_global_offset_z
      - .offset:         128
        .size:           2
        .value_kind:     hidden_grid_dims
      - .offset:         184
        .size:           4
        .value_kind:     hidden_dynamic_lds_size
    .group_segment_fixed_size: 0
    .kernarg_segment_align: 8
    .kernarg_segment_size: 320
    .language:       OpenCL C
    .language_version:
      - 2
      - 0
    .max_flat_workgroup_size: 1024
    .name:           _ZN12tensorrt_llm7kernels32fusedQKNormRopeKernelNTokenHeadsIN3c104HalfES3_Li64ELb0ELi2EEEvPviiifPKvS6_S6_PKlii
    .private_segment_fixed_size: 0
    .sgpr_count:     23
    .sgpr_spill_count: 0
    .symbol:         _ZN12tensorrt_llm7kernels32fusedQKNormRopeKernelNTokenHeadsIN3c104HalfES3_Li64ELb0ELi2EEEvPviiifPKvS6_S6_PKlii.kd
    .uniform_work_group_size: 1
    .uses_dynamic_stack: false
    .vgpr_count:     26
    .vgpr_spill_count: 0
    .wavefront_size: 32
    .workgroup_processor_mode: 1
  - .args:
      - .address_space:  global
        .offset:         0
        .size:           8
        .value_kind:     global_buffer
      - .offset:         8
        .size:           4
        .value_kind:     by_value
      - .offset:         12
        .size:           4
        .value_kind:     by_value
      - .offset:         16
        .size:           4
        .value_kind:     by_value
      - .offset:         20
        .size:           4
        .value_kind:     by_value
      - .address_space:  global
        .offset:         24
        .size:           8
        .value_kind:     global_buffer
      - .address_space:  global
        .offset:         32
        .size:           8
        .value_kind:     global_buffer
      - .address_space:  global
        .offset:         40
        .size:           8
        .value_kind:     global_buffer
      - .address_space:  global
        .offset:         48
        .size:           8
        .value_kind:     global_buffer
      - .offset:         56
        .size:           4
        .value_kind:     by_value
      - .offset:         60
        .size:           4
        .value_kind:     by_value
      - .offset:         64
        .size:           4
        .value_kind:     hidden_block_count_x
      - .offset:         68
        .size:           4
        .value_kind:     hidden_block_count_y
      - .offset:         72
        .size:           4
        .value_kind:     hidden_block_count_z
      - .offset:         76
        .size:           2
        .value_kind:     hidden_group_size_x
      - .offset:         78
        .size:           2
        .value_kind:     hidden_group_size_y
      - .offset:         80
        .size:           2
        .value_kind:     hidden_group_size_z
      - .offset:         82
        .size:           2
        .value_kind:     hidden_remainder_x
      - .offset:         84
        .size:           2
        .value_kind:     hidden_remainder_y
      - .offset:         86
        .size:           2
        .value_kind:     hidden_remainder_z
      - .offset:         104
        .size:           8
        .value_kind:     hidden_global_offset_x
      - .offset:         112
        .size:           8
        .value_kind:     hidden_global_offset_y
      - .offset:         120
        .size:           8
        .value_kind:     hidden_global_offset_z
      - .offset:         128
        .size:           2
        .value_kind:     hidden_grid_dims
      - .offset:         184
        .size:           4
        .value_kind:     hidden_dynamic_lds_size
    .group_segment_fixed_size: 0
    .kernarg_segment_align: 8
    .kernarg_segment_size: 320
    .language:       OpenCL C
    .language_version:
      - 2
      - 0
    .max_flat_workgroup_size: 1024
    .name:           _ZN12tensorrt_llm7kernels32fusedQKNormRopeKernelNTokenHeadsIN3c104HalfES3_Li128ELb1ELi2EEEvPviiifPKvS6_S6_PKlii
    .private_segment_fixed_size: 0
    .sgpr_count:     23
    .sgpr_spill_count: 0
    .symbol:         _ZN12tensorrt_llm7kernels32fusedQKNormRopeKernelNTokenHeadsIN3c104HalfES3_Li128ELb1ELi2EEEvPviiifPKvS6_S6_PKlii.kd
    .uniform_work_group_size: 1
    .uses_dynamic_stack: false
    .vgpr_count:     31
    .vgpr_spill_count: 0
    .wavefront_size: 32
    .workgroup_processor_mode: 1
  - .args:
      - .address_space:  global
        .offset:         0
        .size:           8
        .value_kind:     global_buffer
      - .offset:         8
        .size:           4
        .value_kind:     by_value
      - .offset:         12
        .size:           4
        .value_kind:     by_value
      - .offset:         16
        .size:           4
        .value_kind:     by_value
      - .offset:         20
        .size:           4
        .value_kind:     by_value
      - .address_space:  global
        .offset:         24
        .size:           8
        .value_kind:     global_buffer
      - .address_space:  global
        .offset:         32
        .size:           8
        .value_kind:     global_buffer
      - .address_space:  global
        .offset:         40
        .size:           8
        .value_kind:     global_buffer
      - .address_space:  global
        .offset:         48
        .size:           8
        .value_kind:     global_buffer
      - .offset:         56
        .size:           4
        .value_kind:     by_value
      - .offset:         60
        .size:           4
        .value_kind:     by_value
      - .offset:         64
        .size:           4
        .value_kind:     hidden_block_count_x
      - .offset:         68
        .size:           4
        .value_kind:     hidden_block_count_y
      - .offset:         72
        .size:           4
        .value_kind:     hidden_block_count_z
      - .offset:         76
        .size:           2
        .value_kind:     hidden_group_size_x
      - .offset:         78
        .size:           2
        .value_kind:     hidden_group_size_y
      - .offset:         80
        .size:           2
        .value_kind:     hidden_group_size_z
      - .offset:         82
        .size:           2
        .value_kind:     hidden_remainder_x
      - .offset:         84
        .size:           2
        .value_kind:     hidden_remainder_y
      - .offset:         86
        .size:           2
        .value_kind:     hidden_remainder_z
      - .offset:         104
        .size:           8
        .value_kind:     hidden_global_offset_x
      - .offset:         112
        .size:           8
        .value_kind:     hidden_global_offset_y
      - .offset:         120
        .size:           8
        .value_kind:     hidden_global_offset_z
      - .offset:         128
        .size:           2
        .value_kind:     hidden_grid_dims
      - .offset:         184
        .size:           4
        .value_kind:     hidden_dynamic_lds_size
    .group_segment_fixed_size: 0
    .kernarg_segment_align: 8
    .kernarg_segment_size: 320
    .language:       OpenCL C
    .language_version:
      - 2
      - 0
    .max_flat_workgroup_size: 1024
    .name:           _ZN12tensorrt_llm7kernels32fusedQKNormRopeKernelNTokenHeadsIN3c104HalfES3_Li128ELb0ELi2EEEvPviiifPKvS6_S6_PKlii
    .private_segment_fixed_size: 0
    .sgpr_count:     23
    .sgpr_spill_count: 0
    .symbol:         _ZN12tensorrt_llm7kernels32fusedQKNormRopeKernelNTokenHeadsIN3c104HalfES3_Li128ELb0ELi2EEEvPviiifPKvS6_S6_PKlii.kd
    .uniform_work_group_size: 1
    .uses_dynamic_stack: false
    .vgpr_count:     42
    .vgpr_spill_count: 0
    .wavefront_size: 32
    .workgroup_processor_mode: 1
  - .args:
      - .address_space:  global
        .offset:         0
        .size:           8
        .value_kind:     global_buffer
      - .offset:         8
        .size:           4
        .value_kind:     by_value
      - .offset:         12
        .size:           4
        .value_kind:     by_value
      - .offset:         16
        .size:           4
        .value_kind:     by_value
      - .offset:         20
        .size:           4
        .value_kind:     by_value
      - .address_space:  global
        .offset:         24
        .size:           8
        .value_kind:     global_buffer
      - .address_space:  global
        .offset:         32
        .size:           8
        .value_kind:     global_buffer
      - .address_space:  global
        .offset:         40
        .size:           8
        .value_kind:     global_buffer
      - .address_space:  global
        .offset:         48
        .size:           8
        .value_kind:     global_buffer
      - .offset:         56
        .size:           4
        .value_kind:     by_value
      - .offset:         60
        .size:           4
        .value_kind:     by_value
      - .offset:         64
        .size:           4
        .value_kind:     hidden_block_count_x
      - .offset:         68
        .size:           4
        .value_kind:     hidden_block_count_y
      - .offset:         72
        .size:           4
        .value_kind:     hidden_block_count_z
      - .offset:         76
        .size:           2
        .value_kind:     hidden_group_size_x
      - .offset:         78
        .size:           2
        .value_kind:     hidden_group_size_y
      - .offset:         80
        .size:           2
        .value_kind:     hidden_group_size_z
      - .offset:         82
        .size:           2
        .value_kind:     hidden_remainder_x
      - .offset:         84
        .size:           2
        .value_kind:     hidden_remainder_y
      - .offset:         86
        .size:           2
        .value_kind:     hidden_remainder_z
      - .offset:         104
        .size:           8
        .value_kind:     hidden_global_offset_x
      - .offset:         112
        .size:           8
        .value_kind:     hidden_global_offset_y
      - .offset:         120
        .size:           8
        .value_kind:     hidden_global_offset_z
      - .offset:         128
        .size:           2
        .value_kind:     hidden_grid_dims
      - .offset:         184
        .size:           4
        .value_kind:     hidden_dynamic_lds_size
    .group_segment_fixed_size: 0
    .kernarg_segment_align: 8
    .kernarg_segment_size: 320
    .language:       OpenCL C
    .language_version:
      - 2
      - 0
    .max_flat_workgroup_size: 1024
    .name:           _ZN12tensorrt_llm7kernels32fusedQKNormRopeKernelNTokenHeadsIN3c104HalfES3_Li256ELb1ELi2EEEvPviiifPKvS6_S6_PKlii
    .private_segment_fixed_size: 0
    .sgpr_count:     23
    .sgpr_spill_count: 0
    .symbol:         _ZN12tensorrt_llm7kernels32fusedQKNormRopeKernelNTokenHeadsIN3c104HalfES3_Li256ELb1ELi2EEEvPviiifPKvS6_S6_PKlii.kd
    .uniform_work_group_size: 1
    .uses_dynamic_stack: false
    .vgpr_count:     46
    .vgpr_spill_count: 0
    .wavefront_size: 32
    .workgroup_processor_mode: 1
  - .args:
      - .address_space:  global
        .offset:         0
        .size:           8
        .value_kind:     global_buffer
      - .offset:         8
        .size:           4
        .value_kind:     by_value
      - .offset:         12
        .size:           4
        .value_kind:     by_value
      - .offset:         16
        .size:           4
        .value_kind:     by_value
      - .offset:         20
        .size:           4
        .value_kind:     by_value
      - .address_space:  global
        .offset:         24
        .size:           8
        .value_kind:     global_buffer
      - .address_space:  global
        .offset:         32
        .size:           8
        .value_kind:     global_buffer
      - .address_space:  global
        .offset:         40
        .size:           8
        .value_kind:     global_buffer
      - .address_space:  global
        .offset:         48
        .size:           8
        .value_kind:     global_buffer
      - .offset:         56
        .size:           4
        .value_kind:     by_value
      - .offset:         60
        .size:           4
        .value_kind:     by_value
      - .offset:         64
        .size:           4
        .value_kind:     hidden_block_count_x
      - .offset:         68
        .size:           4
        .value_kind:     hidden_block_count_y
      - .offset:         72
        .size:           4
        .value_kind:     hidden_block_count_z
      - .offset:         76
        .size:           2
        .value_kind:     hidden_group_size_x
      - .offset:         78
        .size:           2
        .value_kind:     hidden_group_size_y
      - .offset:         80
        .size:           2
        .value_kind:     hidden_group_size_z
      - .offset:         82
        .size:           2
        .value_kind:     hidden_remainder_x
      - .offset:         84
        .size:           2
        .value_kind:     hidden_remainder_y
      - .offset:         86
        .size:           2
        .value_kind:     hidden_remainder_z
      - .offset:         104
        .size:           8
        .value_kind:     hidden_global_offset_x
      - .offset:         112
        .size:           8
        .value_kind:     hidden_global_offset_y
      - .offset:         120
        .size:           8
        .value_kind:     hidden_global_offset_z
      - .offset:         128
        .size:           2
        .value_kind:     hidden_grid_dims
      - .offset:         184
        .size:           4
        .value_kind:     hidden_dynamic_lds_size
    .group_segment_fixed_size: 0
    .kernarg_segment_align: 8
    .kernarg_segment_size: 320
    .language:       OpenCL C
    .language_version:
      - 2
      - 0
    .max_flat_workgroup_size: 1024
    .name:           _ZN12tensorrt_llm7kernels32fusedQKNormRopeKernelNTokenHeadsIN3c104HalfES3_Li256ELb0ELi2EEEvPviiifPKvS6_S6_PKlii
    .private_segment_fixed_size: 0
    .sgpr_count:     23
    .sgpr_spill_count: 0
    .symbol:         _ZN12tensorrt_llm7kernels32fusedQKNormRopeKernelNTokenHeadsIN3c104HalfES3_Li256ELb0ELi2EEEvPviiifPKvS6_S6_PKlii.kd
    .uniform_work_group_size: 1
    .uses_dynamic_stack: false
    .vgpr_count:     72
    .vgpr_spill_count: 0
    .wavefront_size: 32
    .workgroup_processor_mode: 1
  - .args:
      - .address_space:  global
        .offset:         0
        .size:           8
        .value_kind:     global_buffer
      - .offset:         8
        .size:           4
        .value_kind:     by_value
      - .offset:         12
        .size:           4
        .value_kind:     by_value
      - .offset:         16
        .size:           4
        .value_kind:     by_value
      - .offset:         20
        .size:           4
        .value_kind:     by_value
      - .address_space:  global
        .offset:         24
        .size:           8
        .value_kind:     global_buffer
      - .address_space:  global
        .offset:         32
        .size:           8
        .value_kind:     global_buffer
      - .address_space:  global
        .offset:         40
        .size:           8
        .value_kind:     global_buffer
      - .address_space:  global
        .offset:         48
        .size:           8
        .value_kind:     global_buffer
      - .offset:         56
        .size:           4
        .value_kind:     by_value
      - .offset:         60
        .size:           4
        .value_kind:     by_value
      - .offset:         64
        .size:           4
        .value_kind:     hidden_block_count_x
      - .offset:         68
        .size:           4
        .value_kind:     hidden_block_count_y
      - .offset:         72
        .size:           4
        .value_kind:     hidden_block_count_z
      - .offset:         76
        .size:           2
        .value_kind:     hidden_group_size_x
      - .offset:         78
        .size:           2
        .value_kind:     hidden_group_size_y
      - .offset:         80
        .size:           2
        .value_kind:     hidden_group_size_z
      - .offset:         82
        .size:           2
        .value_kind:     hidden_remainder_x
      - .offset:         84
        .size:           2
        .value_kind:     hidden_remainder_y
      - .offset:         86
        .size:           2
        .value_kind:     hidden_remainder_z
      - .offset:         104
        .size:           8
        .value_kind:     hidden_global_offset_x
      - .offset:         112
        .size:           8
        .value_kind:     hidden_global_offset_y
      - .offset:         120
        .size:           8
        .value_kind:     hidden_global_offset_z
      - .offset:         128
        .size:           2
        .value_kind:     hidden_grid_dims
      - .offset:         184
        .size:           4
        .value_kind:     hidden_dynamic_lds_size
    .group_segment_fixed_size: 0
    .kernarg_segment_align: 8
    .kernarg_segment_size: 320
    .language:       OpenCL C
    .language_version:
      - 2
      - 0
    .max_flat_workgroup_size: 1024
    .name:           _ZN12tensorrt_llm7kernels32fusedQKNormRopeKernelNTokenHeadsIN3c104HalfES3_Li64ELb1ELi4EEEvPviiifPKvS6_S6_PKlii
    .private_segment_fixed_size: 0
    .sgpr_count:     23
    .sgpr_spill_count: 0
    .symbol:         _ZN12tensorrt_llm7kernels32fusedQKNormRopeKernelNTokenHeadsIN3c104HalfES3_Li64ELb1ELi4EEEvPviiifPKvS6_S6_PKlii.kd
    .uniform_work_group_size: 1
    .uses_dynamic_stack: false
    .vgpr_count:     21
    .vgpr_spill_count: 0
    .wavefront_size: 32
    .workgroup_processor_mode: 1
  - .args:
      - .address_space:  global
        .offset:         0
        .size:           8
        .value_kind:     global_buffer
      - .offset:         8
        .size:           4
        .value_kind:     by_value
      - .offset:         12
        .size:           4
        .value_kind:     by_value
      - .offset:         16
        .size:           4
        .value_kind:     by_value
      - .offset:         20
        .size:           4
        .value_kind:     by_value
      - .address_space:  global
        .offset:         24
        .size:           8
        .value_kind:     global_buffer
      - .address_space:  global
        .offset:         32
        .size:           8
        .value_kind:     global_buffer
      - .address_space:  global
        .offset:         40
        .size:           8
        .value_kind:     global_buffer
      - .address_space:  global
        .offset:         48
        .size:           8
        .value_kind:     global_buffer
      - .offset:         56
        .size:           4
        .value_kind:     by_value
      - .offset:         60
        .size:           4
        .value_kind:     by_value
      - .offset:         64
        .size:           4
        .value_kind:     hidden_block_count_x
      - .offset:         68
        .size:           4
        .value_kind:     hidden_block_count_y
      - .offset:         72
        .size:           4
        .value_kind:     hidden_block_count_z
      - .offset:         76
        .size:           2
        .value_kind:     hidden_group_size_x
      - .offset:         78
        .size:           2
        .value_kind:     hidden_group_size_y
      - .offset:         80
        .size:           2
        .value_kind:     hidden_group_size_z
      - .offset:         82
        .size:           2
        .value_kind:     hidden_remainder_x
      - .offset:         84
        .size:           2
        .value_kind:     hidden_remainder_y
      - .offset:         86
        .size:           2
        .value_kind:     hidden_remainder_z
      - .offset:         104
        .size:           8
        .value_kind:     hidden_global_offset_x
      - .offset:         112
        .size:           8
        .value_kind:     hidden_global_offset_y
      - .offset:         120
        .size:           8
        .value_kind:     hidden_global_offset_z
      - .offset:         128
        .size:           2
        .value_kind:     hidden_grid_dims
      - .offset:         184
        .size:           4
        .value_kind:     hidden_dynamic_lds_size
    .group_segment_fixed_size: 0
    .kernarg_segment_align: 8
    .kernarg_segment_size: 320
    .language:       OpenCL C
    .language_version:
      - 2
      - 0
    .max_flat_workgroup_size: 1024
    .name:           _ZN12tensorrt_llm7kernels32fusedQKNormRopeKernelNTokenHeadsIN3c104HalfES3_Li64ELb0ELi4EEEvPviiifPKvS6_S6_PKlii
    .private_segment_fixed_size: 0
    .sgpr_count:     23
    .sgpr_spill_count: 0
    .symbol:         _ZN12tensorrt_llm7kernels32fusedQKNormRopeKernelNTokenHeadsIN3c104HalfES3_Li64ELb0ELi4EEEvPviiifPKvS6_S6_PKlii.kd
    .uniform_work_group_size: 1
    .uses_dynamic_stack: false
    .vgpr_count:     26
    .vgpr_spill_count: 0
    .wavefront_size: 32
    .workgroup_processor_mode: 1
  - .args:
      - .address_space:  global
        .offset:         0
        .size:           8
        .value_kind:     global_buffer
      - .offset:         8
        .size:           4
        .value_kind:     by_value
      - .offset:         12
        .size:           4
        .value_kind:     by_value
      - .offset:         16
        .size:           4
        .value_kind:     by_value
      - .offset:         20
        .size:           4
        .value_kind:     by_value
      - .address_space:  global
        .offset:         24
        .size:           8
        .value_kind:     global_buffer
      - .address_space:  global
        .offset:         32
        .size:           8
        .value_kind:     global_buffer
      - .address_space:  global
        .offset:         40
        .size:           8
        .value_kind:     global_buffer
      - .address_space:  global
        .offset:         48
        .size:           8
        .value_kind:     global_buffer
      - .offset:         56
        .size:           4
        .value_kind:     by_value
      - .offset:         60
        .size:           4
        .value_kind:     by_value
      - .offset:         64
        .size:           4
        .value_kind:     hidden_block_count_x
      - .offset:         68
        .size:           4
        .value_kind:     hidden_block_count_y
      - .offset:         72
        .size:           4
        .value_kind:     hidden_block_count_z
      - .offset:         76
        .size:           2
        .value_kind:     hidden_group_size_x
      - .offset:         78
        .size:           2
        .value_kind:     hidden_group_size_y
      - .offset:         80
        .size:           2
        .value_kind:     hidden_group_size_z
      - .offset:         82
        .size:           2
        .value_kind:     hidden_remainder_x
      - .offset:         84
        .size:           2
        .value_kind:     hidden_remainder_y
      - .offset:         86
        .size:           2
        .value_kind:     hidden_remainder_z
      - .offset:         104
        .size:           8
        .value_kind:     hidden_global_offset_x
      - .offset:         112
        .size:           8
        .value_kind:     hidden_global_offset_y
      - .offset:         120
        .size:           8
        .value_kind:     hidden_global_offset_z
      - .offset:         128
        .size:           2
        .value_kind:     hidden_grid_dims
      - .offset:         184
        .size:           4
        .value_kind:     hidden_dynamic_lds_size
    .group_segment_fixed_size: 0
    .kernarg_segment_align: 8
    .kernarg_segment_size: 320
    .language:       OpenCL C
    .language_version:
      - 2
      - 0
    .max_flat_workgroup_size: 1024
    .name:           _ZN12tensorrt_llm7kernels32fusedQKNormRopeKernelNTokenHeadsIN3c104HalfES3_Li128ELb1ELi4EEEvPviiifPKvS6_S6_PKlii
    .private_segment_fixed_size: 0
    .sgpr_count:     23
    .sgpr_spill_count: 0
    .symbol:         _ZN12tensorrt_llm7kernels32fusedQKNormRopeKernelNTokenHeadsIN3c104HalfES3_Li128ELb1ELi4EEEvPviiifPKvS6_S6_PKlii.kd
    .uniform_work_group_size: 1
    .uses_dynamic_stack: false
    .vgpr_count:     31
    .vgpr_spill_count: 0
    .wavefront_size: 32
    .workgroup_processor_mode: 1
  - .args:
      - .address_space:  global
        .offset:         0
        .size:           8
        .value_kind:     global_buffer
      - .offset:         8
        .size:           4
        .value_kind:     by_value
      - .offset:         12
        .size:           4
        .value_kind:     by_value
      - .offset:         16
        .size:           4
        .value_kind:     by_value
      - .offset:         20
        .size:           4
        .value_kind:     by_value
      - .address_space:  global
        .offset:         24
        .size:           8
        .value_kind:     global_buffer
      - .address_space:  global
        .offset:         32
        .size:           8
        .value_kind:     global_buffer
      - .address_space:  global
        .offset:         40
        .size:           8
        .value_kind:     global_buffer
      - .address_space:  global
        .offset:         48
        .size:           8
        .value_kind:     global_buffer
      - .offset:         56
        .size:           4
        .value_kind:     by_value
      - .offset:         60
        .size:           4
        .value_kind:     by_value
      - .offset:         64
        .size:           4
        .value_kind:     hidden_block_count_x
      - .offset:         68
        .size:           4
        .value_kind:     hidden_block_count_y
      - .offset:         72
        .size:           4
        .value_kind:     hidden_block_count_z
      - .offset:         76
        .size:           2
        .value_kind:     hidden_group_size_x
      - .offset:         78
        .size:           2
        .value_kind:     hidden_group_size_y
      - .offset:         80
        .size:           2
        .value_kind:     hidden_group_size_z
      - .offset:         82
        .size:           2
        .value_kind:     hidden_remainder_x
      - .offset:         84
        .size:           2
        .value_kind:     hidden_remainder_y
      - .offset:         86
        .size:           2
        .value_kind:     hidden_remainder_z
      - .offset:         104
        .size:           8
        .value_kind:     hidden_global_offset_x
      - .offset:         112
        .size:           8
        .value_kind:     hidden_global_offset_y
      - .offset:         120
        .size:           8
        .value_kind:     hidden_global_offset_z
      - .offset:         128
        .size:           2
        .value_kind:     hidden_grid_dims
      - .offset:         184
        .size:           4
        .value_kind:     hidden_dynamic_lds_size
    .group_segment_fixed_size: 0
    .kernarg_segment_align: 8
    .kernarg_segment_size: 320
    .language:       OpenCL C
    .language_version:
      - 2
      - 0
    .max_flat_workgroup_size: 1024
    .name:           _ZN12tensorrt_llm7kernels32fusedQKNormRopeKernelNTokenHeadsIN3c104HalfES3_Li128ELb0ELi4EEEvPviiifPKvS6_S6_PKlii
    .private_segment_fixed_size: 0
    .sgpr_count:     23
    .sgpr_spill_count: 0
    .symbol:         _ZN12tensorrt_llm7kernels32fusedQKNormRopeKernelNTokenHeadsIN3c104HalfES3_Li128ELb0ELi4EEEvPviiifPKvS6_S6_PKlii.kd
    .uniform_work_group_size: 1
    .uses_dynamic_stack: false
    .vgpr_count:     42
    .vgpr_spill_count: 0
    .wavefront_size: 32
    .workgroup_processor_mode: 1
  - .args:
      - .address_space:  global
        .offset:         0
        .size:           8
        .value_kind:     global_buffer
      - .offset:         8
        .size:           4
        .value_kind:     by_value
      - .offset:         12
        .size:           4
        .value_kind:     by_value
      - .offset:         16
        .size:           4
        .value_kind:     by_value
      - .offset:         20
        .size:           4
        .value_kind:     by_value
      - .address_space:  global
        .offset:         24
        .size:           8
        .value_kind:     global_buffer
      - .address_space:  global
        .offset:         32
        .size:           8
        .value_kind:     global_buffer
      - .address_space:  global
        .offset:         40
        .size:           8
        .value_kind:     global_buffer
      - .address_space:  global
        .offset:         48
        .size:           8
        .value_kind:     global_buffer
      - .offset:         56
        .size:           4
        .value_kind:     by_value
      - .offset:         60
        .size:           4
        .value_kind:     by_value
      - .offset:         64
        .size:           4
        .value_kind:     hidden_block_count_x
      - .offset:         68
        .size:           4
        .value_kind:     hidden_block_count_y
      - .offset:         72
        .size:           4
        .value_kind:     hidden_block_count_z
      - .offset:         76
        .size:           2
        .value_kind:     hidden_group_size_x
      - .offset:         78
        .size:           2
        .value_kind:     hidden_group_size_y
      - .offset:         80
        .size:           2
        .value_kind:     hidden_group_size_z
      - .offset:         82
        .size:           2
        .value_kind:     hidden_remainder_x
      - .offset:         84
        .size:           2
        .value_kind:     hidden_remainder_y
      - .offset:         86
        .size:           2
        .value_kind:     hidden_remainder_z
      - .offset:         104
        .size:           8
        .value_kind:     hidden_global_offset_x
      - .offset:         112
        .size:           8
        .value_kind:     hidden_global_offset_y
      - .offset:         120
        .size:           8
        .value_kind:     hidden_global_offset_z
      - .offset:         128
        .size:           2
        .value_kind:     hidden_grid_dims
      - .offset:         184
        .size:           4
        .value_kind:     hidden_dynamic_lds_size
    .group_segment_fixed_size: 0
    .kernarg_segment_align: 8
    .kernarg_segment_size: 320
    .language:       OpenCL C
    .language_version:
      - 2
      - 0
    .max_flat_workgroup_size: 1024
    .name:           _ZN12tensorrt_llm7kernels32fusedQKNormRopeKernelNTokenHeadsIN3c104HalfES3_Li256ELb1ELi4EEEvPviiifPKvS6_S6_PKlii
    .private_segment_fixed_size: 0
    .sgpr_count:     23
    .sgpr_spill_count: 0
    .symbol:         _ZN12tensorrt_llm7kernels32fusedQKNormRopeKernelNTokenHeadsIN3c104HalfES3_Li256ELb1ELi4EEEvPviiifPKvS6_S6_PKlii.kd
    .uniform_work_group_size: 1
    .uses_dynamic_stack: false
    .vgpr_count:     46
    .vgpr_spill_count: 0
    .wavefront_size: 32
    .workgroup_processor_mode: 1
  - .args:
      - .address_space:  global
        .offset:         0
        .size:           8
        .value_kind:     global_buffer
      - .offset:         8
        .size:           4
        .value_kind:     by_value
      - .offset:         12
        .size:           4
        .value_kind:     by_value
      - .offset:         16
        .size:           4
        .value_kind:     by_value
      - .offset:         20
        .size:           4
        .value_kind:     by_value
      - .address_space:  global
        .offset:         24
        .size:           8
        .value_kind:     global_buffer
      - .address_space:  global
        .offset:         32
        .size:           8
        .value_kind:     global_buffer
      - .address_space:  global
        .offset:         40
        .size:           8
        .value_kind:     global_buffer
      - .address_space:  global
        .offset:         48
        .size:           8
        .value_kind:     global_buffer
      - .offset:         56
        .size:           4
        .value_kind:     by_value
      - .offset:         60
        .size:           4
        .value_kind:     by_value
      - .offset:         64
        .size:           4
        .value_kind:     hidden_block_count_x
      - .offset:         68
        .size:           4
        .value_kind:     hidden_block_count_y
      - .offset:         72
        .size:           4
        .value_kind:     hidden_block_count_z
      - .offset:         76
        .size:           2
        .value_kind:     hidden_group_size_x
      - .offset:         78
        .size:           2
        .value_kind:     hidden_group_size_y
      - .offset:         80
        .size:           2
        .value_kind:     hidden_group_size_z
      - .offset:         82
        .size:           2
        .value_kind:     hidden_remainder_x
      - .offset:         84
        .size:           2
        .value_kind:     hidden_remainder_y
      - .offset:         86
        .size:           2
        .value_kind:     hidden_remainder_z
      - .offset:         104
        .size:           8
        .value_kind:     hidden_global_offset_x
      - .offset:         112
        .size:           8
        .value_kind:     hidden_global_offset_y
      - .offset:         120
        .size:           8
        .value_kind:     hidden_global_offset_z
      - .offset:         128
        .size:           2
        .value_kind:     hidden_grid_dims
      - .offset:         184
        .size:           4
        .value_kind:     hidden_dynamic_lds_size
    .group_segment_fixed_size: 0
    .kernarg_segment_align: 8
    .kernarg_segment_size: 320
    .language:       OpenCL C
    .language_version:
      - 2
      - 0
    .max_flat_workgroup_size: 1024
    .name:           _ZN12tensorrt_llm7kernels32fusedQKNormRopeKernelNTokenHeadsIN3c104HalfES3_Li256ELb0ELi4EEEvPviiifPKvS6_S6_PKlii
    .private_segment_fixed_size: 0
    .sgpr_count:     23
    .sgpr_spill_count: 0
    .symbol:         _ZN12tensorrt_llm7kernels32fusedQKNormRopeKernelNTokenHeadsIN3c104HalfES3_Li256ELb0ELi4EEEvPviiifPKvS6_S6_PKlii.kd
    .uniform_work_group_size: 1
    .uses_dynamic_stack: false
    .vgpr_count:     72
    .vgpr_spill_count: 0
    .wavefront_size: 32
    .workgroup_processor_mode: 1
  - .args:
      - .address_space:  global
        .offset:         0
        .size:           8
        .value_kind:     global_buffer
      - .offset:         8
        .size:           4
        .value_kind:     by_value
      - .offset:         12
        .size:           4
        .value_kind:     by_value
      - .offset:         16
        .size:           4
        .value_kind:     by_value
      - .offset:         20
        .size:           4
        .value_kind:     by_value
      - .address_space:  global
        .offset:         24
        .size:           8
        .value_kind:     global_buffer
      - .address_space:  global
        .offset:         32
        .size:           8
        .value_kind:     global_buffer
      - .address_space:  global
        .offset:         40
        .size:           8
        .value_kind:     global_buffer
      - .address_space:  global
        .offset:         48
        .size:           8
        .value_kind:     global_buffer
      - .offset:         56
        .size:           4
        .value_kind:     by_value
      - .offset:         60
        .size:           4
        .value_kind:     by_value
      - .offset:         64
        .size:           4
        .value_kind:     hidden_block_count_x
      - .offset:         68
        .size:           4
        .value_kind:     hidden_block_count_y
      - .offset:         72
        .size:           4
        .value_kind:     hidden_block_count_z
      - .offset:         76
        .size:           2
        .value_kind:     hidden_group_size_x
      - .offset:         78
        .size:           2
        .value_kind:     hidden_group_size_y
      - .offset:         80
        .size:           2
        .value_kind:     hidden_group_size_z
      - .offset:         82
        .size:           2
        .value_kind:     hidden_remainder_x
      - .offset:         84
        .size:           2
        .value_kind:     hidden_remainder_y
      - .offset:         86
        .size:           2
        .value_kind:     hidden_remainder_z
      - .offset:         104
        .size:           8
        .value_kind:     hidden_global_offset_x
      - .offset:         112
        .size:           8
        .value_kind:     hidden_global_offset_y
      - .offset:         120
        .size:           8
        .value_kind:     hidden_global_offset_z
      - .offset:         128
        .size:           2
        .value_kind:     hidden_grid_dims
      - .offset:         184
        .size:           4
        .value_kind:     hidden_dynamic_lds_size
    .group_segment_fixed_size: 0
    .kernarg_segment_align: 8
    .kernarg_segment_size: 320
    .language:       OpenCL C
    .language_version:
      - 2
      - 0
    .max_flat_workgroup_size: 1024
    .name:           _ZN12tensorrt_llm7kernels32fusedQKNormRopeKernelNTokenHeadsIN3c104HalfES3_Li64ELb1ELi8EEEvPviiifPKvS6_S6_PKlii
    .private_segment_fixed_size: 0
    .sgpr_count:     23
    .sgpr_spill_count: 0
    .symbol:         _ZN12tensorrt_llm7kernels32fusedQKNormRopeKernelNTokenHeadsIN3c104HalfES3_Li64ELb1ELi8EEEvPviiifPKvS6_S6_PKlii.kd
    .uniform_work_group_size: 1
    .uses_dynamic_stack: false
    .vgpr_count:     21
    .vgpr_spill_count: 0
    .wavefront_size: 32
    .workgroup_processor_mode: 1
  - .args:
      - .address_space:  global
        .offset:         0
        .size:           8
        .value_kind:     global_buffer
      - .offset:         8
        .size:           4
        .value_kind:     by_value
      - .offset:         12
        .size:           4
        .value_kind:     by_value
      - .offset:         16
        .size:           4
        .value_kind:     by_value
      - .offset:         20
        .size:           4
        .value_kind:     by_value
      - .address_space:  global
        .offset:         24
        .size:           8
        .value_kind:     global_buffer
      - .address_space:  global
        .offset:         32
        .size:           8
        .value_kind:     global_buffer
      - .address_space:  global
        .offset:         40
        .size:           8
        .value_kind:     global_buffer
      - .address_space:  global
        .offset:         48
        .size:           8
        .value_kind:     global_buffer
      - .offset:         56
        .size:           4
        .value_kind:     by_value
      - .offset:         60
        .size:           4
        .value_kind:     by_value
      - .offset:         64
        .size:           4
        .value_kind:     hidden_block_count_x
      - .offset:         68
        .size:           4
        .value_kind:     hidden_block_count_y
      - .offset:         72
        .size:           4
        .value_kind:     hidden_block_count_z
      - .offset:         76
        .size:           2
        .value_kind:     hidden_group_size_x
      - .offset:         78
        .size:           2
        .value_kind:     hidden_group_size_y
      - .offset:         80
        .size:           2
        .value_kind:     hidden_group_size_z
      - .offset:         82
        .size:           2
        .value_kind:     hidden_remainder_x
      - .offset:         84
        .size:           2
        .value_kind:     hidden_remainder_y
      - .offset:         86
        .size:           2
        .value_kind:     hidden_remainder_z
      - .offset:         104
        .size:           8
        .value_kind:     hidden_global_offset_x
      - .offset:         112
        .size:           8
        .value_kind:     hidden_global_offset_y
      - .offset:         120
        .size:           8
        .value_kind:     hidden_global_offset_z
      - .offset:         128
        .size:           2
        .value_kind:     hidden_grid_dims
      - .offset:         184
        .size:           4
        .value_kind:     hidden_dynamic_lds_size
    .group_segment_fixed_size: 0
    .kernarg_segment_align: 8
    .kernarg_segment_size: 320
    .language:       OpenCL C
    .language_version:
      - 2
      - 0
    .max_flat_workgroup_size: 1024
    .name:           _ZN12tensorrt_llm7kernels32fusedQKNormRopeKernelNTokenHeadsIN3c104HalfES3_Li64ELb0ELi8EEEvPviiifPKvS6_S6_PKlii
    .private_segment_fixed_size: 0
    .sgpr_count:     23
    .sgpr_spill_count: 0
    .symbol:         _ZN12tensorrt_llm7kernels32fusedQKNormRopeKernelNTokenHeadsIN3c104HalfES3_Li64ELb0ELi8EEEvPviiifPKvS6_S6_PKlii.kd
    .uniform_work_group_size: 1
    .uses_dynamic_stack: false
    .vgpr_count:     26
    .vgpr_spill_count: 0
    .wavefront_size: 32
    .workgroup_processor_mode: 1
  - .args:
      - .address_space:  global
        .offset:         0
        .size:           8
        .value_kind:     global_buffer
      - .offset:         8
        .size:           4
        .value_kind:     by_value
      - .offset:         12
        .size:           4
        .value_kind:     by_value
      - .offset:         16
        .size:           4
        .value_kind:     by_value
      - .offset:         20
        .size:           4
        .value_kind:     by_value
      - .address_space:  global
        .offset:         24
        .size:           8
        .value_kind:     global_buffer
      - .address_space:  global
        .offset:         32
        .size:           8
        .value_kind:     global_buffer
      - .address_space:  global
        .offset:         40
        .size:           8
        .value_kind:     global_buffer
      - .address_space:  global
        .offset:         48
        .size:           8
        .value_kind:     global_buffer
      - .offset:         56
        .size:           4
        .value_kind:     by_value
      - .offset:         60
        .size:           4
        .value_kind:     by_value
      - .offset:         64
        .size:           4
        .value_kind:     hidden_block_count_x
      - .offset:         68
        .size:           4
        .value_kind:     hidden_block_count_y
      - .offset:         72
        .size:           4
        .value_kind:     hidden_block_count_z
      - .offset:         76
        .size:           2
        .value_kind:     hidden_group_size_x
      - .offset:         78
        .size:           2
        .value_kind:     hidden_group_size_y
      - .offset:         80
        .size:           2
        .value_kind:     hidden_group_size_z
      - .offset:         82
        .size:           2
        .value_kind:     hidden_remainder_x
      - .offset:         84
        .size:           2
        .value_kind:     hidden_remainder_y
      - .offset:         86
        .size:           2
        .value_kind:     hidden_remainder_z
      - .offset:         104
        .size:           8
        .value_kind:     hidden_global_offset_x
      - .offset:         112
        .size:           8
        .value_kind:     hidden_global_offset_y
      - .offset:         120
        .size:           8
        .value_kind:     hidden_global_offset_z
      - .offset:         128
        .size:           2
        .value_kind:     hidden_grid_dims
      - .offset:         184
        .size:           4
        .value_kind:     hidden_dynamic_lds_size
    .group_segment_fixed_size: 0
    .kernarg_segment_align: 8
    .kernarg_segment_size: 320
    .language:       OpenCL C
    .language_version:
      - 2
      - 0
    .max_flat_workgroup_size: 1024
    .name:           _ZN12tensorrt_llm7kernels32fusedQKNormRopeKernelNTokenHeadsIN3c104HalfES3_Li128ELb1ELi8EEEvPviiifPKvS6_S6_PKlii
    .private_segment_fixed_size: 0
    .sgpr_count:     23
    .sgpr_spill_count: 0
    .symbol:         _ZN12tensorrt_llm7kernels32fusedQKNormRopeKernelNTokenHeadsIN3c104HalfES3_Li128ELb1ELi8EEEvPviiifPKvS6_S6_PKlii.kd
    .uniform_work_group_size: 1
    .uses_dynamic_stack: false
    .vgpr_count:     31
    .vgpr_spill_count: 0
    .wavefront_size: 32
    .workgroup_processor_mode: 1
  - .args:
      - .address_space:  global
        .offset:         0
        .size:           8
        .value_kind:     global_buffer
      - .offset:         8
        .size:           4
        .value_kind:     by_value
      - .offset:         12
        .size:           4
        .value_kind:     by_value
      - .offset:         16
        .size:           4
        .value_kind:     by_value
      - .offset:         20
        .size:           4
        .value_kind:     by_value
      - .address_space:  global
        .offset:         24
        .size:           8
        .value_kind:     global_buffer
      - .address_space:  global
        .offset:         32
        .size:           8
        .value_kind:     global_buffer
      - .address_space:  global
        .offset:         40
        .size:           8
        .value_kind:     global_buffer
      - .address_space:  global
        .offset:         48
        .size:           8
        .value_kind:     global_buffer
      - .offset:         56
        .size:           4
        .value_kind:     by_value
      - .offset:         60
        .size:           4
        .value_kind:     by_value
      - .offset:         64
        .size:           4
        .value_kind:     hidden_block_count_x
      - .offset:         68
        .size:           4
        .value_kind:     hidden_block_count_y
      - .offset:         72
        .size:           4
        .value_kind:     hidden_block_count_z
      - .offset:         76
        .size:           2
        .value_kind:     hidden_group_size_x
      - .offset:         78
        .size:           2
        .value_kind:     hidden_group_size_y
      - .offset:         80
        .size:           2
        .value_kind:     hidden_group_size_z
      - .offset:         82
        .size:           2
        .value_kind:     hidden_remainder_x
      - .offset:         84
        .size:           2
        .value_kind:     hidden_remainder_y
      - .offset:         86
        .size:           2
        .value_kind:     hidden_remainder_z
      - .offset:         104
        .size:           8
        .value_kind:     hidden_global_offset_x
      - .offset:         112
        .size:           8
        .value_kind:     hidden_global_offset_y
      - .offset:         120
        .size:           8
        .value_kind:     hidden_global_offset_z
      - .offset:         128
        .size:           2
        .value_kind:     hidden_grid_dims
      - .offset:         184
        .size:           4
        .value_kind:     hidden_dynamic_lds_size
    .group_segment_fixed_size: 0
    .kernarg_segment_align: 8
    .kernarg_segment_size: 320
    .language:       OpenCL C
    .language_version:
      - 2
      - 0
    .max_flat_workgroup_size: 1024
    .name:           _ZN12tensorrt_llm7kernels32fusedQKNormRopeKernelNTokenHeadsIN3c104HalfES3_Li128ELb0ELi8EEEvPviiifPKvS6_S6_PKlii
    .private_segment_fixed_size: 0
    .sgpr_count:     23
    .sgpr_spill_count: 0
    .symbol:         _ZN12tensorrt_llm7kernels32fusedQKNormRopeKernelNTokenHeadsIN3c104HalfES3_Li128ELb0ELi8EEEvPviiifPKvS6_S6_PKlii.kd
    .uniform_work_group_size: 1
    .uses_dynamic_stack: false
    .vgpr_count:     42
    .vgpr_spill_count: 0
    .wavefront_size: 32
    .workgroup_processor_mode: 1
  - .args:
      - .address_space:  global
        .offset:         0
        .size:           8
        .value_kind:     global_buffer
      - .offset:         8
        .size:           4
        .value_kind:     by_value
      - .offset:         12
        .size:           4
        .value_kind:     by_value
      - .offset:         16
        .size:           4
        .value_kind:     by_value
      - .offset:         20
        .size:           4
        .value_kind:     by_value
      - .address_space:  global
        .offset:         24
        .size:           8
        .value_kind:     global_buffer
      - .address_space:  global
        .offset:         32
        .size:           8
        .value_kind:     global_buffer
      - .address_space:  global
        .offset:         40
        .size:           8
        .value_kind:     global_buffer
      - .address_space:  global
        .offset:         48
        .size:           8
        .value_kind:     global_buffer
      - .offset:         56
        .size:           4
        .value_kind:     by_value
      - .offset:         60
        .size:           4
        .value_kind:     by_value
      - .offset:         64
        .size:           4
        .value_kind:     hidden_block_count_x
      - .offset:         68
        .size:           4
        .value_kind:     hidden_block_count_y
      - .offset:         72
        .size:           4
        .value_kind:     hidden_block_count_z
      - .offset:         76
        .size:           2
        .value_kind:     hidden_group_size_x
      - .offset:         78
        .size:           2
        .value_kind:     hidden_group_size_y
      - .offset:         80
        .size:           2
        .value_kind:     hidden_group_size_z
      - .offset:         82
        .size:           2
        .value_kind:     hidden_remainder_x
      - .offset:         84
        .size:           2
        .value_kind:     hidden_remainder_y
      - .offset:         86
        .size:           2
        .value_kind:     hidden_remainder_z
      - .offset:         104
        .size:           8
        .value_kind:     hidden_global_offset_x
      - .offset:         112
        .size:           8
        .value_kind:     hidden_global_offset_y
      - .offset:         120
        .size:           8
        .value_kind:     hidden_global_offset_z
      - .offset:         128
        .size:           2
        .value_kind:     hidden_grid_dims
      - .offset:         184
        .size:           4
        .value_kind:     hidden_dynamic_lds_size
    .group_segment_fixed_size: 0
    .kernarg_segment_align: 8
    .kernarg_segment_size: 320
    .language:       OpenCL C
    .language_version:
      - 2
      - 0
    .max_flat_workgroup_size: 1024
    .name:           _ZN12tensorrt_llm7kernels32fusedQKNormRopeKernelNTokenHeadsIN3c104HalfES3_Li256ELb1ELi8EEEvPviiifPKvS6_S6_PKlii
    .private_segment_fixed_size: 0
    .sgpr_count:     23
    .sgpr_spill_count: 0
    .symbol:         _ZN12tensorrt_llm7kernels32fusedQKNormRopeKernelNTokenHeadsIN3c104HalfES3_Li256ELb1ELi8EEEvPviiifPKvS6_S6_PKlii.kd
    .uniform_work_group_size: 1
    .uses_dynamic_stack: false
    .vgpr_count:     46
    .vgpr_spill_count: 0
    .wavefront_size: 32
    .workgroup_processor_mode: 1
  - .args:
      - .address_space:  global
        .offset:         0
        .size:           8
        .value_kind:     global_buffer
      - .offset:         8
        .size:           4
        .value_kind:     by_value
      - .offset:         12
        .size:           4
        .value_kind:     by_value
      - .offset:         16
        .size:           4
        .value_kind:     by_value
      - .offset:         20
        .size:           4
        .value_kind:     by_value
      - .address_space:  global
        .offset:         24
        .size:           8
        .value_kind:     global_buffer
      - .address_space:  global
        .offset:         32
        .size:           8
        .value_kind:     global_buffer
      - .address_space:  global
        .offset:         40
        .size:           8
        .value_kind:     global_buffer
      - .address_space:  global
        .offset:         48
        .size:           8
        .value_kind:     global_buffer
      - .offset:         56
        .size:           4
        .value_kind:     by_value
      - .offset:         60
        .size:           4
        .value_kind:     by_value
      - .offset:         64
        .size:           4
        .value_kind:     hidden_block_count_x
      - .offset:         68
        .size:           4
        .value_kind:     hidden_block_count_y
      - .offset:         72
        .size:           4
        .value_kind:     hidden_block_count_z
      - .offset:         76
        .size:           2
        .value_kind:     hidden_group_size_x
      - .offset:         78
        .size:           2
        .value_kind:     hidden_group_size_y
      - .offset:         80
        .size:           2
        .value_kind:     hidden_group_size_z
      - .offset:         82
        .size:           2
        .value_kind:     hidden_remainder_x
      - .offset:         84
        .size:           2
        .value_kind:     hidden_remainder_y
      - .offset:         86
        .size:           2
        .value_kind:     hidden_remainder_z
      - .offset:         104
        .size:           8
        .value_kind:     hidden_global_offset_x
      - .offset:         112
        .size:           8
        .value_kind:     hidden_global_offset_y
      - .offset:         120
        .size:           8
        .value_kind:     hidden_global_offset_z
      - .offset:         128
        .size:           2
        .value_kind:     hidden_grid_dims
      - .offset:         184
        .size:           4
        .value_kind:     hidden_dynamic_lds_size
    .group_segment_fixed_size: 0
    .kernarg_segment_align: 8
    .kernarg_segment_size: 320
    .language:       OpenCL C
    .language_version:
      - 2
      - 0
    .max_flat_workgroup_size: 1024
    .name:           _ZN12tensorrt_llm7kernels32fusedQKNormRopeKernelNTokenHeadsIN3c104HalfES3_Li256ELb0ELi8EEEvPviiifPKvS6_S6_PKlii
    .private_segment_fixed_size: 0
    .sgpr_count:     23
    .sgpr_spill_count: 0
    .symbol:         _ZN12tensorrt_llm7kernels32fusedQKNormRopeKernelNTokenHeadsIN3c104HalfES3_Li256ELb0ELi8EEEvPviiifPKvS6_S6_PKlii.kd
    .uniform_work_group_size: 1
    .uses_dynamic_stack: false
    .vgpr_count:     72
    .vgpr_spill_count: 0
    .wavefront_size: 32
    .workgroup_processor_mode: 1
  - .args:
      - .address_space:  global
        .offset:         0
        .size:           8
        .value_kind:     global_buffer
      - .offset:         8
        .size:           4
        .value_kind:     by_value
      - .offset:         12
        .size:           4
        .value_kind:     by_value
      - .offset:         16
        .size:           4
        .value_kind:     by_value
      - .offset:         20
        .size:           4
        .value_kind:     by_value
      - .address_space:  global
        .offset:         24
        .size:           8
        .value_kind:     global_buffer
      - .address_space:  global
        .offset:         32
        .size:           8
        .value_kind:     global_buffer
      - .address_space:  global
        .offset:         40
        .size:           8
        .value_kind:     global_buffer
      - .address_space:  global
        .offset:         48
        .size:           8
        .value_kind:     global_buffer
      - .offset:         56
        .size:           4
        .value_kind:     by_value
      - .offset:         60
        .size:           4
        .value_kind:     by_value
      - .offset:         64
        .size:           4
        .value_kind:     hidden_block_count_x
      - .offset:         68
        .size:           4
        .value_kind:     hidden_block_count_y
      - .offset:         72
        .size:           4
        .value_kind:     hidden_block_count_z
      - .offset:         76
        .size:           2
        .value_kind:     hidden_group_size_x
      - .offset:         78
        .size:           2
        .value_kind:     hidden_group_size_y
      - .offset:         80
        .size:           2
        .value_kind:     hidden_group_size_z
      - .offset:         82
        .size:           2
        .value_kind:     hidden_remainder_x
      - .offset:         84
        .size:           2
        .value_kind:     hidden_remainder_y
      - .offset:         86
        .size:           2
        .value_kind:     hidden_remainder_z
      - .offset:         104
        .size:           8
        .value_kind:     hidden_global_offset_x
      - .offset:         112
        .size:           8
        .value_kind:     hidden_global_offset_y
      - .offset:         120
        .size:           8
        .value_kind:     hidden_global_offset_z
      - .offset:         128
        .size:           2
        .value_kind:     hidden_grid_dims
    .group_segment_fixed_size: 0
    .kernarg_segment_align: 8
    .kernarg_segment_size: 320
    .language:       OpenCL C
    .language_version:
      - 2
      - 0
    .max_flat_workgroup_size: 1024
    .name:           _ZN12tensorrt_llm7kernels21fusedQKNormRopeKernelIN3c104HalfENS2_8BFloat16ELi64ELb1EEEvPviiifPKvS7_S7_PKlii
    .private_segment_fixed_size: 0
    .sgpr_count:     18
    .sgpr_spill_count: 0
    .symbol:         _ZN12tensorrt_llm7kernels21fusedQKNormRopeKernelIN3c104HalfENS2_8BFloat16ELi64ELb1EEEvPviiifPKvS7_S7_PKlii.kd
    .uniform_work_group_size: 1
    .uses_dynamic_stack: false
    .vgpr_count:     12
    .vgpr_spill_count: 0
    .wavefront_size: 32
    .workgroup_processor_mode: 1
  - .args:
      - .address_space:  global
        .offset:         0
        .size:           8
        .value_kind:     global_buffer
      - .offset:         8
        .size:           4
        .value_kind:     by_value
      - .offset:         12
        .size:           4
        .value_kind:     by_value
      - .offset:         16
        .size:           4
        .value_kind:     by_value
      - .offset:         20
        .size:           4
        .value_kind:     by_value
      - .address_space:  global
        .offset:         24
        .size:           8
        .value_kind:     global_buffer
      - .address_space:  global
        .offset:         32
        .size:           8
        .value_kind:     global_buffer
      - .address_space:  global
        .offset:         40
        .size:           8
        .value_kind:     global_buffer
      - .address_space:  global
        .offset:         48
        .size:           8
        .value_kind:     global_buffer
      - .offset:         56
        .size:           4
        .value_kind:     by_value
      - .offset:         60
        .size:           4
        .value_kind:     by_value
      - .offset:         64
        .size:           4
        .value_kind:     hidden_block_count_x
      - .offset:         68
        .size:           4
        .value_kind:     hidden_block_count_y
      - .offset:         72
        .size:           4
        .value_kind:     hidden_block_count_z
      - .offset:         76
        .size:           2
        .value_kind:     hidden_group_size_x
      - .offset:         78
        .size:           2
        .value_kind:     hidden_group_size_y
      - .offset:         80
        .size:           2
        .value_kind:     hidden_group_size_z
      - .offset:         82
        .size:           2
        .value_kind:     hidden_remainder_x
      - .offset:         84
        .size:           2
        .value_kind:     hidden_remainder_y
      - .offset:         86
        .size:           2
        .value_kind:     hidden_remainder_z
      - .offset:         104
        .size:           8
        .value_kind:     hidden_global_offset_x
      - .offset:         112
        .size:           8
        .value_kind:     hidden_global_offset_y
      - .offset:         120
        .size:           8
        .value_kind:     hidden_global_offset_z
      - .offset:         128
        .size:           2
        .value_kind:     hidden_grid_dims
    .group_segment_fixed_size: 0
    .kernarg_segment_align: 8
    .kernarg_segment_size: 320
    .language:       OpenCL C
    .language_version:
      - 2
      - 0
    .max_flat_workgroup_size: 1024
    .name:           _ZN12tensorrt_llm7kernels21fusedQKNormRopeKernelIN3c104HalfENS2_8BFloat16ELi64ELb0EEEvPviiifPKvS7_S7_PKlii
    .private_segment_fixed_size: 0
    .sgpr_count:     18
    .sgpr_spill_count: 0
    .symbol:         _ZN12tensorrt_llm7kernels21fusedQKNormRopeKernelIN3c104HalfENS2_8BFloat16ELi64ELb0EEEvPviiifPKvS7_S7_PKlii.kd
    .uniform_work_group_size: 1
    .uses_dynamic_stack: false
    .vgpr_count:     15
    .vgpr_spill_count: 0
    .wavefront_size: 32
    .workgroup_processor_mode: 1
  - .args:
      - .address_space:  global
        .offset:         0
        .size:           8
        .value_kind:     global_buffer
      - .offset:         8
        .size:           4
        .value_kind:     by_value
      - .offset:         12
        .size:           4
        .value_kind:     by_value
      - .offset:         16
        .size:           4
        .value_kind:     by_value
      - .offset:         20
        .size:           4
        .value_kind:     by_value
      - .address_space:  global
        .offset:         24
        .size:           8
        .value_kind:     global_buffer
      - .address_space:  global
        .offset:         32
        .size:           8
        .value_kind:     global_buffer
      - .address_space:  global
        .offset:         40
        .size:           8
        .value_kind:     global_buffer
      - .address_space:  global
        .offset:         48
        .size:           8
        .value_kind:     global_buffer
      - .offset:         56
        .size:           4
        .value_kind:     by_value
      - .offset:         60
        .size:           4
        .value_kind:     by_value
      - .offset:         64
        .size:           4
        .value_kind:     hidden_block_count_x
      - .offset:         68
        .size:           4
        .value_kind:     hidden_block_count_y
      - .offset:         72
        .size:           4
        .value_kind:     hidden_block_count_z
      - .offset:         76
        .size:           2
        .value_kind:     hidden_group_size_x
      - .offset:         78
        .size:           2
        .value_kind:     hidden_group_size_y
      - .offset:         80
        .size:           2
        .value_kind:     hidden_group_size_z
      - .offset:         82
        .size:           2
        .value_kind:     hidden_remainder_x
      - .offset:         84
        .size:           2
        .value_kind:     hidden_remainder_y
      - .offset:         86
        .size:           2
        .value_kind:     hidden_remainder_z
      - .offset:         104
        .size:           8
        .value_kind:     hidden_global_offset_x
      - .offset:         112
        .size:           8
        .value_kind:     hidden_global_offset_y
      - .offset:         120
        .size:           8
        .value_kind:     hidden_global_offset_z
      - .offset:         128
        .size:           2
        .value_kind:     hidden_grid_dims
    .group_segment_fixed_size: 0
    .kernarg_segment_align: 8
    .kernarg_segment_size: 320
    .language:       OpenCL C
    .language_version:
      - 2
      - 0
    .max_flat_workgroup_size: 1024
    .name:           _ZN12tensorrt_llm7kernels21fusedQKNormRopeKernelIN3c104HalfENS2_8BFloat16ELi128ELb1EEEvPviiifPKvS7_S7_PKlii
    .private_segment_fixed_size: 0
    .sgpr_count:     18
    .sgpr_spill_count: 0
    .symbol:         _ZN12tensorrt_llm7kernels21fusedQKNormRopeKernelIN3c104HalfENS2_8BFloat16ELi128ELb1EEEvPviiifPKvS7_S7_PKlii.kd
    .uniform_work_group_size: 1
    .uses_dynamic_stack: false
    .vgpr_count:     15
    .vgpr_spill_count: 0
    .wavefront_size: 32
    .workgroup_processor_mode: 1
  - .args:
      - .address_space:  global
        .offset:         0
        .size:           8
        .value_kind:     global_buffer
      - .offset:         8
        .size:           4
        .value_kind:     by_value
      - .offset:         12
        .size:           4
        .value_kind:     by_value
      - .offset:         16
        .size:           4
        .value_kind:     by_value
      - .offset:         20
        .size:           4
        .value_kind:     by_value
      - .address_space:  global
        .offset:         24
        .size:           8
        .value_kind:     global_buffer
      - .address_space:  global
        .offset:         32
        .size:           8
        .value_kind:     global_buffer
      - .address_space:  global
        .offset:         40
        .size:           8
        .value_kind:     global_buffer
      - .address_space:  global
        .offset:         48
        .size:           8
        .value_kind:     global_buffer
      - .offset:         56
        .size:           4
        .value_kind:     by_value
      - .offset:         60
        .size:           4
        .value_kind:     by_value
      - .offset:         64
        .size:           4
        .value_kind:     hidden_block_count_x
      - .offset:         68
        .size:           4
        .value_kind:     hidden_block_count_y
      - .offset:         72
        .size:           4
        .value_kind:     hidden_block_count_z
      - .offset:         76
        .size:           2
        .value_kind:     hidden_group_size_x
      - .offset:         78
        .size:           2
        .value_kind:     hidden_group_size_y
      - .offset:         80
        .size:           2
        .value_kind:     hidden_group_size_z
      - .offset:         82
        .size:           2
        .value_kind:     hidden_remainder_x
      - .offset:         84
        .size:           2
        .value_kind:     hidden_remainder_y
      - .offset:         86
        .size:           2
        .value_kind:     hidden_remainder_z
      - .offset:         104
        .size:           8
        .value_kind:     hidden_global_offset_x
      - .offset:         112
        .size:           8
        .value_kind:     hidden_global_offset_y
      - .offset:         120
        .size:           8
        .value_kind:     hidden_global_offset_z
      - .offset:         128
        .size:           2
        .value_kind:     hidden_grid_dims
    .group_segment_fixed_size: 0
    .kernarg_segment_align: 8
    .kernarg_segment_size: 320
    .language:       OpenCL C
    .language_version:
      - 2
      - 0
    .max_flat_workgroup_size: 1024
    .name:           _ZN12tensorrt_llm7kernels21fusedQKNormRopeKernelIN3c104HalfENS2_8BFloat16ELi128ELb0EEEvPviiifPKvS7_S7_PKlii
    .private_segment_fixed_size: 0
    .sgpr_count:     18
    .sgpr_spill_count: 0
    .symbol:         _ZN12tensorrt_llm7kernels21fusedQKNormRopeKernelIN3c104HalfENS2_8BFloat16ELi128ELb0EEEvPviiifPKvS7_S7_PKlii.kd
    .uniform_work_group_size: 1
    .uses_dynamic_stack: false
    .vgpr_count:     25
    .vgpr_spill_count: 0
    .wavefront_size: 32
    .workgroup_processor_mode: 1
  - .args:
      - .address_space:  global
        .offset:         0
        .size:           8
        .value_kind:     global_buffer
      - .offset:         8
        .size:           4
        .value_kind:     by_value
      - .offset:         12
        .size:           4
        .value_kind:     by_value
      - .offset:         16
        .size:           4
        .value_kind:     by_value
      - .offset:         20
        .size:           4
        .value_kind:     by_value
      - .address_space:  global
        .offset:         24
        .size:           8
        .value_kind:     global_buffer
      - .address_space:  global
        .offset:         32
        .size:           8
        .value_kind:     global_buffer
      - .address_space:  global
        .offset:         40
        .size:           8
        .value_kind:     global_buffer
      - .address_space:  global
        .offset:         48
        .size:           8
        .value_kind:     global_buffer
      - .offset:         56
        .size:           4
        .value_kind:     by_value
      - .offset:         60
        .size:           4
        .value_kind:     by_value
      - .offset:         64
        .size:           4
        .value_kind:     hidden_block_count_x
      - .offset:         68
        .size:           4
        .value_kind:     hidden_block_count_y
      - .offset:         72
        .size:           4
        .value_kind:     hidden_block_count_z
      - .offset:         76
        .size:           2
        .value_kind:     hidden_group_size_x
      - .offset:         78
        .size:           2
        .value_kind:     hidden_group_size_y
      - .offset:         80
        .size:           2
        .value_kind:     hidden_group_size_z
      - .offset:         82
        .size:           2
        .value_kind:     hidden_remainder_x
      - .offset:         84
        .size:           2
        .value_kind:     hidden_remainder_y
      - .offset:         86
        .size:           2
        .value_kind:     hidden_remainder_z
      - .offset:         104
        .size:           8
        .value_kind:     hidden_global_offset_x
      - .offset:         112
        .size:           8
        .value_kind:     hidden_global_offset_y
      - .offset:         120
        .size:           8
        .value_kind:     hidden_global_offset_z
      - .offset:         128
        .size:           2
        .value_kind:     hidden_grid_dims
    .group_segment_fixed_size: 0
    .kernarg_segment_align: 8
    .kernarg_segment_size: 320
    .language:       OpenCL C
    .language_version:
      - 2
      - 0
    .max_flat_workgroup_size: 1024
    .name:           _ZN12tensorrt_llm7kernels21fusedQKNormRopeKernelIN3c104HalfENS2_8BFloat16ELi256ELb1EEEvPviiifPKvS7_S7_PKlii
    .private_segment_fixed_size: 0
    .sgpr_count:     18
    .sgpr_spill_count: 0
    .symbol:         _ZN12tensorrt_llm7kernels21fusedQKNormRopeKernelIN3c104HalfENS2_8BFloat16ELi256ELb1EEEvPviiifPKvS7_S7_PKlii.kd
    .uniform_work_group_size: 1
    .uses_dynamic_stack: false
    .vgpr_count:     23
    .vgpr_spill_count: 0
    .wavefront_size: 32
    .workgroup_processor_mode: 1
  - .args:
      - .address_space:  global
        .offset:         0
        .size:           8
        .value_kind:     global_buffer
      - .offset:         8
        .size:           4
        .value_kind:     by_value
      - .offset:         12
        .size:           4
        .value_kind:     by_value
      - .offset:         16
        .size:           4
        .value_kind:     by_value
      - .offset:         20
        .size:           4
        .value_kind:     by_value
      - .address_space:  global
        .offset:         24
        .size:           8
        .value_kind:     global_buffer
      - .address_space:  global
        .offset:         32
        .size:           8
        .value_kind:     global_buffer
      - .address_space:  global
        .offset:         40
        .size:           8
        .value_kind:     global_buffer
      - .address_space:  global
        .offset:         48
        .size:           8
        .value_kind:     global_buffer
      - .offset:         56
        .size:           4
        .value_kind:     by_value
      - .offset:         60
        .size:           4
        .value_kind:     by_value
      - .offset:         64
        .size:           4
        .value_kind:     hidden_block_count_x
      - .offset:         68
        .size:           4
        .value_kind:     hidden_block_count_y
      - .offset:         72
        .size:           4
        .value_kind:     hidden_block_count_z
      - .offset:         76
        .size:           2
        .value_kind:     hidden_group_size_x
      - .offset:         78
        .size:           2
        .value_kind:     hidden_group_size_y
      - .offset:         80
        .size:           2
        .value_kind:     hidden_group_size_z
      - .offset:         82
        .size:           2
        .value_kind:     hidden_remainder_x
      - .offset:         84
        .size:           2
        .value_kind:     hidden_remainder_y
      - .offset:         86
        .size:           2
        .value_kind:     hidden_remainder_z
      - .offset:         104
        .size:           8
        .value_kind:     hidden_global_offset_x
      - .offset:         112
        .size:           8
        .value_kind:     hidden_global_offset_y
      - .offset:         120
        .size:           8
        .value_kind:     hidden_global_offset_z
      - .offset:         128
        .size:           2
        .value_kind:     hidden_grid_dims
    .group_segment_fixed_size: 0
    .kernarg_segment_align: 8
    .kernarg_segment_size: 320
    .language:       OpenCL C
    .language_version:
      - 2
      - 0
    .max_flat_workgroup_size: 1024
    .name:           _ZN12tensorrt_llm7kernels21fusedQKNormRopeKernelIN3c104HalfENS2_8BFloat16ELi256ELb0EEEvPviiifPKvS7_S7_PKlii
    .private_segment_fixed_size: 0
    .sgpr_count:     18
    .sgpr_spill_count: 0
    .symbol:         _ZN12tensorrt_llm7kernels21fusedQKNormRopeKernelIN3c104HalfENS2_8BFloat16ELi256ELb0EEEvPviiifPKvS7_S7_PKlii.kd
    .uniform_work_group_size: 1
    .uses_dynamic_stack: false
    .vgpr_count:     43
    .vgpr_spill_count: 0
    .wavefront_size: 32
    .workgroup_processor_mode: 1
  - .args:
      - .address_space:  global
        .offset:         0
        .size:           8
        .value_kind:     global_buffer
      - .offset:         8
        .size:           4
        .value_kind:     by_value
      - .offset:         12
        .size:           4
        .value_kind:     by_value
      - .offset:         16
        .size:           4
        .value_kind:     by_value
      - .offset:         20
        .size:           4
        .value_kind:     by_value
      - .address_space:  global
        .offset:         24
        .size:           8
        .value_kind:     global_buffer
      - .address_space:  global
        .offset:         32
        .size:           8
        .value_kind:     global_buffer
      - .address_space:  global
        .offset:         40
        .size:           8
        .value_kind:     global_buffer
      - .address_space:  global
        .offset:         48
        .size:           8
        .value_kind:     global_buffer
      - .offset:         56
        .size:           4
        .value_kind:     by_value
      - .offset:         60
        .size:           4
        .value_kind:     by_value
      - .offset:         64
        .size:           4
        .value_kind:     hidden_block_count_x
      - .offset:         68
        .size:           4
        .value_kind:     hidden_block_count_y
      - .offset:         72
        .size:           4
        .value_kind:     hidden_block_count_z
      - .offset:         76
        .size:           2
        .value_kind:     hidden_group_size_x
      - .offset:         78
        .size:           2
        .value_kind:     hidden_group_size_y
      - .offset:         80
        .size:           2
        .value_kind:     hidden_group_size_z
      - .offset:         82
        .size:           2
        .value_kind:     hidden_remainder_x
      - .offset:         84
        .size:           2
        .value_kind:     hidden_remainder_y
      - .offset:         86
        .size:           2
        .value_kind:     hidden_remainder_z
      - .offset:         104
        .size:           8
        .value_kind:     hidden_global_offset_x
      - .offset:         112
        .size:           8
        .value_kind:     hidden_global_offset_y
      - .offset:         120
        .size:           8
        .value_kind:     hidden_global_offset_z
      - .offset:         128
        .size:           2
        .value_kind:     hidden_grid_dims
      - .offset:         184
        .size:           4
        .value_kind:     hidden_dynamic_lds_size
    .group_segment_fixed_size: 0
    .kernarg_segment_align: 8
    .kernarg_segment_size: 320
    .language:       OpenCL C
    .language_version:
      - 2
      - 0
    .max_flat_workgroup_size: 1024
    .name:           _ZN12tensorrt_llm7kernels32fusedQKNormRopeKernelNTokenHeadsIN3c104HalfENS2_8BFloat16ELi64ELb1ELi2EEEvPviiifPKvS7_S7_PKlii
    .private_segment_fixed_size: 0
    .sgpr_count:     23
    .sgpr_spill_count: 0
    .symbol:         _ZN12tensorrt_llm7kernels32fusedQKNormRopeKernelNTokenHeadsIN3c104HalfENS2_8BFloat16ELi64ELb1ELi2EEEvPviiifPKvS7_S7_PKlii.kd
    .uniform_work_group_size: 1
    .uses_dynamic_stack: false
    .vgpr_count:     21
    .vgpr_spill_count: 0
    .wavefront_size: 32
    .workgroup_processor_mode: 1
  - .args:
      - .address_space:  global
        .offset:         0
        .size:           8
        .value_kind:     global_buffer
      - .offset:         8
        .size:           4
        .value_kind:     by_value
      - .offset:         12
        .size:           4
        .value_kind:     by_value
      - .offset:         16
        .size:           4
        .value_kind:     by_value
      - .offset:         20
        .size:           4
        .value_kind:     by_value
      - .address_space:  global
        .offset:         24
        .size:           8
        .value_kind:     global_buffer
      - .address_space:  global
        .offset:         32
        .size:           8
        .value_kind:     global_buffer
      - .address_space:  global
        .offset:         40
        .size:           8
        .value_kind:     global_buffer
      - .address_space:  global
        .offset:         48
        .size:           8
        .value_kind:     global_buffer
      - .offset:         56
        .size:           4
        .value_kind:     by_value
      - .offset:         60
        .size:           4
        .value_kind:     by_value
      - .offset:         64
        .size:           4
        .value_kind:     hidden_block_count_x
      - .offset:         68
        .size:           4
        .value_kind:     hidden_block_count_y
      - .offset:         72
        .size:           4
        .value_kind:     hidden_block_count_z
      - .offset:         76
        .size:           2
        .value_kind:     hidden_group_size_x
      - .offset:         78
        .size:           2
        .value_kind:     hidden_group_size_y
      - .offset:         80
        .size:           2
        .value_kind:     hidden_group_size_z
      - .offset:         82
        .size:           2
        .value_kind:     hidden_remainder_x
      - .offset:         84
        .size:           2
        .value_kind:     hidden_remainder_y
      - .offset:         86
        .size:           2
        .value_kind:     hidden_remainder_z
      - .offset:         104
        .size:           8
        .value_kind:     hidden_global_offset_x
      - .offset:         112
        .size:           8
        .value_kind:     hidden_global_offset_y
      - .offset:         120
        .size:           8
        .value_kind:     hidden_global_offset_z
      - .offset:         128
        .size:           2
        .value_kind:     hidden_grid_dims
      - .offset:         184
        .size:           4
        .value_kind:     hidden_dynamic_lds_size
    .group_segment_fixed_size: 0
    .kernarg_segment_align: 8
    .kernarg_segment_size: 320
    .language:       OpenCL C
    .language_version:
      - 2
      - 0
    .max_flat_workgroup_size: 1024
    .name:           _ZN12tensorrt_llm7kernels32fusedQKNormRopeKernelNTokenHeadsIN3c104HalfENS2_8BFloat16ELi64ELb0ELi2EEEvPviiifPKvS7_S7_PKlii
    .private_segment_fixed_size: 0
    .sgpr_count:     23
    .sgpr_spill_count: 0
    .symbol:         _ZN12tensorrt_llm7kernels32fusedQKNormRopeKernelNTokenHeadsIN3c104HalfENS2_8BFloat16ELi64ELb0ELi2EEEvPviiifPKvS7_S7_PKlii.kd
    .uniform_work_group_size: 1
    .uses_dynamic_stack: false
    .vgpr_count:     26
    .vgpr_spill_count: 0
    .wavefront_size: 32
    .workgroup_processor_mode: 1
  - .args:
      - .address_space:  global
        .offset:         0
        .size:           8
        .value_kind:     global_buffer
      - .offset:         8
        .size:           4
        .value_kind:     by_value
      - .offset:         12
        .size:           4
        .value_kind:     by_value
      - .offset:         16
        .size:           4
        .value_kind:     by_value
      - .offset:         20
        .size:           4
        .value_kind:     by_value
      - .address_space:  global
        .offset:         24
        .size:           8
        .value_kind:     global_buffer
      - .address_space:  global
        .offset:         32
        .size:           8
        .value_kind:     global_buffer
      - .address_space:  global
        .offset:         40
        .size:           8
        .value_kind:     global_buffer
      - .address_space:  global
        .offset:         48
        .size:           8
        .value_kind:     global_buffer
      - .offset:         56
        .size:           4
        .value_kind:     by_value
      - .offset:         60
        .size:           4
        .value_kind:     by_value
      - .offset:         64
        .size:           4
        .value_kind:     hidden_block_count_x
      - .offset:         68
        .size:           4
        .value_kind:     hidden_block_count_y
      - .offset:         72
        .size:           4
        .value_kind:     hidden_block_count_z
      - .offset:         76
        .size:           2
        .value_kind:     hidden_group_size_x
      - .offset:         78
        .size:           2
        .value_kind:     hidden_group_size_y
      - .offset:         80
        .size:           2
        .value_kind:     hidden_group_size_z
      - .offset:         82
        .size:           2
        .value_kind:     hidden_remainder_x
      - .offset:         84
        .size:           2
        .value_kind:     hidden_remainder_y
      - .offset:         86
        .size:           2
        .value_kind:     hidden_remainder_z
      - .offset:         104
        .size:           8
        .value_kind:     hidden_global_offset_x
      - .offset:         112
        .size:           8
        .value_kind:     hidden_global_offset_y
      - .offset:         120
        .size:           8
        .value_kind:     hidden_global_offset_z
      - .offset:         128
        .size:           2
        .value_kind:     hidden_grid_dims
      - .offset:         184
        .size:           4
        .value_kind:     hidden_dynamic_lds_size
    .group_segment_fixed_size: 0
    .kernarg_segment_align: 8
    .kernarg_segment_size: 320
    .language:       OpenCL C
    .language_version:
      - 2
      - 0
    .max_flat_workgroup_size: 1024
    .name:           _ZN12tensorrt_llm7kernels32fusedQKNormRopeKernelNTokenHeadsIN3c104HalfENS2_8BFloat16ELi128ELb1ELi2EEEvPviiifPKvS7_S7_PKlii
    .private_segment_fixed_size: 0
    .sgpr_count:     23
    .sgpr_spill_count: 0
    .symbol:         _ZN12tensorrt_llm7kernels32fusedQKNormRopeKernelNTokenHeadsIN3c104HalfENS2_8BFloat16ELi128ELb1ELi2EEEvPviiifPKvS7_S7_PKlii.kd
    .uniform_work_group_size: 1
    .uses_dynamic_stack: false
    .vgpr_count:     29
    .vgpr_spill_count: 0
    .wavefront_size: 32
    .workgroup_processor_mode: 1
  - .args:
      - .address_space:  global
        .offset:         0
        .size:           8
        .value_kind:     global_buffer
      - .offset:         8
        .size:           4
        .value_kind:     by_value
      - .offset:         12
        .size:           4
        .value_kind:     by_value
      - .offset:         16
        .size:           4
        .value_kind:     by_value
      - .offset:         20
        .size:           4
        .value_kind:     by_value
      - .address_space:  global
        .offset:         24
        .size:           8
        .value_kind:     global_buffer
      - .address_space:  global
        .offset:         32
        .size:           8
        .value_kind:     global_buffer
      - .address_space:  global
        .offset:         40
        .size:           8
        .value_kind:     global_buffer
      - .address_space:  global
        .offset:         48
        .size:           8
        .value_kind:     global_buffer
      - .offset:         56
        .size:           4
        .value_kind:     by_value
      - .offset:         60
        .size:           4
        .value_kind:     by_value
      - .offset:         64
        .size:           4
        .value_kind:     hidden_block_count_x
      - .offset:         68
        .size:           4
        .value_kind:     hidden_block_count_y
      - .offset:         72
        .size:           4
        .value_kind:     hidden_block_count_z
      - .offset:         76
        .size:           2
        .value_kind:     hidden_group_size_x
      - .offset:         78
        .size:           2
        .value_kind:     hidden_group_size_y
      - .offset:         80
        .size:           2
        .value_kind:     hidden_group_size_z
      - .offset:         82
        .size:           2
        .value_kind:     hidden_remainder_x
      - .offset:         84
        .size:           2
        .value_kind:     hidden_remainder_y
      - .offset:         86
        .size:           2
        .value_kind:     hidden_remainder_z
      - .offset:         104
        .size:           8
        .value_kind:     hidden_global_offset_x
      - .offset:         112
        .size:           8
        .value_kind:     hidden_global_offset_y
      - .offset:         120
        .size:           8
        .value_kind:     hidden_global_offset_z
      - .offset:         128
        .size:           2
        .value_kind:     hidden_grid_dims
      - .offset:         184
        .size:           4
        .value_kind:     hidden_dynamic_lds_size
    .group_segment_fixed_size: 0
    .kernarg_segment_align: 8
    .kernarg_segment_size: 320
    .language:       OpenCL C
    .language_version:
      - 2
      - 0
    .max_flat_workgroup_size: 1024
    .name:           _ZN12tensorrt_llm7kernels32fusedQKNormRopeKernelNTokenHeadsIN3c104HalfENS2_8BFloat16ELi128ELb0ELi2EEEvPviiifPKvS7_S7_PKlii
    .private_segment_fixed_size: 0
    .sgpr_count:     23
    .sgpr_spill_count: 0
    .symbol:         _ZN12tensorrt_llm7kernels32fusedQKNormRopeKernelNTokenHeadsIN3c104HalfENS2_8BFloat16ELi128ELb0ELi2EEEvPviiifPKvS7_S7_PKlii.kd
    .uniform_work_group_size: 1
    .uses_dynamic_stack: false
    .vgpr_count:     42
    .vgpr_spill_count: 0
    .wavefront_size: 32
    .workgroup_processor_mode: 1
  - .args:
      - .address_space:  global
        .offset:         0
        .size:           8
        .value_kind:     global_buffer
      - .offset:         8
        .size:           4
        .value_kind:     by_value
      - .offset:         12
        .size:           4
        .value_kind:     by_value
      - .offset:         16
        .size:           4
        .value_kind:     by_value
      - .offset:         20
        .size:           4
        .value_kind:     by_value
      - .address_space:  global
        .offset:         24
        .size:           8
        .value_kind:     global_buffer
      - .address_space:  global
        .offset:         32
        .size:           8
        .value_kind:     global_buffer
      - .address_space:  global
        .offset:         40
        .size:           8
        .value_kind:     global_buffer
      - .address_space:  global
        .offset:         48
        .size:           8
        .value_kind:     global_buffer
      - .offset:         56
        .size:           4
        .value_kind:     by_value
      - .offset:         60
        .size:           4
        .value_kind:     by_value
      - .offset:         64
        .size:           4
        .value_kind:     hidden_block_count_x
      - .offset:         68
        .size:           4
        .value_kind:     hidden_block_count_y
      - .offset:         72
        .size:           4
        .value_kind:     hidden_block_count_z
      - .offset:         76
        .size:           2
        .value_kind:     hidden_group_size_x
      - .offset:         78
        .size:           2
        .value_kind:     hidden_group_size_y
      - .offset:         80
        .size:           2
        .value_kind:     hidden_group_size_z
      - .offset:         82
        .size:           2
        .value_kind:     hidden_remainder_x
      - .offset:         84
        .size:           2
        .value_kind:     hidden_remainder_y
      - .offset:         86
        .size:           2
        .value_kind:     hidden_remainder_z
      - .offset:         104
        .size:           8
        .value_kind:     hidden_global_offset_x
      - .offset:         112
        .size:           8
        .value_kind:     hidden_global_offset_y
      - .offset:         120
        .size:           8
        .value_kind:     hidden_global_offset_z
      - .offset:         128
        .size:           2
        .value_kind:     hidden_grid_dims
      - .offset:         184
        .size:           4
        .value_kind:     hidden_dynamic_lds_size
    .group_segment_fixed_size: 0
    .kernarg_segment_align: 8
    .kernarg_segment_size: 320
    .language:       OpenCL C
    .language_version:
      - 2
      - 0
    .max_flat_workgroup_size: 1024
    .name:           _ZN12tensorrt_llm7kernels32fusedQKNormRopeKernelNTokenHeadsIN3c104HalfENS2_8BFloat16ELi256ELb1ELi2EEEvPviiifPKvS7_S7_PKlii
    .private_segment_fixed_size: 0
    .sgpr_count:     23
    .sgpr_spill_count: 0
    .symbol:         _ZN12tensorrt_llm7kernels32fusedQKNormRopeKernelNTokenHeadsIN3c104HalfENS2_8BFloat16ELi256ELb1ELi2EEEvPviiifPKvS7_S7_PKlii.kd
    .uniform_work_group_size: 1
    .uses_dynamic_stack: false
    .vgpr_count:     47
    .vgpr_spill_count: 0
    .wavefront_size: 32
    .workgroup_processor_mode: 1
  - .args:
      - .address_space:  global
        .offset:         0
        .size:           8
        .value_kind:     global_buffer
      - .offset:         8
        .size:           4
        .value_kind:     by_value
      - .offset:         12
        .size:           4
        .value_kind:     by_value
      - .offset:         16
        .size:           4
        .value_kind:     by_value
      - .offset:         20
        .size:           4
        .value_kind:     by_value
      - .address_space:  global
        .offset:         24
        .size:           8
        .value_kind:     global_buffer
      - .address_space:  global
        .offset:         32
        .size:           8
        .value_kind:     global_buffer
      - .address_space:  global
        .offset:         40
        .size:           8
        .value_kind:     global_buffer
      - .address_space:  global
        .offset:         48
        .size:           8
        .value_kind:     global_buffer
      - .offset:         56
        .size:           4
        .value_kind:     by_value
      - .offset:         60
        .size:           4
        .value_kind:     by_value
      - .offset:         64
        .size:           4
        .value_kind:     hidden_block_count_x
      - .offset:         68
        .size:           4
        .value_kind:     hidden_block_count_y
      - .offset:         72
        .size:           4
        .value_kind:     hidden_block_count_z
      - .offset:         76
        .size:           2
        .value_kind:     hidden_group_size_x
      - .offset:         78
        .size:           2
        .value_kind:     hidden_group_size_y
      - .offset:         80
        .size:           2
        .value_kind:     hidden_group_size_z
      - .offset:         82
        .size:           2
        .value_kind:     hidden_remainder_x
      - .offset:         84
        .size:           2
        .value_kind:     hidden_remainder_y
      - .offset:         86
        .size:           2
        .value_kind:     hidden_remainder_z
      - .offset:         104
        .size:           8
        .value_kind:     hidden_global_offset_x
      - .offset:         112
        .size:           8
        .value_kind:     hidden_global_offset_y
      - .offset:         120
        .size:           8
        .value_kind:     hidden_global_offset_z
      - .offset:         128
        .size:           2
        .value_kind:     hidden_grid_dims
      - .offset:         184
        .size:           4
        .value_kind:     hidden_dynamic_lds_size
    .group_segment_fixed_size: 0
    .kernarg_segment_align: 8
    .kernarg_segment_size: 320
    .language:       OpenCL C
    .language_version:
      - 2
      - 0
    .max_flat_workgroup_size: 1024
    .name:           _ZN12tensorrt_llm7kernels32fusedQKNormRopeKernelNTokenHeadsIN3c104HalfENS2_8BFloat16ELi256ELb0ELi2EEEvPviiifPKvS7_S7_PKlii
    .private_segment_fixed_size: 0
    .sgpr_count:     23
    .sgpr_spill_count: 0
    .symbol:         _ZN12tensorrt_llm7kernels32fusedQKNormRopeKernelNTokenHeadsIN3c104HalfENS2_8BFloat16ELi256ELb0ELi2EEEvPviiifPKvS7_S7_PKlii.kd
    .uniform_work_group_size: 1
    .uses_dynamic_stack: false
    .vgpr_count:     72
    .vgpr_spill_count: 0
    .wavefront_size: 32
    .workgroup_processor_mode: 1
  - .args:
      - .address_space:  global
        .offset:         0
        .size:           8
        .value_kind:     global_buffer
      - .offset:         8
        .size:           4
        .value_kind:     by_value
      - .offset:         12
        .size:           4
        .value_kind:     by_value
      - .offset:         16
        .size:           4
        .value_kind:     by_value
      - .offset:         20
        .size:           4
        .value_kind:     by_value
      - .address_space:  global
        .offset:         24
        .size:           8
        .value_kind:     global_buffer
      - .address_space:  global
        .offset:         32
        .size:           8
        .value_kind:     global_buffer
      - .address_space:  global
        .offset:         40
        .size:           8
        .value_kind:     global_buffer
      - .address_space:  global
        .offset:         48
        .size:           8
        .value_kind:     global_buffer
      - .offset:         56
        .size:           4
        .value_kind:     by_value
      - .offset:         60
        .size:           4
        .value_kind:     by_value
      - .offset:         64
        .size:           4
        .value_kind:     hidden_block_count_x
      - .offset:         68
        .size:           4
        .value_kind:     hidden_block_count_y
      - .offset:         72
        .size:           4
        .value_kind:     hidden_block_count_z
      - .offset:         76
        .size:           2
        .value_kind:     hidden_group_size_x
      - .offset:         78
        .size:           2
        .value_kind:     hidden_group_size_y
      - .offset:         80
        .size:           2
        .value_kind:     hidden_group_size_z
      - .offset:         82
        .size:           2
        .value_kind:     hidden_remainder_x
      - .offset:         84
        .size:           2
        .value_kind:     hidden_remainder_y
      - .offset:         86
        .size:           2
        .value_kind:     hidden_remainder_z
      - .offset:         104
        .size:           8
        .value_kind:     hidden_global_offset_x
      - .offset:         112
        .size:           8
        .value_kind:     hidden_global_offset_y
      - .offset:         120
        .size:           8
        .value_kind:     hidden_global_offset_z
      - .offset:         128
        .size:           2
        .value_kind:     hidden_grid_dims
      - .offset:         184
        .size:           4
        .value_kind:     hidden_dynamic_lds_size
    .group_segment_fixed_size: 0
    .kernarg_segment_align: 8
    .kernarg_segment_size: 320
    .language:       OpenCL C
    .language_version:
      - 2
      - 0
    .max_flat_workgroup_size: 1024
    .name:           _ZN12tensorrt_llm7kernels32fusedQKNormRopeKernelNTokenHeadsIN3c104HalfENS2_8BFloat16ELi64ELb1ELi4EEEvPviiifPKvS7_S7_PKlii
    .private_segment_fixed_size: 0
    .sgpr_count:     23
    .sgpr_spill_count: 0
    .symbol:         _ZN12tensorrt_llm7kernels32fusedQKNormRopeKernelNTokenHeadsIN3c104HalfENS2_8BFloat16ELi64ELb1ELi4EEEvPviiifPKvS7_S7_PKlii.kd
    .uniform_work_group_size: 1
    .uses_dynamic_stack: false
    .vgpr_count:     21
    .vgpr_spill_count: 0
    .wavefront_size: 32
    .workgroup_processor_mode: 1
  - .args:
      - .address_space:  global
        .offset:         0
        .size:           8
        .value_kind:     global_buffer
      - .offset:         8
        .size:           4
        .value_kind:     by_value
      - .offset:         12
        .size:           4
        .value_kind:     by_value
      - .offset:         16
        .size:           4
        .value_kind:     by_value
      - .offset:         20
        .size:           4
        .value_kind:     by_value
      - .address_space:  global
        .offset:         24
        .size:           8
        .value_kind:     global_buffer
      - .address_space:  global
        .offset:         32
        .size:           8
        .value_kind:     global_buffer
      - .address_space:  global
        .offset:         40
        .size:           8
        .value_kind:     global_buffer
      - .address_space:  global
        .offset:         48
        .size:           8
        .value_kind:     global_buffer
      - .offset:         56
        .size:           4
        .value_kind:     by_value
      - .offset:         60
        .size:           4
        .value_kind:     by_value
      - .offset:         64
        .size:           4
        .value_kind:     hidden_block_count_x
      - .offset:         68
        .size:           4
        .value_kind:     hidden_block_count_y
      - .offset:         72
        .size:           4
        .value_kind:     hidden_block_count_z
      - .offset:         76
        .size:           2
        .value_kind:     hidden_group_size_x
      - .offset:         78
        .size:           2
        .value_kind:     hidden_group_size_y
      - .offset:         80
        .size:           2
        .value_kind:     hidden_group_size_z
      - .offset:         82
        .size:           2
        .value_kind:     hidden_remainder_x
      - .offset:         84
        .size:           2
        .value_kind:     hidden_remainder_y
      - .offset:         86
        .size:           2
        .value_kind:     hidden_remainder_z
      - .offset:         104
        .size:           8
        .value_kind:     hidden_global_offset_x
      - .offset:         112
        .size:           8
        .value_kind:     hidden_global_offset_y
      - .offset:         120
        .size:           8
        .value_kind:     hidden_global_offset_z
      - .offset:         128
        .size:           2
        .value_kind:     hidden_grid_dims
      - .offset:         184
        .size:           4
        .value_kind:     hidden_dynamic_lds_size
    .group_segment_fixed_size: 0
    .kernarg_segment_align: 8
    .kernarg_segment_size: 320
    .language:       OpenCL C
    .language_version:
      - 2
      - 0
    .max_flat_workgroup_size: 1024
    .name:           _ZN12tensorrt_llm7kernels32fusedQKNormRopeKernelNTokenHeadsIN3c104HalfENS2_8BFloat16ELi64ELb0ELi4EEEvPviiifPKvS7_S7_PKlii
    .private_segment_fixed_size: 0
    .sgpr_count:     23
    .sgpr_spill_count: 0
    .symbol:         _ZN12tensorrt_llm7kernels32fusedQKNormRopeKernelNTokenHeadsIN3c104HalfENS2_8BFloat16ELi64ELb0ELi4EEEvPviiifPKvS7_S7_PKlii.kd
    .uniform_work_group_size: 1
    .uses_dynamic_stack: false
    .vgpr_count:     26
    .vgpr_spill_count: 0
    .wavefront_size: 32
    .workgroup_processor_mode: 1
  - .args:
      - .address_space:  global
        .offset:         0
        .size:           8
        .value_kind:     global_buffer
      - .offset:         8
        .size:           4
        .value_kind:     by_value
      - .offset:         12
        .size:           4
        .value_kind:     by_value
      - .offset:         16
        .size:           4
        .value_kind:     by_value
      - .offset:         20
        .size:           4
        .value_kind:     by_value
      - .address_space:  global
        .offset:         24
        .size:           8
        .value_kind:     global_buffer
      - .address_space:  global
        .offset:         32
        .size:           8
        .value_kind:     global_buffer
      - .address_space:  global
        .offset:         40
        .size:           8
        .value_kind:     global_buffer
      - .address_space:  global
        .offset:         48
        .size:           8
        .value_kind:     global_buffer
      - .offset:         56
        .size:           4
        .value_kind:     by_value
      - .offset:         60
        .size:           4
        .value_kind:     by_value
      - .offset:         64
        .size:           4
        .value_kind:     hidden_block_count_x
      - .offset:         68
        .size:           4
        .value_kind:     hidden_block_count_y
      - .offset:         72
        .size:           4
        .value_kind:     hidden_block_count_z
      - .offset:         76
        .size:           2
        .value_kind:     hidden_group_size_x
      - .offset:         78
        .size:           2
        .value_kind:     hidden_group_size_y
      - .offset:         80
        .size:           2
        .value_kind:     hidden_group_size_z
      - .offset:         82
        .size:           2
        .value_kind:     hidden_remainder_x
      - .offset:         84
        .size:           2
        .value_kind:     hidden_remainder_y
      - .offset:         86
        .size:           2
        .value_kind:     hidden_remainder_z
      - .offset:         104
        .size:           8
        .value_kind:     hidden_global_offset_x
      - .offset:         112
        .size:           8
        .value_kind:     hidden_global_offset_y
      - .offset:         120
        .size:           8
        .value_kind:     hidden_global_offset_z
      - .offset:         128
        .size:           2
        .value_kind:     hidden_grid_dims
      - .offset:         184
        .size:           4
        .value_kind:     hidden_dynamic_lds_size
    .group_segment_fixed_size: 0
    .kernarg_segment_align: 8
    .kernarg_segment_size: 320
    .language:       OpenCL C
    .language_version:
      - 2
      - 0
    .max_flat_workgroup_size: 1024
    .name:           _ZN12tensorrt_llm7kernels32fusedQKNormRopeKernelNTokenHeadsIN3c104HalfENS2_8BFloat16ELi128ELb1ELi4EEEvPviiifPKvS7_S7_PKlii
    .private_segment_fixed_size: 0
    .sgpr_count:     23
    .sgpr_spill_count: 0
    .symbol:         _ZN12tensorrt_llm7kernels32fusedQKNormRopeKernelNTokenHeadsIN3c104HalfENS2_8BFloat16ELi128ELb1ELi4EEEvPviiifPKvS7_S7_PKlii.kd
    .uniform_work_group_size: 1
    .uses_dynamic_stack: false
    .vgpr_count:     29
    .vgpr_spill_count: 0
    .wavefront_size: 32
    .workgroup_processor_mode: 1
  - .args:
      - .address_space:  global
        .offset:         0
        .size:           8
        .value_kind:     global_buffer
      - .offset:         8
        .size:           4
        .value_kind:     by_value
      - .offset:         12
        .size:           4
        .value_kind:     by_value
      - .offset:         16
        .size:           4
        .value_kind:     by_value
      - .offset:         20
        .size:           4
        .value_kind:     by_value
      - .address_space:  global
        .offset:         24
        .size:           8
        .value_kind:     global_buffer
      - .address_space:  global
        .offset:         32
        .size:           8
        .value_kind:     global_buffer
      - .address_space:  global
        .offset:         40
        .size:           8
        .value_kind:     global_buffer
      - .address_space:  global
        .offset:         48
        .size:           8
        .value_kind:     global_buffer
      - .offset:         56
        .size:           4
        .value_kind:     by_value
      - .offset:         60
        .size:           4
        .value_kind:     by_value
      - .offset:         64
        .size:           4
        .value_kind:     hidden_block_count_x
      - .offset:         68
        .size:           4
        .value_kind:     hidden_block_count_y
      - .offset:         72
        .size:           4
        .value_kind:     hidden_block_count_z
      - .offset:         76
        .size:           2
        .value_kind:     hidden_group_size_x
      - .offset:         78
        .size:           2
        .value_kind:     hidden_group_size_y
      - .offset:         80
        .size:           2
        .value_kind:     hidden_group_size_z
      - .offset:         82
        .size:           2
        .value_kind:     hidden_remainder_x
      - .offset:         84
        .size:           2
        .value_kind:     hidden_remainder_y
      - .offset:         86
        .size:           2
        .value_kind:     hidden_remainder_z
      - .offset:         104
        .size:           8
        .value_kind:     hidden_global_offset_x
      - .offset:         112
        .size:           8
        .value_kind:     hidden_global_offset_y
      - .offset:         120
        .size:           8
        .value_kind:     hidden_global_offset_z
      - .offset:         128
        .size:           2
        .value_kind:     hidden_grid_dims
      - .offset:         184
        .size:           4
        .value_kind:     hidden_dynamic_lds_size
    .group_segment_fixed_size: 0
    .kernarg_segment_align: 8
    .kernarg_segment_size: 320
    .language:       OpenCL C
    .language_version:
      - 2
      - 0
    .max_flat_workgroup_size: 1024
    .name:           _ZN12tensorrt_llm7kernels32fusedQKNormRopeKernelNTokenHeadsIN3c104HalfENS2_8BFloat16ELi128ELb0ELi4EEEvPviiifPKvS7_S7_PKlii
    .private_segment_fixed_size: 0
    .sgpr_count:     23
    .sgpr_spill_count: 0
    .symbol:         _ZN12tensorrt_llm7kernels32fusedQKNormRopeKernelNTokenHeadsIN3c104HalfENS2_8BFloat16ELi128ELb0ELi4EEEvPviiifPKvS7_S7_PKlii.kd
    .uniform_work_group_size: 1
    .uses_dynamic_stack: false
    .vgpr_count:     42
    .vgpr_spill_count: 0
    .wavefront_size: 32
    .workgroup_processor_mode: 1
  - .args:
      - .address_space:  global
        .offset:         0
        .size:           8
        .value_kind:     global_buffer
      - .offset:         8
        .size:           4
        .value_kind:     by_value
      - .offset:         12
        .size:           4
        .value_kind:     by_value
      - .offset:         16
        .size:           4
        .value_kind:     by_value
      - .offset:         20
        .size:           4
        .value_kind:     by_value
      - .address_space:  global
        .offset:         24
        .size:           8
        .value_kind:     global_buffer
      - .address_space:  global
        .offset:         32
        .size:           8
        .value_kind:     global_buffer
      - .address_space:  global
        .offset:         40
        .size:           8
        .value_kind:     global_buffer
      - .address_space:  global
        .offset:         48
        .size:           8
        .value_kind:     global_buffer
      - .offset:         56
        .size:           4
        .value_kind:     by_value
      - .offset:         60
        .size:           4
        .value_kind:     by_value
      - .offset:         64
        .size:           4
        .value_kind:     hidden_block_count_x
      - .offset:         68
        .size:           4
        .value_kind:     hidden_block_count_y
      - .offset:         72
        .size:           4
        .value_kind:     hidden_block_count_z
      - .offset:         76
        .size:           2
        .value_kind:     hidden_group_size_x
      - .offset:         78
        .size:           2
        .value_kind:     hidden_group_size_y
      - .offset:         80
        .size:           2
        .value_kind:     hidden_group_size_z
      - .offset:         82
        .size:           2
        .value_kind:     hidden_remainder_x
      - .offset:         84
        .size:           2
        .value_kind:     hidden_remainder_y
      - .offset:         86
        .size:           2
        .value_kind:     hidden_remainder_z
      - .offset:         104
        .size:           8
        .value_kind:     hidden_global_offset_x
      - .offset:         112
        .size:           8
        .value_kind:     hidden_global_offset_y
      - .offset:         120
        .size:           8
        .value_kind:     hidden_global_offset_z
      - .offset:         128
        .size:           2
        .value_kind:     hidden_grid_dims
      - .offset:         184
        .size:           4
        .value_kind:     hidden_dynamic_lds_size
    .group_segment_fixed_size: 0
    .kernarg_segment_align: 8
    .kernarg_segment_size: 320
    .language:       OpenCL C
    .language_version:
      - 2
      - 0
    .max_flat_workgroup_size: 1024
    .name:           _ZN12tensorrt_llm7kernels32fusedQKNormRopeKernelNTokenHeadsIN3c104HalfENS2_8BFloat16ELi256ELb1ELi4EEEvPviiifPKvS7_S7_PKlii
    .private_segment_fixed_size: 0
    .sgpr_count:     23
    .sgpr_spill_count: 0
    .symbol:         _ZN12tensorrt_llm7kernels32fusedQKNormRopeKernelNTokenHeadsIN3c104HalfENS2_8BFloat16ELi256ELb1ELi4EEEvPviiifPKvS7_S7_PKlii.kd
    .uniform_work_group_size: 1
    .uses_dynamic_stack: false
    .vgpr_count:     47
    .vgpr_spill_count: 0
    .wavefront_size: 32
    .workgroup_processor_mode: 1
  - .args:
      - .address_space:  global
        .offset:         0
        .size:           8
        .value_kind:     global_buffer
      - .offset:         8
        .size:           4
        .value_kind:     by_value
      - .offset:         12
        .size:           4
        .value_kind:     by_value
      - .offset:         16
        .size:           4
        .value_kind:     by_value
      - .offset:         20
        .size:           4
        .value_kind:     by_value
      - .address_space:  global
        .offset:         24
        .size:           8
        .value_kind:     global_buffer
      - .address_space:  global
        .offset:         32
        .size:           8
        .value_kind:     global_buffer
      - .address_space:  global
        .offset:         40
        .size:           8
        .value_kind:     global_buffer
      - .address_space:  global
        .offset:         48
        .size:           8
        .value_kind:     global_buffer
      - .offset:         56
        .size:           4
        .value_kind:     by_value
      - .offset:         60
        .size:           4
        .value_kind:     by_value
      - .offset:         64
        .size:           4
        .value_kind:     hidden_block_count_x
      - .offset:         68
        .size:           4
        .value_kind:     hidden_block_count_y
      - .offset:         72
        .size:           4
        .value_kind:     hidden_block_count_z
      - .offset:         76
        .size:           2
        .value_kind:     hidden_group_size_x
      - .offset:         78
        .size:           2
        .value_kind:     hidden_group_size_y
      - .offset:         80
        .size:           2
        .value_kind:     hidden_group_size_z
      - .offset:         82
        .size:           2
        .value_kind:     hidden_remainder_x
      - .offset:         84
        .size:           2
        .value_kind:     hidden_remainder_y
      - .offset:         86
        .size:           2
        .value_kind:     hidden_remainder_z
      - .offset:         104
        .size:           8
        .value_kind:     hidden_global_offset_x
      - .offset:         112
        .size:           8
        .value_kind:     hidden_global_offset_y
      - .offset:         120
        .size:           8
        .value_kind:     hidden_global_offset_z
      - .offset:         128
        .size:           2
        .value_kind:     hidden_grid_dims
      - .offset:         184
        .size:           4
        .value_kind:     hidden_dynamic_lds_size
    .group_segment_fixed_size: 0
    .kernarg_segment_align: 8
    .kernarg_segment_size: 320
    .language:       OpenCL C
    .language_version:
      - 2
      - 0
    .max_flat_workgroup_size: 1024
    .name:           _ZN12tensorrt_llm7kernels32fusedQKNormRopeKernelNTokenHeadsIN3c104HalfENS2_8BFloat16ELi256ELb0ELi4EEEvPviiifPKvS7_S7_PKlii
    .private_segment_fixed_size: 0
    .sgpr_count:     23
    .sgpr_spill_count: 0
    .symbol:         _ZN12tensorrt_llm7kernels32fusedQKNormRopeKernelNTokenHeadsIN3c104HalfENS2_8BFloat16ELi256ELb0ELi4EEEvPviiifPKvS7_S7_PKlii.kd
    .uniform_work_group_size: 1
    .uses_dynamic_stack: false
    .vgpr_count:     72
    .vgpr_spill_count: 0
    .wavefront_size: 32
    .workgroup_processor_mode: 1
  - .args:
      - .address_space:  global
        .offset:         0
        .size:           8
        .value_kind:     global_buffer
      - .offset:         8
        .size:           4
        .value_kind:     by_value
      - .offset:         12
        .size:           4
        .value_kind:     by_value
      - .offset:         16
        .size:           4
        .value_kind:     by_value
      - .offset:         20
        .size:           4
        .value_kind:     by_value
      - .address_space:  global
        .offset:         24
        .size:           8
        .value_kind:     global_buffer
      - .address_space:  global
        .offset:         32
        .size:           8
        .value_kind:     global_buffer
      - .address_space:  global
        .offset:         40
        .size:           8
        .value_kind:     global_buffer
      - .address_space:  global
        .offset:         48
        .size:           8
        .value_kind:     global_buffer
      - .offset:         56
        .size:           4
        .value_kind:     by_value
      - .offset:         60
        .size:           4
        .value_kind:     by_value
      - .offset:         64
        .size:           4
        .value_kind:     hidden_block_count_x
      - .offset:         68
        .size:           4
        .value_kind:     hidden_block_count_y
      - .offset:         72
        .size:           4
        .value_kind:     hidden_block_count_z
      - .offset:         76
        .size:           2
        .value_kind:     hidden_group_size_x
      - .offset:         78
        .size:           2
        .value_kind:     hidden_group_size_y
      - .offset:         80
        .size:           2
        .value_kind:     hidden_group_size_z
      - .offset:         82
        .size:           2
        .value_kind:     hidden_remainder_x
      - .offset:         84
        .size:           2
        .value_kind:     hidden_remainder_y
      - .offset:         86
        .size:           2
        .value_kind:     hidden_remainder_z
      - .offset:         104
        .size:           8
        .value_kind:     hidden_global_offset_x
      - .offset:         112
        .size:           8
        .value_kind:     hidden_global_offset_y
      - .offset:         120
        .size:           8
        .value_kind:     hidden_global_offset_z
      - .offset:         128
        .size:           2
        .value_kind:     hidden_grid_dims
      - .offset:         184
        .size:           4
        .value_kind:     hidden_dynamic_lds_size
    .group_segment_fixed_size: 0
    .kernarg_segment_align: 8
    .kernarg_segment_size: 320
    .language:       OpenCL C
    .language_version:
      - 2
      - 0
    .max_flat_workgroup_size: 1024
    .name:           _ZN12tensorrt_llm7kernels32fusedQKNormRopeKernelNTokenHeadsIN3c104HalfENS2_8BFloat16ELi64ELb1ELi8EEEvPviiifPKvS7_S7_PKlii
    .private_segment_fixed_size: 0
    .sgpr_count:     23
    .sgpr_spill_count: 0
    .symbol:         _ZN12tensorrt_llm7kernels32fusedQKNormRopeKernelNTokenHeadsIN3c104HalfENS2_8BFloat16ELi64ELb1ELi8EEEvPviiifPKvS7_S7_PKlii.kd
    .uniform_work_group_size: 1
    .uses_dynamic_stack: false
    .vgpr_count:     21
    .vgpr_spill_count: 0
    .wavefront_size: 32
    .workgroup_processor_mode: 1
  - .args:
      - .address_space:  global
        .offset:         0
        .size:           8
        .value_kind:     global_buffer
      - .offset:         8
        .size:           4
        .value_kind:     by_value
      - .offset:         12
        .size:           4
        .value_kind:     by_value
      - .offset:         16
        .size:           4
        .value_kind:     by_value
      - .offset:         20
        .size:           4
        .value_kind:     by_value
      - .address_space:  global
        .offset:         24
        .size:           8
        .value_kind:     global_buffer
      - .address_space:  global
        .offset:         32
        .size:           8
        .value_kind:     global_buffer
      - .address_space:  global
        .offset:         40
        .size:           8
        .value_kind:     global_buffer
      - .address_space:  global
        .offset:         48
        .size:           8
        .value_kind:     global_buffer
      - .offset:         56
        .size:           4
        .value_kind:     by_value
      - .offset:         60
        .size:           4
        .value_kind:     by_value
      - .offset:         64
        .size:           4
        .value_kind:     hidden_block_count_x
      - .offset:         68
        .size:           4
        .value_kind:     hidden_block_count_y
      - .offset:         72
        .size:           4
        .value_kind:     hidden_block_count_z
      - .offset:         76
        .size:           2
        .value_kind:     hidden_group_size_x
      - .offset:         78
        .size:           2
        .value_kind:     hidden_group_size_y
      - .offset:         80
        .size:           2
        .value_kind:     hidden_group_size_z
      - .offset:         82
        .size:           2
        .value_kind:     hidden_remainder_x
      - .offset:         84
        .size:           2
        .value_kind:     hidden_remainder_y
      - .offset:         86
        .size:           2
        .value_kind:     hidden_remainder_z
      - .offset:         104
        .size:           8
        .value_kind:     hidden_global_offset_x
      - .offset:         112
        .size:           8
        .value_kind:     hidden_global_offset_y
      - .offset:         120
        .size:           8
        .value_kind:     hidden_global_offset_z
      - .offset:         128
        .size:           2
        .value_kind:     hidden_grid_dims
      - .offset:         184
        .size:           4
        .value_kind:     hidden_dynamic_lds_size
    .group_segment_fixed_size: 0
    .kernarg_segment_align: 8
    .kernarg_segment_size: 320
    .language:       OpenCL C
    .language_version:
      - 2
      - 0
    .max_flat_workgroup_size: 1024
    .name:           _ZN12tensorrt_llm7kernels32fusedQKNormRopeKernelNTokenHeadsIN3c104HalfENS2_8BFloat16ELi64ELb0ELi8EEEvPviiifPKvS7_S7_PKlii
    .private_segment_fixed_size: 0
    .sgpr_count:     23
    .sgpr_spill_count: 0
    .symbol:         _ZN12tensorrt_llm7kernels32fusedQKNormRopeKernelNTokenHeadsIN3c104HalfENS2_8BFloat16ELi64ELb0ELi8EEEvPviiifPKvS7_S7_PKlii.kd
    .uniform_work_group_size: 1
    .uses_dynamic_stack: false
    .vgpr_count:     26
    .vgpr_spill_count: 0
    .wavefront_size: 32
    .workgroup_processor_mode: 1
  - .args:
      - .address_space:  global
        .offset:         0
        .size:           8
        .value_kind:     global_buffer
      - .offset:         8
        .size:           4
        .value_kind:     by_value
      - .offset:         12
        .size:           4
        .value_kind:     by_value
      - .offset:         16
        .size:           4
        .value_kind:     by_value
      - .offset:         20
        .size:           4
        .value_kind:     by_value
      - .address_space:  global
        .offset:         24
        .size:           8
        .value_kind:     global_buffer
      - .address_space:  global
        .offset:         32
        .size:           8
        .value_kind:     global_buffer
      - .address_space:  global
        .offset:         40
        .size:           8
        .value_kind:     global_buffer
      - .address_space:  global
        .offset:         48
        .size:           8
        .value_kind:     global_buffer
      - .offset:         56
        .size:           4
        .value_kind:     by_value
      - .offset:         60
        .size:           4
        .value_kind:     by_value
      - .offset:         64
        .size:           4
        .value_kind:     hidden_block_count_x
      - .offset:         68
        .size:           4
        .value_kind:     hidden_block_count_y
      - .offset:         72
        .size:           4
        .value_kind:     hidden_block_count_z
      - .offset:         76
        .size:           2
        .value_kind:     hidden_group_size_x
      - .offset:         78
        .size:           2
        .value_kind:     hidden_group_size_y
      - .offset:         80
        .size:           2
        .value_kind:     hidden_group_size_z
      - .offset:         82
        .size:           2
        .value_kind:     hidden_remainder_x
      - .offset:         84
        .size:           2
        .value_kind:     hidden_remainder_y
      - .offset:         86
        .size:           2
        .value_kind:     hidden_remainder_z
      - .offset:         104
        .size:           8
        .value_kind:     hidden_global_offset_x
      - .offset:         112
        .size:           8
        .value_kind:     hidden_global_offset_y
      - .offset:         120
        .size:           8
        .value_kind:     hidden_global_offset_z
      - .offset:         128
        .size:           2
        .value_kind:     hidden_grid_dims
      - .offset:         184
        .size:           4
        .value_kind:     hidden_dynamic_lds_size
    .group_segment_fixed_size: 0
    .kernarg_segment_align: 8
    .kernarg_segment_size: 320
    .language:       OpenCL C
    .language_version:
      - 2
      - 0
    .max_flat_workgroup_size: 1024
    .name:           _ZN12tensorrt_llm7kernels32fusedQKNormRopeKernelNTokenHeadsIN3c104HalfENS2_8BFloat16ELi128ELb1ELi8EEEvPviiifPKvS7_S7_PKlii
    .private_segment_fixed_size: 0
    .sgpr_count:     23
    .sgpr_spill_count: 0
    .symbol:         _ZN12tensorrt_llm7kernels32fusedQKNormRopeKernelNTokenHeadsIN3c104HalfENS2_8BFloat16ELi128ELb1ELi8EEEvPviiifPKvS7_S7_PKlii.kd
    .uniform_work_group_size: 1
    .uses_dynamic_stack: false
    .vgpr_count:     29
    .vgpr_spill_count: 0
    .wavefront_size: 32
    .workgroup_processor_mode: 1
  - .args:
      - .address_space:  global
        .offset:         0
        .size:           8
        .value_kind:     global_buffer
      - .offset:         8
        .size:           4
        .value_kind:     by_value
      - .offset:         12
        .size:           4
        .value_kind:     by_value
      - .offset:         16
        .size:           4
        .value_kind:     by_value
      - .offset:         20
        .size:           4
        .value_kind:     by_value
      - .address_space:  global
        .offset:         24
        .size:           8
        .value_kind:     global_buffer
      - .address_space:  global
        .offset:         32
        .size:           8
        .value_kind:     global_buffer
      - .address_space:  global
        .offset:         40
        .size:           8
        .value_kind:     global_buffer
      - .address_space:  global
        .offset:         48
        .size:           8
        .value_kind:     global_buffer
      - .offset:         56
        .size:           4
        .value_kind:     by_value
      - .offset:         60
        .size:           4
        .value_kind:     by_value
      - .offset:         64
        .size:           4
        .value_kind:     hidden_block_count_x
      - .offset:         68
        .size:           4
        .value_kind:     hidden_block_count_y
      - .offset:         72
        .size:           4
        .value_kind:     hidden_block_count_z
      - .offset:         76
        .size:           2
        .value_kind:     hidden_group_size_x
      - .offset:         78
        .size:           2
        .value_kind:     hidden_group_size_y
      - .offset:         80
        .size:           2
        .value_kind:     hidden_group_size_z
      - .offset:         82
        .size:           2
        .value_kind:     hidden_remainder_x
      - .offset:         84
        .size:           2
        .value_kind:     hidden_remainder_y
      - .offset:         86
        .size:           2
        .value_kind:     hidden_remainder_z
      - .offset:         104
        .size:           8
        .value_kind:     hidden_global_offset_x
      - .offset:         112
        .size:           8
        .value_kind:     hidden_global_offset_y
      - .offset:         120
        .size:           8
        .value_kind:     hidden_global_offset_z
      - .offset:         128
        .size:           2
        .value_kind:     hidden_grid_dims
      - .offset:         184
        .size:           4
        .value_kind:     hidden_dynamic_lds_size
    .group_segment_fixed_size: 0
    .kernarg_segment_align: 8
    .kernarg_segment_size: 320
    .language:       OpenCL C
    .language_version:
      - 2
      - 0
    .max_flat_workgroup_size: 1024
    .name:           _ZN12tensorrt_llm7kernels32fusedQKNormRopeKernelNTokenHeadsIN3c104HalfENS2_8BFloat16ELi128ELb0ELi8EEEvPviiifPKvS7_S7_PKlii
    .private_segment_fixed_size: 0
    .sgpr_count:     23
    .sgpr_spill_count: 0
    .symbol:         _ZN12tensorrt_llm7kernels32fusedQKNormRopeKernelNTokenHeadsIN3c104HalfENS2_8BFloat16ELi128ELb0ELi8EEEvPviiifPKvS7_S7_PKlii.kd
    .uniform_work_group_size: 1
    .uses_dynamic_stack: false
    .vgpr_count:     42
    .vgpr_spill_count: 0
    .wavefront_size: 32
    .workgroup_processor_mode: 1
  - .args:
      - .address_space:  global
        .offset:         0
        .size:           8
        .value_kind:     global_buffer
      - .offset:         8
        .size:           4
        .value_kind:     by_value
      - .offset:         12
        .size:           4
        .value_kind:     by_value
      - .offset:         16
        .size:           4
        .value_kind:     by_value
      - .offset:         20
        .size:           4
        .value_kind:     by_value
      - .address_space:  global
        .offset:         24
        .size:           8
        .value_kind:     global_buffer
      - .address_space:  global
        .offset:         32
        .size:           8
        .value_kind:     global_buffer
      - .address_space:  global
        .offset:         40
        .size:           8
        .value_kind:     global_buffer
      - .address_space:  global
        .offset:         48
        .size:           8
        .value_kind:     global_buffer
      - .offset:         56
        .size:           4
        .value_kind:     by_value
      - .offset:         60
        .size:           4
        .value_kind:     by_value
      - .offset:         64
        .size:           4
        .value_kind:     hidden_block_count_x
      - .offset:         68
        .size:           4
        .value_kind:     hidden_block_count_y
      - .offset:         72
        .size:           4
        .value_kind:     hidden_block_count_z
      - .offset:         76
        .size:           2
        .value_kind:     hidden_group_size_x
      - .offset:         78
        .size:           2
        .value_kind:     hidden_group_size_y
      - .offset:         80
        .size:           2
        .value_kind:     hidden_group_size_z
      - .offset:         82
        .size:           2
        .value_kind:     hidden_remainder_x
      - .offset:         84
        .size:           2
        .value_kind:     hidden_remainder_y
      - .offset:         86
        .size:           2
        .value_kind:     hidden_remainder_z
      - .offset:         104
        .size:           8
        .value_kind:     hidden_global_offset_x
      - .offset:         112
        .size:           8
        .value_kind:     hidden_global_offset_y
      - .offset:         120
        .size:           8
        .value_kind:     hidden_global_offset_z
      - .offset:         128
        .size:           2
        .value_kind:     hidden_grid_dims
      - .offset:         184
        .size:           4
        .value_kind:     hidden_dynamic_lds_size
    .group_segment_fixed_size: 0
    .kernarg_segment_align: 8
    .kernarg_segment_size: 320
    .language:       OpenCL C
    .language_version:
      - 2
      - 0
    .max_flat_workgroup_size: 1024
    .name:           _ZN12tensorrt_llm7kernels32fusedQKNormRopeKernelNTokenHeadsIN3c104HalfENS2_8BFloat16ELi256ELb1ELi8EEEvPviiifPKvS7_S7_PKlii
    .private_segment_fixed_size: 0
    .sgpr_count:     23
    .sgpr_spill_count: 0
    .symbol:         _ZN12tensorrt_llm7kernels32fusedQKNormRopeKernelNTokenHeadsIN3c104HalfENS2_8BFloat16ELi256ELb1ELi8EEEvPviiifPKvS7_S7_PKlii.kd
    .uniform_work_group_size: 1
    .uses_dynamic_stack: false
    .vgpr_count:     47
    .vgpr_spill_count: 0
    .wavefront_size: 32
    .workgroup_processor_mode: 1
  - .args:
      - .address_space:  global
        .offset:         0
        .size:           8
        .value_kind:     global_buffer
      - .offset:         8
        .size:           4
        .value_kind:     by_value
      - .offset:         12
        .size:           4
        .value_kind:     by_value
      - .offset:         16
        .size:           4
        .value_kind:     by_value
      - .offset:         20
        .size:           4
        .value_kind:     by_value
      - .address_space:  global
        .offset:         24
        .size:           8
        .value_kind:     global_buffer
      - .address_space:  global
        .offset:         32
        .size:           8
        .value_kind:     global_buffer
      - .address_space:  global
        .offset:         40
        .size:           8
        .value_kind:     global_buffer
      - .address_space:  global
        .offset:         48
        .size:           8
        .value_kind:     global_buffer
      - .offset:         56
        .size:           4
        .value_kind:     by_value
      - .offset:         60
        .size:           4
        .value_kind:     by_value
      - .offset:         64
        .size:           4
        .value_kind:     hidden_block_count_x
      - .offset:         68
        .size:           4
        .value_kind:     hidden_block_count_y
      - .offset:         72
        .size:           4
        .value_kind:     hidden_block_count_z
      - .offset:         76
        .size:           2
        .value_kind:     hidden_group_size_x
      - .offset:         78
        .size:           2
        .value_kind:     hidden_group_size_y
      - .offset:         80
        .size:           2
        .value_kind:     hidden_group_size_z
      - .offset:         82
        .size:           2
        .value_kind:     hidden_remainder_x
      - .offset:         84
        .size:           2
        .value_kind:     hidden_remainder_y
      - .offset:         86
        .size:           2
        .value_kind:     hidden_remainder_z
      - .offset:         104
        .size:           8
        .value_kind:     hidden_global_offset_x
      - .offset:         112
        .size:           8
        .value_kind:     hidden_global_offset_y
      - .offset:         120
        .size:           8
        .value_kind:     hidden_global_offset_z
      - .offset:         128
        .size:           2
        .value_kind:     hidden_grid_dims
      - .offset:         184
        .size:           4
        .value_kind:     hidden_dynamic_lds_size
    .group_segment_fixed_size: 0
    .kernarg_segment_align: 8
    .kernarg_segment_size: 320
    .language:       OpenCL C
    .language_version:
      - 2
      - 0
    .max_flat_workgroup_size: 1024
    .name:           _ZN12tensorrt_llm7kernels32fusedQKNormRopeKernelNTokenHeadsIN3c104HalfENS2_8BFloat16ELi256ELb0ELi8EEEvPviiifPKvS7_S7_PKlii
    .private_segment_fixed_size: 0
    .sgpr_count:     23
    .sgpr_spill_count: 0
    .symbol:         _ZN12tensorrt_llm7kernels32fusedQKNormRopeKernelNTokenHeadsIN3c104HalfENS2_8BFloat16ELi256ELb0ELi8EEEvPviiifPKvS7_S7_PKlii.kd
    .uniform_work_group_size: 1
    .uses_dynamic_stack: false
    .vgpr_count:     72
    .vgpr_spill_count: 0
    .wavefront_size: 32
    .workgroup_processor_mode: 1
  - .args:
      - .address_space:  global
        .offset:         0
        .size:           8
        .value_kind:     global_buffer
      - .offset:         8
        .size:           4
        .value_kind:     by_value
      - .offset:         12
        .size:           4
        .value_kind:     by_value
      - .offset:         16
        .size:           4
        .value_kind:     by_value
      - .offset:         20
        .size:           4
        .value_kind:     by_value
      - .address_space:  global
        .offset:         24
        .size:           8
        .value_kind:     global_buffer
      - .address_space:  global
        .offset:         32
        .size:           8
        .value_kind:     global_buffer
      - .address_space:  global
        .offset:         40
        .size:           8
        .value_kind:     global_buffer
      - .address_space:  global
        .offset:         48
        .size:           8
        .value_kind:     global_buffer
      - .offset:         56
        .size:           4
        .value_kind:     by_value
      - .offset:         60
        .size:           4
        .value_kind:     by_value
      - .offset:         64
        .size:           4
        .value_kind:     hidden_block_count_x
      - .offset:         68
        .size:           4
        .value_kind:     hidden_block_count_y
      - .offset:         72
        .size:           4
        .value_kind:     hidden_block_count_z
      - .offset:         76
        .size:           2
        .value_kind:     hidden_group_size_x
      - .offset:         78
        .size:           2
        .value_kind:     hidden_group_size_y
      - .offset:         80
        .size:           2
        .value_kind:     hidden_group_size_z
      - .offset:         82
        .size:           2
        .value_kind:     hidden_remainder_x
      - .offset:         84
        .size:           2
        .value_kind:     hidden_remainder_y
      - .offset:         86
        .size:           2
        .value_kind:     hidden_remainder_z
      - .offset:         104
        .size:           8
        .value_kind:     hidden_global_offset_x
      - .offset:         112
        .size:           8
        .value_kind:     hidden_global_offset_y
      - .offset:         120
        .size:           8
        .value_kind:     hidden_global_offset_z
      - .offset:         128
        .size:           2
        .value_kind:     hidden_grid_dims
    .group_segment_fixed_size: 0
    .kernarg_segment_align: 8
    .kernarg_segment_size: 320
    .language:       OpenCL C
    .language_version:
      - 2
      - 0
    .max_flat_workgroup_size: 1024
    .name:           _ZN12tensorrt_llm7kernels21fusedQKNormRopeKernelIN3c108BFloat16EfLi64ELb1EEEvPviiifPKvS6_S6_PKlii
    .private_segment_fixed_size: 0
    .sgpr_count:     18
    .sgpr_spill_count: 0
    .symbol:         _ZN12tensorrt_llm7kernels21fusedQKNormRopeKernelIN3c108BFloat16EfLi64ELb1EEEvPviiifPKvS6_S6_PKlii.kd
    .uniform_work_group_size: 1
    .uses_dynamic_stack: false
    .vgpr_count:     12
    .vgpr_spill_count: 0
    .wavefront_size: 32
    .workgroup_processor_mode: 1
  - .args:
      - .address_space:  global
        .offset:         0
        .size:           8
        .value_kind:     global_buffer
      - .offset:         8
        .size:           4
        .value_kind:     by_value
      - .offset:         12
        .size:           4
        .value_kind:     by_value
      - .offset:         16
        .size:           4
        .value_kind:     by_value
      - .offset:         20
        .size:           4
        .value_kind:     by_value
      - .address_space:  global
        .offset:         24
        .size:           8
        .value_kind:     global_buffer
      - .address_space:  global
        .offset:         32
        .size:           8
        .value_kind:     global_buffer
      - .address_space:  global
        .offset:         40
        .size:           8
        .value_kind:     global_buffer
      - .address_space:  global
        .offset:         48
        .size:           8
        .value_kind:     global_buffer
      - .offset:         56
        .size:           4
        .value_kind:     by_value
      - .offset:         60
        .size:           4
        .value_kind:     by_value
      - .offset:         64
        .size:           4
        .value_kind:     hidden_block_count_x
      - .offset:         68
        .size:           4
        .value_kind:     hidden_block_count_y
      - .offset:         72
        .size:           4
        .value_kind:     hidden_block_count_z
      - .offset:         76
        .size:           2
        .value_kind:     hidden_group_size_x
      - .offset:         78
        .size:           2
        .value_kind:     hidden_group_size_y
      - .offset:         80
        .size:           2
        .value_kind:     hidden_group_size_z
      - .offset:         82
        .size:           2
        .value_kind:     hidden_remainder_x
      - .offset:         84
        .size:           2
        .value_kind:     hidden_remainder_y
      - .offset:         86
        .size:           2
        .value_kind:     hidden_remainder_z
      - .offset:         104
        .size:           8
        .value_kind:     hidden_global_offset_x
      - .offset:         112
        .size:           8
        .value_kind:     hidden_global_offset_y
      - .offset:         120
        .size:           8
        .value_kind:     hidden_global_offset_z
      - .offset:         128
        .size:           2
        .value_kind:     hidden_grid_dims
    .group_segment_fixed_size: 0
    .kernarg_segment_align: 8
    .kernarg_segment_size: 320
    .language:       OpenCL C
    .language_version:
      - 2
      - 0
    .max_flat_workgroup_size: 1024
    .name:           _ZN12tensorrt_llm7kernels21fusedQKNormRopeKernelIN3c108BFloat16EfLi64ELb0EEEvPviiifPKvS6_S6_PKlii
    .private_segment_fixed_size: 0
    .sgpr_count:     18
    .sgpr_spill_count: 0
    .symbol:         _ZN12tensorrt_llm7kernels21fusedQKNormRopeKernelIN3c108BFloat16EfLi64ELb0EEEvPviiifPKvS6_S6_PKlii.kd
    .uniform_work_group_size: 1
    .uses_dynamic_stack: false
    .vgpr_count:     16
    .vgpr_spill_count: 0
    .wavefront_size: 32
    .workgroup_processor_mode: 1
  - .args:
      - .address_space:  global
        .offset:         0
        .size:           8
        .value_kind:     global_buffer
      - .offset:         8
        .size:           4
        .value_kind:     by_value
      - .offset:         12
        .size:           4
        .value_kind:     by_value
      - .offset:         16
        .size:           4
        .value_kind:     by_value
      - .offset:         20
        .size:           4
        .value_kind:     by_value
      - .address_space:  global
        .offset:         24
        .size:           8
        .value_kind:     global_buffer
      - .address_space:  global
        .offset:         32
        .size:           8
        .value_kind:     global_buffer
      - .address_space:  global
        .offset:         40
        .size:           8
        .value_kind:     global_buffer
      - .address_space:  global
        .offset:         48
        .size:           8
        .value_kind:     global_buffer
      - .offset:         56
        .size:           4
        .value_kind:     by_value
      - .offset:         60
        .size:           4
        .value_kind:     by_value
      - .offset:         64
        .size:           4
        .value_kind:     hidden_block_count_x
      - .offset:         68
        .size:           4
        .value_kind:     hidden_block_count_y
      - .offset:         72
        .size:           4
        .value_kind:     hidden_block_count_z
      - .offset:         76
        .size:           2
        .value_kind:     hidden_group_size_x
      - .offset:         78
        .size:           2
        .value_kind:     hidden_group_size_y
      - .offset:         80
        .size:           2
        .value_kind:     hidden_group_size_z
      - .offset:         82
        .size:           2
        .value_kind:     hidden_remainder_x
      - .offset:         84
        .size:           2
        .value_kind:     hidden_remainder_y
      - .offset:         86
        .size:           2
        .value_kind:     hidden_remainder_z
      - .offset:         104
        .size:           8
        .value_kind:     hidden_global_offset_x
      - .offset:         112
        .size:           8
        .value_kind:     hidden_global_offset_y
      - .offset:         120
        .size:           8
        .value_kind:     hidden_global_offset_z
      - .offset:         128
        .size:           2
        .value_kind:     hidden_grid_dims
    .group_segment_fixed_size: 0
    .kernarg_segment_align: 8
    .kernarg_segment_size: 320
    .language:       OpenCL C
    .language_version:
      - 2
      - 0
    .max_flat_workgroup_size: 1024
    .name:           _ZN12tensorrt_llm7kernels21fusedQKNormRopeKernelIN3c108BFloat16EfLi128ELb1EEEvPviiifPKvS6_S6_PKlii
    .private_segment_fixed_size: 0
    .sgpr_count:     18
    .sgpr_spill_count: 0
    .symbol:         _ZN12tensorrt_llm7kernels21fusedQKNormRopeKernelIN3c108BFloat16EfLi128ELb1EEEvPviiifPKvS6_S6_PKlii.kd
    .uniform_work_group_size: 1
    .uses_dynamic_stack: false
    .vgpr_count:     15
    .vgpr_spill_count: 0
    .wavefront_size: 32
    .workgroup_processor_mode: 1
  - .args:
      - .address_space:  global
        .offset:         0
        .size:           8
        .value_kind:     global_buffer
      - .offset:         8
        .size:           4
        .value_kind:     by_value
      - .offset:         12
        .size:           4
        .value_kind:     by_value
      - .offset:         16
        .size:           4
        .value_kind:     by_value
      - .offset:         20
        .size:           4
        .value_kind:     by_value
      - .address_space:  global
        .offset:         24
        .size:           8
        .value_kind:     global_buffer
      - .address_space:  global
        .offset:         32
        .size:           8
        .value_kind:     global_buffer
      - .address_space:  global
        .offset:         40
        .size:           8
        .value_kind:     global_buffer
      - .address_space:  global
        .offset:         48
        .size:           8
        .value_kind:     global_buffer
      - .offset:         56
        .size:           4
        .value_kind:     by_value
      - .offset:         60
        .size:           4
        .value_kind:     by_value
      - .offset:         64
        .size:           4
        .value_kind:     hidden_block_count_x
      - .offset:         68
        .size:           4
        .value_kind:     hidden_block_count_y
      - .offset:         72
        .size:           4
        .value_kind:     hidden_block_count_z
      - .offset:         76
        .size:           2
        .value_kind:     hidden_group_size_x
      - .offset:         78
        .size:           2
        .value_kind:     hidden_group_size_y
      - .offset:         80
        .size:           2
        .value_kind:     hidden_group_size_z
      - .offset:         82
        .size:           2
        .value_kind:     hidden_remainder_x
      - .offset:         84
        .size:           2
        .value_kind:     hidden_remainder_y
      - .offset:         86
        .size:           2
        .value_kind:     hidden_remainder_z
      - .offset:         104
        .size:           8
        .value_kind:     hidden_global_offset_x
      - .offset:         112
        .size:           8
        .value_kind:     hidden_global_offset_y
      - .offset:         120
        .size:           8
        .value_kind:     hidden_global_offset_z
      - .offset:         128
        .size:           2
        .value_kind:     hidden_grid_dims
    .group_segment_fixed_size: 0
    .kernarg_segment_align: 8
    .kernarg_segment_size: 320
    .language:       OpenCL C
    .language_version:
      - 2
      - 0
    .max_flat_workgroup_size: 1024
    .name:           _ZN12tensorrt_llm7kernels21fusedQKNormRopeKernelIN3c108BFloat16EfLi128ELb0EEEvPviiifPKvS6_S6_PKlii
    .private_segment_fixed_size: 0
    .sgpr_count:     18
    .sgpr_spill_count: 0
    .symbol:         _ZN12tensorrt_llm7kernels21fusedQKNormRopeKernelIN3c108BFloat16EfLi128ELb0EEEvPviiifPKvS6_S6_PKlii.kd
    .uniform_work_group_size: 1
    .uses_dynamic_stack: false
    .vgpr_count:     26
    .vgpr_spill_count: 0
    .wavefront_size: 32
    .workgroup_processor_mode: 1
  - .args:
      - .address_space:  global
        .offset:         0
        .size:           8
        .value_kind:     global_buffer
      - .offset:         8
        .size:           4
        .value_kind:     by_value
      - .offset:         12
        .size:           4
        .value_kind:     by_value
      - .offset:         16
        .size:           4
        .value_kind:     by_value
      - .offset:         20
        .size:           4
        .value_kind:     by_value
      - .address_space:  global
        .offset:         24
        .size:           8
        .value_kind:     global_buffer
      - .address_space:  global
        .offset:         32
        .size:           8
        .value_kind:     global_buffer
      - .address_space:  global
        .offset:         40
        .size:           8
        .value_kind:     global_buffer
      - .address_space:  global
        .offset:         48
        .size:           8
        .value_kind:     global_buffer
      - .offset:         56
        .size:           4
        .value_kind:     by_value
      - .offset:         60
        .size:           4
        .value_kind:     by_value
      - .offset:         64
        .size:           4
        .value_kind:     hidden_block_count_x
      - .offset:         68
        .size:           4
        .value_kind:     hidden_block_count_y
      - .offset:         72
        .size:           4
        .value_kind:     hidden_block_count_z
      - .offset:         76
        .size:           2
        .value_kind:     hidden_group_size_x
      - .offset:         78
        .size:           2
        .value_kind:     hidden_group_size_y
      - .offset:         80
        .size:           2
        .value_kind:     hidden_group_size_z
      - .offset:         82
        .size:           2
        .value_kind:     hidden_remainder_x
      - .offset:         84
        .size:           2
        .value_kind:     hidden_remainder_y
      - .offset:         86
        .size:           2
        .value_kind:     hidden_remainder_z
      - .offset:         104
        .size:           8
        .value_kind:     hidden_global_offset_x
      - .offset:         112
        .size:           8
        .value_kind:     hidden_global_offset_y
      - .offset:         120
        .size:           8
        .value_kind:     hidden_global_offset_z
      - .offset:         128
        .size:           2
        .value_kind:     hidden_grid_dims
    .group_segment_fixed_size: 0
    .kernarg_segment_align: 8
    .kernarg_segment_size: 320
    .language:       OpenCL C
    .language_version:
      - 2
      - 0
    .max_flat_workgroup_size: 1024
    .name:           _ZN12tensorrt_llm7kernels21fusedQKNormRopeKernelIN3c108BFloat16EfLi256ELb1EEEvPviiifPKvS6_S6_PKlii
    .private_segment_fixed_size: 0
    .sgpr_count:     18
    .sgpr_spill_count: 0
    .symbol:         _ZN12tensorrt_llm7kernels21fusedQKNormRopeKernelIN3c108BFloat16EfLi256ELb1EEEvPviiifPKvS6_S6_PKlii.kd
    .uniform_work_group_size: 1
    .uses_dynamic_stack: false
    .vgpr_count:     23
    .vgpr_spill_count: 0
    .wavefront_size: 32
    .workgroup_processor_mode: 1
  - .args:
      - .address_space:  global
        .offset:         0
        .size:           8
        .value_kind:     global_buffer
      - .offset:         8
        .size:           4
        .value_kind:     by_value
      - .offset:         12
        .size:           4
        .value_kind:     by_value
      - .offset:         16
        .size:           4
        .value_kind:     by_value
      - .offset:         20
        .size:           4
        .value_kind:     by_value
      - .address_space:  global
        .offset:         24
        .size:           8
        .value_kind:     global_buffer
      - .address_space:  global
        .offset:         32
        .size:           8
        .value_kind:     global_buffer
      - .address_space:  global
        .offset:         40
        .size:           8
        .value_kind:     global_buffer
      - .address_space:  global
        .offset:         48
        .size:           8
        .value_kind:     global_buffer
      - .offset:         56
        .size:           4
        .value_kind:     by_value
      - .offset:         60
        .size:           4
        .value_kind:     by_value
      - .offset:         64
        .size:           4
        .value_kind:     hidden_block_count_x
      - .offset:         68
        .size:           4
        .value_kind:     hidden_block_count_y
      - .offset:         72
        .size:           4
        .value_kind:     hidden_block_count_z
      - .offset:         76
        .size:           2
        .value_kind:     hidden_group_size_x
      - .offset:         78
        .size:           2
        .value_kind:     hidden_group_size_y
      - .offset:         80
        .size:           2
        .value_kind:     hidden_group_size_z
      - .offset:         82
        .size:           2
        .value_kind:     hidden_remainder_x
      - .offset:         84
        .size:           2
        .value_kind:     hidden_remainder_y
      - .offset:         86
        .size:           2
        .value_kind:     hidden_remainder_z
      - .offset:         104
        .size:           8
        .value_kind:     hidden_global_offset_x
      - .offset:         112
        .size:           8
        .value_kind:     hidden_global_offset_y
      - .offset:         120
        .size:           8
        .value_kind:     hidden_global_offset_z
      - .offset:         128
        .size:           2
        .value_kind:     hidden_grid_dims
    .group_segment_fixed_size: 0
    .kernarg_segment_align: 8
    .kernarg_segment_size: 320
    .language:       OpenCL C
    .language_version:
      - 2
      - 0
    .max_flat_workgroup_size: 1024
    .name:           _ZN12tensorrt_llm7kernels21fusedQKNormRopeKernelIN3c108BFloat16EfLi256ELb0EEEvPviiifPKvS6_S6_PKlii
    .private_segment_fixed_size: 0
    .sgpr_count:     18
    .sgpr_spill_count: 0
    .symbol:         _ZN12tensorrt_llm7kernels21fusedQKNormRopeKernelIN3c108BFloat16EfLi256ELb0EEEvPviiifPKvS6_S6_PKlii.kd
    .uniform_work_group_size: 1
    .uses_dynamic_stack: false
    .vgpr_count:     46
    .vgpr_spill_count: 0
    .wavefront_size: 32
    .workgroup_processor_mode: 1
  - .args:
      - .address_space:  global
        .offset:         0
        .size:           8
        .value_kind:     global_buffer
      - .offset:         8
        .size:           4
        .value_kind:     by_value
      - .offset:         12
        .size:           4
        .value_kind:     by_value
      - .offset:         16
        .size:           4
        .value_kind:     by_value
      - .offset:         20
        .size:           4
        .value_kind:     by_value
      - .address_space:  global
        .offset:         24
        .size:           8
        .value_kind:     global_buffer
      - .address_space:  global
        .offset:         32
        .size:           8
        .value_kind:     global_buffer
      - .address_space:  global
        .offset:         40
        .size:           8
        .value_kind:     global_buffer
      - .address_space:  global
        .offset:         48
        .size:           8
        .value_kind:     global_buffer
      - .offset:         56
        .size:           4
        .value_kind:     by_value
      - .offset:         60
        .size:           4
        .value_kind:     by_value
      - .offset:         64
        .size:           4
        .value_kind:     hidden_block_count_x
      - .offset:         68
        .size:           4
        .value_kind:     hidden_block_count_y
      - .offset:         72
        .size:           4
        .value_kind:     hidden_block_count_z
      - .offset:         76
        .size:           2
        .value_kind:     hidden_group_size_x
      - .offset:         78
        .size:           2
        .value_kind:     hidden_group_size_y
      - .offset:         80
        .size:           2
        .value_kind:     hidden_group_size_z
      - .offset:         82
        .size:           2
        .value_kind:     hidden_remainder_x
      - .offset:         84
        .size:           2
        .value_kind:     hidden_remainder_y
      - .offset:         86
        .size:           2
        .value_kind:     hidden_remainder_z
      - .offset:         104
        .size:           8
        .value_kind:     hidden_global_offset_x
      - .offset:         112
        .size:           8
        .value_kind:     hidden_global_offset_y
      - .offset:         120
        .size:           8
        .value_kind:     hidden_global_offset_z
      - .offset:         128
        .size:           2
        .value_kind:     hidden_grid_dims
      - .offset:         184
        .size:           4
        .value_kind:     hidden_dynamic_lds_size
    .group_segment_fixed_size: 0
    .kernarg_segment_align: 8
    .kernarg_segment_size: 320
    .language:       OpenCL C
    .language_version:
      - 2
      - 0
    .max_flat_workgroup_size: 1024
    .name:           _ZN12tensorrt_llm7kernels32fusedQKNormRopeKernelNTokenHeadsIN3c108BFloat16EfLi64ELb1ELi2EEEvPviiifPKvS6_S6_PKlii
    .private_segment_fixed_size: 0
    .sgpr_count:     23
    .sgpr_spill_count: 0
    .symbol:         _ZN12tensorrt_llm7kernels32fusedQKNormRopeKernelNTokenHeadsIN3c108BFloat16EfLi64ELb1ELi2EEEvPviiifPKvS6_S6_PKlii.kd
    .uniform_work_group_size: 1
    .uses_dynamic_stack: false
    .vgpr_count:     21
    .vgpr_spill_count: 0
    .wavefront_size: 32
    .workgroup_processor_mode: 1
  - .args:
      - .address_space:  global
        .offset:         0
        .size:           8
        .value_kind:     global_buffer
      - .offset:         8
        .size:           4
        .value_kind:     by_value
      - .offset:         12
        .size:           4
        .value_kind:     by_value
      - .offset:         16
        .size:           4
        .value_kind:     by_value
      - .offset:         20
        .size:           4
        .value_kind:     by_value
      - .address_space:  global
        .offset:         24
        .size:           8
        .value_kind:     global_buffer
      - .address_space:  global
        .offset:         32
        .size:           8
        .value_kind:     global_buffer
      - .address_space:  global
        .offset:         40
        .size:           8
        .value_kind:     global_buffer
      - .address_space:  global
        .offset:         48
        .size:           8
        .value_kind:     global_buffer
      - .offset:         56
        .size:           4
        .value_kind:     by_value
      - .offset:         60
        .size:           4
        .value_kind:     by_value
      - .offset:         64
        .size:           4
        .value_kind:     hidden_block_count_x
      - .offset:         68
        .size:           4
        .value_kind:     hidden_block_count_y
      - .offset:         72
        .size:           4
        .value_kind:     hidden_block_count_z
      - .offset:         76
        .size:           2
        .value_kind:     hidden_group_size_x
      - .offset:         78
        .size:           2
        .value_kind:     hidden_group_size_y
      - .offset:         80
        .size:           2
        .value_kind:     hidden_group_size_z
      - .offset:         82
        .size:           2
        .value_kind:     hidden_remainder_x
      - .offset:         84
        .size:           2
        .value_kind:     hidden_remainder_y
      - .offset:         86
        .size:           2
        .value_kind:     hidden_remainder_z
      - .offset:         104
        .size:           8
        .value_kind:     hidden_global_offset_x
      - .offset:         112
        .size:           8
        .value_kind:     hidden_global_offset_y
      - .offset:         120
        .size:           8
        .value_kind:     hidden_global_offset_z
      - .offset:         128
        .size:           2
        .value_kind:     hidden_grid_dims
      - .offset:         184
        .size:           4
        .value_kind:     hidden_dynamic_lds_size
    .group_segment_fixed_size: 0
    .kernarg_segment_align: 8
    .kernarg_segment_size: 320
    .language:       OpenCL C
    .language_version:
      - 2
      - 0
    .max_flat_workgroup_size: 1024
    .name:           _ZN12tensorrt_llm7kernels32fusedQKNormRopeKernelNTokenHeadsIN3c108BFloat16EfLi64ELb0ELi2EEEvPviiifPKvS6_S6_PKlii
    .private_segment_fixed_size: 0
    .sgpr_count:     23
    .sgpr_spill_count: 0
    .symbol:         _ZN12tensorrt_llm7kernels32fusedQKNormRopeKernelNTokenHeadsIN3c108BFloat16EfLi64ELb0ELi2EEEvPviiifPKvS6_S6_PKlii.kd
    .uniform_work_group_size: 1
    .uses_dynamic_stack: false
    .vgpr_count:     26
    .vgpr_spill_count: 0
    .wavefront_size: 32
    .workgroup_processor_mode: 1
  - .args:
      - .address_space:  global
        .offset:         0
        .size:           8
        .value_kind:     global_buffer
      - .offset:         8
        .size:           4
        .value_kind:     by_value
      - .offset:         12
        .size:           4
        .value_kind:     by_value
      - .offset:         16
        .size:           4
        .value_kind:     by_value
      - .offset:         20
        .size:           4
        .value_kind:     by_value
      - .address_space:  global
        .offset:         24
        .size:           8
        .value_kind:     global_buffer
      - .address_space:  global
        .offset:         32
        .size:           8
        .value_kind:     global_buffer
      - .address_space:  global
        .offset:         40
        .size:           8
        .value_kind:     global_buffer
      - .address_space:  global
        .offset:         48
        .size:           8
        .value_kind:     global_buffer
      - .offset:         56
        .size:           4
        .value_kind:     by_value
      - .offset:         60
        .size:           4
        .value_kind:     by_value
      - .offset:         64
        .size:           4
        .value_kind:     hidden_block_count_x
      - .offset:         68
        .size:           4
        .value_kind:     hidden_block_count_y
      - .offset:         72
        .size:           4
        .value_kind:     hidden_block_count_z
      - .offset:         76
        .size:           2
        .value_kind:     hidden_group_size_x
      - .offset:         78
        .size:           2
        .value_kind:     hidden_group_size_y
      - .offset:         80
        .size:           2
        .value_kind:     hidden_group_size_z
      - .offset:         82
        .size:           2
        .value_kind:     hidden_remainder_x
      - .offset:         84
        .size:           2
        .value_kind:     hidden_remainder_y
      - .offset:         86
        .size:           2
        .value_kind:     hidden_remainder_z
      - .offset:         104
        .size:           8
        .value_kind:     hidden_global_offset_x
      - .offset:         112
        .size:           8
        .value_kind:     hidden_global_offset_y
      - .offset:         120
        .size:           8
        .value_kind:     hidden_global_offset_z
      - .offset:         128
        .size:           2
        .value_kind:     hidden_grid_dims
      - .offset:         184
        .size:           4
        .value_kind:     hidden_dynamic_lds_size
    .group_segment_fixed_size: 0
    .kernarg_segment_align: 8
    .kernarg_segment_size: 320
    .language:       OpenCL C
    .language_version:
      - 2
      - 0
    .max_flat_workgroup_size: 1024
    .name:           _ZN12tensorrt_llm7kernels32fusedQKNormRopeKernelNTokenHeadsIN3c108BFloat16EfLi128ELb1ELi2EEEvPviiifPKvS6_S6_PKlii
    .private_segment_fixed_size: 0
    .sgpr_count:     23
    .sgpr_spill_count: 0
    .symbol:         _ZN12tensorrt_llm7kernels32fusedQKNormRopeKernelNTokenHeadsIN3c108BFloat16EfLi128ELb1ELi2EEEvPviiifPKvS6_S6_PKlii.kd
    .uniform_work_group_size: 1
    .uses_dynamic_stack: false
    .vgpr_count:     31
    .vgpr_spill_count: 0
    .wavefront_size: 32
    .workgroup_processor_mode: 1
  - .args:
      - .address_space:  global
        .offset:         0
        .size:           8
        .value_kind:     global_buffer
      - .offset:         8
        .size:           4
        .value_kind:     by_value
      - .offset:         12
        .size:           4
        .value_kind:     by_value
      - .offset:         16
        .size:           4
        .value_kind:     by_value
      - .offset:         20
        .size:           4
        .value_kind:     by_value
      - .address_space:  global
        .offset:         24
        .size:           8
        .value_kind:     global_buffer
      - .address_space:  global
        .offset:         32
        .size:           8
        .value_kind:     global_buffer
      - .address_space:  global
        .offset:         40
        .size:           8
        .value_kind:     global_buffer
      - .address_space:  global
        .offset:         48
        .size:           8
        .value_kind:     global_buffer
      - .offset:         56
        .size:           4
        .value_kind:     by_value
      - .offset:         60
        .size:           4
        .value_kind:     by_value
      - .offset:         64
        .size:           4
        .value_kind:     hidden_block_count_x
      - .offset:         68
        .size:           4
        .value_kind:     hidden_block_count_y
      - .offset:         72
        .size:           4
        .value_kind:     hidden_block_count_z
      - .offset:         76
        .size:           2
        .value_kind:     hidden_group_size_x
      - .offset:         78
        .size:           2
        .value_kind:     hidden_group_size_y
      - .offset:         80
        .size:           2
        .value_kind:     hidden_group_size_z
      - .offset:         82
        .size:           2
        .value_kind:     hidden_remainder_x
      - .offset:         84
        .size:           2
        .value_kind:     hidden_remainder_y
      - .offset:         86
        .size:           2
        .value_kind:     hidden_remainder_z
      - .offset:         104
        .size:           8
        .value_kind:     hidden_global_offset_x
      - .offset:         112
        .size:           8
        .value_kind:     hidden_global_offset_y
      - .offset:         120
        .size:           8
        .value_kind:     hidden_global_offset_z
      - .offset:         128
        .size:           2
        .value_kind:     hidden_grid_dims
      - .offset:         184
        .size:           4
        .value_kind:     hidden_dynamic_lds_size
    .group_segment_fixed_size: 0
    .kernarg_segment_align: 8
    .kernarg_segment_size: 320
    .language:       OpenCL C
    .language_version:
      - 2
      - 0
    .max_flat_workgroup_size: 1024
    .name:           _ZN12tensorrt_llm7kernels32fusedQKNormRopeKernelNTokenHeadsIN3c108BFloat16EfLi128ELb0ELi2EEEvPviiifPKvS6_S6_PKlii
    .private_segment_fixed_size: 0
    .sgpr_count:     23
    .sgpr_spill_count: 0
    .symbol:         _ZN12tensorrt_llm7kernels32fusedQKNormRopeKernelNTokenHeadsIN3c108BFloat16EfLi128ELb0ELi2EEEvPviiifPKvS6_S6_PKlii.kd
    .uniform_work_group_size: 1
    .uses_dynamic_stack: false
    .vgpr_count:     45
    .vgpr_spill_count: 0
    .wavefront_size: 32
    .workgroup_processor_mode: 1
  - .args:
      - .address_space:  global
        .offset:         0
        .size:           8
        .value_kind:     global_buffer
      - .offset:         8
        .size:           4
        .value_kind:     by_value
      - .offset:         12
        .size:           4
        .value_kind:     by_value
      - .offset:         16
        .size:           4
        .value_kind:     by_value
      - .offset:         20
        .size:           4
        .value_kind:     by_value
      - .address_space:  global
        .offset:         24
        .size:           8
        .value_kind:     global_buffer
      - .address_space:  global
        .offset:         32
        .size:           8
        .value_kind:     global_buffer
      - .address_space:  global
        .offset:         40
        .size:           8
        .value_kind:     global_buffer
      - .address_space:  global
        .offset:         48
        .size:           8
        .value_kind:     global_buffer
      - .offset:         56
        .size:           4
        .value_kind:     by_value
      - .offset:         60
        .size:           4
        .value_kind:     by_value
      - .offset:         64
        .size:           4
        .value_kind:     hidden_block_count_x
      - .offset:         68
        .size:           4
        .value_kind:     hidden_block_count_y
      - .offset:         72
        .size:           4
        .value_kind:     hidden_block_count_z
      - .offset:         76
        .size:           2
        .value_kind:     hidden_group_size_x
      - .offset:         78
        .size:           2
        .value_kind:     hidden_group_size_y
      - .offset:         80
        .size:           2
        .value_kind:     hidden_group_size_z
      - .offset:         82
        .size:           2
        .value_kind:     hidden_remainder_x
      - .offset:         84
        .size:           2
        .value_kind:     hidden_remainder_y
      - .offset:         86
        .size:           2
        .value_kind:     hidden_remainder_z
      - .offset:         104
        .size:           8
        .value_kind:     hidden_global_offset_x
      - .offset:         112
        .size:           8
        .value_kind:     hidden_global_offset_y
      - .offset:         120
        .size:           8
        .value_kind:     hidden_global_offset_z
      - .offset:         128
        .size:           2
        .value_kind:     hidden_grid_dims
      - .offset:         184
        .size:           4
        .value_kind:     hidden_dynamic_lds_size
    .group_segment_fixed_size: 0
    .kernarg_segment_align: 8
    .kernarg_segment_size: 320
    .language:       OpenCL C
    .language_version:
      - 2
      - 0
    .max_flat_workgroup_size: 1024
    .name:           _ZN12tensorrt_llm7kernels32fusedQKNormRopeKernelNTokenHeadsIN3c108BFloat16EfLi256ELb1ELi2EEEvPviiifPKvS6_S6_PKlii
    .private_segment_fixed_size: 0
    .sgpr_count:     23
    .sgpr_spill_count: 0
    .symbol:         _ZN12tensorrt_llm7kernels32fusedQKNormRopeKernelNTokenHeadsIN3c108BFloat16EfLi256ELb1ELi2EEEvPviiifPKvS6_S6_PKlii.kd
    .uniform_work_group_size: 1
    .uses_dynamic_stack: false
    .vgpr_count:     50
    .vgpr_spill_count: 0
    .wavefront_size: 32
    .workgroup_processor_mode: 1
  - .args:
      - .address_space:  global
        .offset:         0
        .size:           8
        .value_kind:     global_buffer
      - .offset:         8
        .size:           4
        .value_kind:     by_value
      - .offset:         12
        .size:           4
        .value_kind:     by_value
      - .offset:         16
        .size:           4
        .value_kind:     by_value
      - .offset:         20
        .size:           4
        .value_kind:     by_value
      - .address_space:  global
        .offset:         24
        .size:           8
        .value_kind:     global_buffer
      - .address_space:  global
        .offset:         32
        .size:           8
        .value_kind:     global_buffer
      - .address_space:  global
        .offset:         40
        .size:           8
        .value_kind:     global_buffer
      - .address_space:  global
        .offset:         48
        .size:           8
        .value_kind:     global_buffer
      - .offset:         56
        .size:           4
        .value_kind:     by_value
      - .offset:         60
        .size:           4
        .value_kind:     by_value
      - .offset:         64
        .size:           4
        .value_kind:     hidden_block_count_x
      - .offset:         68
        .size:           4
        .value_kind:     hidden_block_count_y
      - .offset:         72
        .size:           4
        .value_kind:     hidden_block_count_z
      - .offset:         76
        .size:           2
        .value_kind:     hidden_group_size_x
      - .offset:         78
        .size:           2
        .value_kind:     hidden_group_size_y
      - .offset:         80
        .size:           2
        .value_kind:     hidden_group_size_z
      - .offset:         82
        .size:           2
        .value_kind:     hidden_remainder_x
      - .offset:         84
        .size:           2
        .value_kind:     hidden_remainder_y
      - .offset:         86
        .size:           2
        .value_kind:     hidden_remainder_z
      - .offset:         104
        .size:           8
        .value_kind:     hidden_global_offset_x
      - .offset:         112
        .size:           8
        .value_kind:     hidden_global_offset_y
      - .offset:         120
        .size:           8
        .value_kind:     hidden_global_offset_z
      - .offset:         128
        .size:           2
        .value_kind:     hidden_grid_dims
      - .offset:         184
        .size:           4
        .value_kind:     hidden_dynamic_lds_size
    .group_segment_fixed_size: 0
    .kernarg_segment_align: 8
    .kernarg_segment_size: 320
    .language:       OpenCL C
    .language_version:
      - 2
      - 0
    .max_flat_workgroup_size: 1024
    .name:           _ZN12tensorrt_llm7kernels32fusedQKNormRopeKernelNTokenHeadsIN3c108BFloat16EfLi256ELb0ELi2EEEvPviiifPKvS6_S6_PKlii
    .private_segment_fixed_size: 0
    .sgpr_count:     23
    .sgpr_spill_count: 0
    .symbol:         _ZN12tensorrt_llm7kernels32fusedQKNormRopeKernelNTokenHeadsIN3c108BFloat16EfLi256ELb0ELi2EEEvPviiifPKvS6_S6_PKlii.kd
    .uniform_work_group_size: 1
    .uses_dynamic_stack: false
    .vgpr_count:     76
    .vgpr_spill_count: 0
    .wavefront_size: 32
    .workgroup_processor_mode: 1
  - .args:
      - .address_space:  global
        .offset:         0
        .size:           8
        .value_kind:     global_buffer
      - .offset:         8
        .size:           4
        .value_kind:     by_value
      - .offset:         12
        .size:           4
        .value_kind:     by_value
      - .offset:         16
        .size:           4
        .value_kind:     by_value
      - .offset:         20
        .size:           4
        .value_kind:     by_value
      - .address_space:  global
        .offset:         24
        .size:           8
        .value_kind:     global_buffer
      - .address_space:  global
        .offset:         32
        .size:           8
        .value_kind:     global_buffer
      - .address_space:  global
        .offset:         40
        .size:           8
        .value_kind:     global_buffer
      - .address_space:  global
        .offset:         48
        .size:           8
        .value_kind:     global_buffer
      - .offset:         56
        .size:           4
        .value_kind:     by_value
      - .offset:         60
        .size:           4
        .value_kind:     by_value
      - .offset:         64
        .size:           4
        .value_kind:     hidden_block_count_x
      - .offset:         68
        .size:           4
        .value_kind:     hidden_block_count_y
      - .offset:         72
        .size:           4
        .value_kind:     hidden_block_count_z
      - .offset:         76
        .size:           2
        .value_kind:     hidden_group_size_x
      - .offset:         78
        .size:           2
        .value_kind:     hidden_group_size_y
      - .offset:         80
        .size:           2
        .value_kind:     hidden_group_size_z
      - .offset:         82
        .size:           2
        .value_kind:     hidden_remainder_x
      - .offset:         84
        .size:           2
        .value_kind:     hidden_remainder_y
      - .offset:         86
        .size:           2
        .value_kind:     hidden_remainder_z
      - .offset:         104
        .size:           8
        .value_kind:     hidden_global_offset_x
      - .offset:         112
        .size:           8
        .value_kind:     hidden_global_offset_y
      - .offset:         120
        .size:           8
        .value_kind:     hidden_global_offset_z
      - .offset:         128
        .size:           2
        .value_kind:     hidden_grid_dims
      - .offset:         184
        .size:           4
        .value_kind:     hidden_dynamic_lds_size
    .group_segment_fixed_size: 0
    .kernarg_segment_align: 8
    .kernarg_segment_size: 320
    .language:       OpenCL C
    .language_version:
      - 2
      - 0
    .max_flat_workgroup_size: 1024
    .name:           _ZN12tensorrt_llm7kernels32fusedQKNormRopeKernelNTokenHeadsIN3c108BFloat16EfLi64ELb1ELi4EEEvPviiifPKvS6_S6_PKlii
    .private_segment_fixed_size: 0
    .sgpr_count:     23
    .sgpr_spill_count: 0
    .symbol:         _ZN12tensorrt_llm7kernels32fusedQKNormRopeKernelNTokenHeadsIN3c108BFloat16EfLi64ELb1ELi4EEEvPviiifPKvS6_S6_PKlii.kd
    .uniform_work_group_size: 1
    .uses_dynamic_stack: false
    .vgpr_count:     21
    .vgpr_spill_count: 0
    .wavefront_size: 32
    .workgroup_processor_mode: 1
  - .args:
      - .address_space:  global
        .offset:         0
        .size:           8
        .value_kind:     global_buffer
      - .offset:         8
        .size:           4
        .value_kind:     by_value
      - .offset:         12
        .size:           4
        .value_kind:     by_value
      - .offset:         16
        .size:           4
        .value_kind:     by_value
      - .offset:         20
        .size:           4
        .value_kind:     by_value
      - .address_space:  global
        .offset:         24
        .size:           8
        .value_kind:     global_buffer
      - .address_space:  global
        .offset:         32
        .size:           8
        .value_kind:     global_buffer
      - .address_space:  global
        .offset:         40
        .size:           8
        .value_kind:     global_buffer
      - .address_space:  global
        .offset:         48
        .size:           8
        .value_kind:     global_buffer
      - .offset:         56
        .size:           4
        .value_kind:     by_value
      - .offset:         60
        .size:           4
        .value_kind:     by_value
      - .offset:         64
        .size:           4
        .value_kind:     hidden_block_count_x
      - .offset:         68
        .size:           4
        .value_kind:     hidden_block_count_y
      - .offset:         72
        .size:           4
        .value_kind:     hidden_block_count_z
      - .offset:         76
        .size:           2
        .value_kind:     hidden_group_size_x
      - .offset:         78
        .size:           2
        .value_kind:     hidden_group_size_y
      - .offset:         80
        .size:           2
        .value_kind:     hidden_group_size_z
      - .offset:         82
        .size:           2
        .value_kind:     hidden_remainder_x
      - .offset:         84
        .size:           2
        .value_kind:     hidden_remainder_y
      - .offset:         86
        .size:           2
        .value_kind:     hidden_remainder_z
      - .offset:         104
        .size:           8
        .value_kind:     hidden_global_offset_x
      - .offset:         112
        .size:           8
        .value_kind:     hidden_global_offset_y
      - .offset:         120
        .size:           8
        .value_kind:     hidden_global_offset_z
      - .offset:         128
        .size:           2
        .value_kind:     hidden_grid_dims
      - .offset:         184
        .size:           4
        .value_kind:     hidden_dynamic_lds_size
    .group_segment_fixed_size: 0
    .kernarg_segment_align: 8
    .kernarg_segment_size: 320
    .language:       OpenCL C
    .language_version:
      - 2
      - 0
    .max_flat_workgroup_size: 1024
    .name:           _ZN12tensorrt_llm7kernels32fusedQKNormRopeKernelNTokenHeadsIN3c108BFloat16EfLi64ELb0ELi4EEEvPviiifPKvS6_S6_PKlii
    .private_segment_fixed_size: 0
    .sgpr_count:     23
    .sgpr_spill_count: 0
    .symbol:         _ZN12tensorrt_llm7kernels32fusedQKNormRopeKernelNTokenHeadsIN3c108BFloat16EfLi64ELb0ELi4EEEvPviiifPKvS6_S6_PKlii.kd
    .uniform_work_group_size: 1
    .uses_dynamic_stack: false
    .vgpr_count:     26
    .vgpr_spill_count: 0
    .wavefront_size: 32
    .workgroup_processor_mode: 1
  - .args:
      - .address_space:  global
        .offset:         0
        .size:           8
        .value_kind:     global_buffer
      - .offset:         8
        .size:           4
        .value_kind:     by_value
      - .offset:         12
        .size:           4
        .value_kind:     by_value
      - .offset:         16
        .size:           4
        .value_kind:     by_value
      - .offset:         20
        .size:           4
        .value_kind:     by_value
      - .address_space:  global
        .offset:         24
        .size:           8
        .value_kind:     global_buffer
      - .address_space:  global
        .offset:         32
        .size:           8
        .value_kind:     global_buffer
      - .address_space:  global
        .offset:         40
        .size:           8
        .value_kind:     global_buffer
      - .address_space:  global
        .offset:         48
        .size:           8
        .value_kind:     global_buffer
      - .offset:         56
        .size:           4
        .value_kind:     by_value
      - .offset:         60
        .size:           4
        .value_kind:     by_value
      - .offset:         64
        .size:           4
        .value_kind:     hidden_block_count_x
      - .offset:         68
        .size:           4
        .value_kind:     hidden_block_count_y
      - .offset:         72
        .size:           4
        .value_kind:     hidden_block_count_z
      - .offset:         76
        .size:           2
        .value_kind:     hidden_group_size_x
      - .offset:         78
        .size:           2
        .value_kind:     hidden_group_size_y
      - .offset:         80
        .size:           2
        .value_kind:     hidden_group_size_z
      - .offset:         82
        .size:           2
        .value_kind:     hidden_remainder_x
      - .offset:         84
        .size:           2
        .value_kind:     hidden_remainder_y
      - .offset:         86
        .size:           2
        .value_kind:     hidden_remainder_z
      - .offset:         104
        .size:           8
        .value_kind:     hidden_global_offset_x
      - .offset:         112
        .size:           8
        .value_kind:     hidden_global_offset_y
      - .offset:         120
        .size:           8
        .value_kind:     hidden_global_offset_z
      - .offset:         128
        .size:           2
        .value_kind:     hidden_grid_dims
      - .offset:         184
        .size:           4
        .value_kind:     hidden_dynamic_lds_size
    .group_segment_fixed_size: 0
    .kernarg_segment_align: 8
    .kernarg_segment_size: 320
    .language:       OpenCL C
    .language_version:
      - 2
      - 0
    .max_flat_workgroup_size: 1024
    .name:           _ZN12tensorrt_llm7kernels32fusedQKNormRopeKernelNTokenHeadsIN3c108BFloat16EfLi128ELb1ELi4EEEvPviiifPKvS6_S6_PKlii
    .private_segment_fixed_size: 0
    .sgpr_count:     23
    .sgpr_spill_count: 0
    .symbol:         _ZN12tensorrt_llm7kernels32fusedQKNormRopeKernelNTokenHeadsIN3c108BFloat16EfLi128ELb1ELi4EEEvPviiifPKvS6_S6_PKlii.kd
    .uniform_work_group_size: 1
    .uses_dynamic_stack: false
    .vgpr_count:     31
    .vgpr_spill_count: 0
    .wavefront_size: 32
    .workgroup_processor_mode: 1
  - .args:
      - .address_space:  global
        .offset:         0
        .size:           8
        .value_kind:     global_buffer
      - .offset:         8
        .size:           4
        .value_kind:     by_value
      - .offset:         12
        .size:           4
        .value_kind:     by_value
      - .offset:         16
        .size:           4
        .value_kind:     by_value
      - .offset:         20
        .size:           4
        .value_kind:     by_value
      - .address_space:  global
        .offset:         24
        .size:           8
        .value_kind:     global_buffer
      - .address_space:  global
        .offset:         32
        .size:           8
        .value_kind:     global_buffer
      - .address_space:  global
        .offset:         40
        .size:           8
        .value_kind:     global_buffer
      - .address_space:  global
        .offset:         48
        .size:           8
        .value_kind:     global_buffer
      - .offset:         56
        .size:           4
        .value_kind:     by_value
      - .offset:         60
        .size:           4
        .value_kind:     by_value
      - .offset:         64
        .size:           4
        .value_kind:     hidden_block_count_x
      - .offset:         68
        .size:           4
        .value_kind:     hidden_block_count_y
      - .offset:         72
        .size:           4
        .value_kind:     hidden_block_count_z
      - .offset:         76
        .size:           2
        .value_kind:     hidden_group_size_x
      - .offset:         78
        .size:           2
        .value_kind:     hidden_group_size_y
      - .offset:         80
        .size:           2
        .value_kind:     hidden_group_size_z
      - .offset:         82
        .size:           2
        .value_kind:     hidden_remainder_x
      - .offset:         84
        .size:           2
        .value_kind:     hidden_remainder_y
      - .offset:         86
        .size:           2
        .value_kind:     hidden_remainder_z
      - .offset:         104
        .size:           8
        .value_kind:     hidden_global_offset_x
      - .offset:         112
        .size:           8
        .value_kind:     hidden_global_offset_y
      - .offset:         120
        .size:           8
        .value_kind:     hidden_global_offset_z
      - .offset:         128
        .size:           2
        .value_kind:     hidden_grid_dims
      - .offset:         184
        .size:           4
        .value_kind:     hidden_dynamic_lds_size
    .group_segment_fixed_size: 0
    .kernarg_segment_align: 8
    .kernarg_segment_size: 320
    .language:       OpenCL C
    .language_version:
      - 2
      - 0
    .max_flat_workgroup_size: 1024
    .name:           _ZN12tensorrt_llm7kernels32fusedQKNormRopeKernelNTokenHeadsIN3c108BFloat16EfLi128ELb0ELi4EEEvPviiifPKvS6_S6_PKlii
    .private_segment_fixed_size: 0
    .sgpr_count:     23
    .sgpr_spill_count: 0
    .symbol:         _ZN12tensorrt_llm7kernels32fusedQKNormRopeKernelNTokenHeadsIN3c108BFloat16EfLi128ELb0ELi4EEEvPviiifPKvS6_S6_PKlii.kd
    .uniform_work_group_size: 1
    .uses_dynamic_stack: false
    .vgpr_count:     45
    .vgpr_spill_count: 0
    .wavefront_size: 32
    .workgroup_processor_mode: 1
  - .args:
      - .address_space:  global
        .offset:         0
        .size:           8
        .value_kind:     global_buffer
      - .offset:         8
        .size:           4
        .value_kind:     by_value
      - .offset:         12
        .size:           4
        .value_kind:     by_value
      - .offset:         16
        .size:           4
        .value_kind:     by_value
      - .offset:         20
        .size:           4
        .value_kind:     by_value
      - .address_space:  global
        .offset:         24
        .size:           8
        .value_kind:     global_buffer
      - .address_space:  global
        .offset:         32
        .size:           8
        .value_kind:     global_buffer
      - .address_space:  global
        .offset:         40
        .size:           8
        .value_kind:     global_buffer
      - .address_space:  global
        .offset:         48
        .size:           8
        .value_kind:     global_buffer
      - .offset:         56
        .size:           4
        .value_kind:     by_value
      - .offset:         60
        .size:           4
        .value_kind:     by_value
      - .offset:         64
        .size:           4
        .value_kind:     hidden_block_count_x
      - .offset:         68
        .size:           4
        .value_kind:     hidden_block_count_y
      - .offset:         72
        .size:           4
        .value_kind:     hidden_block_count_z
      - .offset:         76
        .size:           2
        .value_kind:     hidden_group_size_x
      - .offset:         78
        .size:           2
        .value_kind:     hidden_group_size_y
      - .offset:         80
        .size:           2
        .value_kind:     hidden_group_size_z
      - .offset:         82
        .size:           2
        .value_kind:     hidden_remainder_x
      - .offset:         84
        .size:           2
        .value_kind:     hidden_remainder_y
      - .offset:         86
        .size:           2
        .value_kind:     hidden_remainder_z
      - .offset:         104
        .size:           8
        .value_kind:     hidden_global_offset_x
      - .offset:         112
        .size:           8
        .value_kind:     hidden_global_offset_y
      - .offset:         120
        .size:           8
        .value_kind:     hidden_global_offset_z
      - .offset:         128
        .size:           2
        .value_kind:     hidden_grid_dims
      - .offset:         184
        .size:           4
        .value_kind:     hidden_dynamic_lds_size
    .group_segment_fixed_size: 0
    .kernarg_segment_align: 8
    .kernarg_segment_size: 320
    .language:       OpenCL C
    .language_version:
      - 2
      - 0
    .max_flat_workgroup_size: 1024
    .name:           _ZN12tensorrt_llm7kernels32fusedQKNormRopeKernelNTokenHeadsIN3c108BFloat16EfLi256ELb1ELi4EEEvPviiifPKvS6_S6_PKlii
    .private_segment_fixed_size: 0
    .sgpr_count:     23
    .sgpr_spill_count: 0
    .symbol:         _ZN12tensorrt_llm7kernels32fusedQKNormRopeKernelNTokenHeadsIN3c108BFloat16EfLi256ELb1ELi4EEEvPviiifPKvS6_S6_PKlii.kd
    .uniform_work_group_size: 1
    .uses_dynamic_stack: false
    .vgpr_count:     50
    .vgpr_spill_count: 0
    .wavefront_size: 32
    .workgroup_processor_mode: 1
  - .args:
      - .address_space:  global
        .offset:         0
        .size:           8
        .value_kind:     global_buffer
      - .offset:         8
        .size:           4
        .value_kind:     by_value
      - .offset:         12
        .size:           4
        .value_kind:     by_value
      - .offset:         16
        .size:           4
        .value_kind:     by_value
      - .offset:         20
        .size:           4
        .value_kind:     by_value
      - .address_space:  global
        .offset:         24
        .size:           8
        .value_kind:     global_buffer
      - .address_space:  global
        .offset:         32
        .size:           8
        .value_kind:     global_buffer
      - .address_space:  global
        .offset:         40
        .size:           8
        .value_kind:     global_buffer
      - .address_space:  global
        .offset:         48
        .size:           8
        .value_kind:     global_buffer
      - .offset:         56
        .size:           4
        .value_kind:     by_value
      - .offset:         60
        .size:           4
        .value_kind:     by_value
      - .offset:         64
        .size:           4
        .value_kind:     hidden_block_count_x
      - .offset:         68
        .size:           4
        .value_kind:     hidden_block_count_y
      - .offset:         72
        .size:           4
        .value_kind:     hidden_block_count_z
      - .offset:         76
        .size:           2
        .value_kind:     hidden_group_size_x
      - .offset:         78
        .size:           2
        .value_kind:     hidden_group_size_y
      - .offset:         80
        .size:           2
        .value_kind:     hidden_group_size_z
      - .offset:         82
        .size:           2
        .value_kind:     hidden_remainder_x
      - .offset:         84
        .size:           2
        .value_kind:     hidden_remainder_y
      - .offset:         86
        .size:           2
        .value_kind:     hidden_remainder_z
      - .offset:         104
        .size:           8
        .value_kind:     hidden_global_offset_x
      - .offset:         112
        .size:           8
        .value_kind:     hidden_global_offset_y
      - .offset:         120
        .size:           8
        .value_kind:     hidden_global_offset_z
      - .offset:         128
        .size:           2
        .value_kind:     hidden_grid_dims
      - .offset:         184
        .size:           4
        .value_kind:     hidden_dynamic_lds_size
    .group_segment_fixed_size: 0
    .kernarg_segment_align: 8
    .kernarg_segment_size: 320
    .language:       OpenCL C
    .language_version:
      - 2
      - 0
    .max_flat_workgroup_size: 1024
    .name:           _ZN12tensorrt_llm7kernels32fusedQKNormRopeKernelNTokenHeadsIN3c108BFloat16EfLi256ELb0ELi4EEEvPviiifPKvS6_S6_PKlii
    .private_segment_fixed_size: 0
    .sgpr_count:     23
    .sgpr_spill_count: 0
    .symbol:         _ZN12tensorrt_llm7kernels32fusedQKNormRopeKernelNTokenHeadsIN3c108BFloat16EfLi256ELb0ELi4EEEvPviiifPKvS6_S6_PKlii.kd
    .uniform_work_group_size: 1
    .uses_dynamic_stack: false
    .vgpr_count:     76
    .vgpr_spill_count: 0
    .wavefront_size: 32
    .workgroup_processor_mode: 1
  - .args:
      - .address_space:  global
        .offset:         0
        .size:           8
        .value_kind:     global_buffer
      - .offset:         8
        .size:           4
        .value_kind:     by_value
      - .offset:         12
        .size:           4
        .value_kind:     by_value
      - .offset:         16
        .size:           4
        .value_kind:     by_value
      - .offset:         20
        .size:           4
        .value_kind:     by_value
      - .address_space:  global
        .offset:         24
        .size:           8
        .value_kind:     global_buffer
      - .address_space:  global
        .offset:         32
        .size:           8
        .value_kind:     global_buffer
      - .address_space:  global
        .offset:         40
        .size:           8
        .value_kind:     global_buffer
      - .address_space:  global
        .offset:         48
        .size:           8
        .value_kind:     global_buffer
      - .offset:         56
        .size:           4
        .value_kind:     by_value
      - .offset:         60
        .size:           4
        .value_kind:     by_value
      - .offset:         64
        .size:           4
        .value_kind:     hidden_block_count_x
      - .offset:         68
        .size:           4
        .value_kind:     hidden_block_count_y
      - .offset:         72
        .size:           4
        .value_kind:     hidden_block_count_z
      - .offset:         76
        .size:           2
        .value_kind:     hidden_group_size_x
      - .offset:         78
        .size:           2
        .value_kind:     hidden_group_size_y
      - .offset:         80
        .size:           2
        .value_kind:     hidden_group_size_z
      - .offset:         82
        .size:           2
        .value_kind:     hidden_remainder_x
      - .offset:         84
        .size:           2
        .value_kind:     hidden_remainder_y
      - .offset:         86
        .size:           2
        .value_kind:     hidden_remainder_z
      - .offset:         104
        .size:           8
        .value_kind:     hidden_global_offset_x
      - .offset:         112
        .size:           8
        .value_kind:     hidden_global_offset_y
      - .offset:         120
        .size:           8
        .value_kind:     hidden_global_offset_z
      - .offset:         128
        .size:           2
        .value_kind:     hidden_grid_dims
      - .offset:         184
        .size:           4
        .value_kind:     hidden_dynamic_lds_size
    .group_segment_fixed_size: 0
    .kernarg_segment_align: 8
    .kernarg_segment_size: 320
    .language:       OpenCL C
    .language_version:
      - 2
      - 0
    .max_flat_workgroup_size: 1024
    .name:           _ZN12tensorrt_llm7kernels32fusedQKNormRopeKernelNTokenHeadsIN3c108BFloat16EfLi64ELb1ELi8EEEvPviiifPKvS6_S6_PKlii
    .private_segment_fixed_size: 0
    .sgpr_count:     23
    .sgpr_spill_count: 0
    .symbol:         _ZN12tensorrt_llm7kernels32fusedQKNormRopeKernelNTokenHeadsIN3c108BFloat16EfLi64ELb1ELi8EEEvPviiifPKvS6_S6_PKlii.kd
    .uniform_work_group_size: 1
    .uses_dynamic_stack: false
    .vgpr_count:     21
    .vgpr_spill_count: 0
    .wavefront_size: 32
    .workgroup_processor_mode: 1
  - .args:
      - .address_space:  global
        .offset:         0
        .size:           8
        .value_kind:     global_buffer
      - .offset:         8
        .size:           4
        .value_kind:     by_value
      - .offset:         12
        .size:           4
        .value_kind:     by_value
      - .offset:         16
        .size:           4
        .value_kind:     by_value
      - .offset:         20
        .size:           4
        .value_kind:     by_value
      - .address_space:  global
        .offset:         24
        .size:           8
        .value_kind:     global_buffer
      - .address_space:  global
        .offset:         32
        .size:           8
        .value_kind:     global_buffer
      - .address_space:  global
        .offset:         40
        .size:           8
        .value_kind:     global_buffer
      - .address_space:  global
        .offset:         48
        .size:           8
        .value_kind:     global_buffer
      - .offset:         56
        .size:           4
        .value_kind:     by_value
      - .offset:         60
        .size:           4
        .value_kind:     by_value
      - .offset:         64
        .size:           4
        .value_kind:     hidden_block_count_x
      - .offset:         68
        .size:           4
        .value_kind:     hidden_block_count_y
      - .offset:         72
        .size:           4
        .value_kind:     hidden_block_count_z
      - .offset:         76
        .size:           2
        .value_kind:     hidden_group_size_x
      - .offset:         78
        .size:           2
        .value_kind:     hidden_group_size_y
      - .offset:         80
        .size:           2
        .value_kind:     hidden_group_size_z
      - .offset:         82
        .size:           2
        .value_kind:     hidden_remainder_x
      - .offset:         84
        .size:           2
        .value_kind:     hidden_remainder_y
      - .offset:         86
        .size:           2
        .value_kind:     hidden_remainder_z
      - .offset:         104
        .size:           8
        .value_kind:     hidden_global_offset_x
      - .offset:         112
        .size:           8
        .value_kind:     hidden_global_offset_y
      - .offset:         120
        .size:           8
        .value_kind:     hidden_global_offset_z
      - .offset:         128
        .size:           2
        .value_kind:     hidden_grid_dims
      - .offset:         184
        .size:           4
        .value_kind:     hidden_dynamic_lds_size
    .group_segment_fixed_size: 0
    .kernarg_segment_align: 8
    .kernarg_segment_size: 320
    .language:       OpenCL C
    .language_version:
      - 2
      - 0
    .max_flat_workgroup_size: 1024
    .name:           _ZN12tensorrt_llm7kernels32fusedQKNormRopeKernelNTokenHeadsIN3c108BFloat16EfLi64ELb0ELi8EEEvPviiifPKvS6_S6_PKlii
    .private_segment_fixed_size: 0
    .sgpr_count:     23
    .sgpr_spill_count: 0
    .symbol:         _ZN12tensorrt_llm7kernels32fusedQKNormRopeKernelNTokenHeadsIN3c108BFloat16EfLi64ELb0ELi8EEEvPviiifPKvS6_S6_PKlii.kd
    .uniform_work_group_size: 1
    .uses_dynamic_stack: false
    .vgpr_count:     26
    .vgpr_spill_count: 0
    .wavefront_size: 32
    .workgroup_processor_mode: 1
  - .args:
      - .address_space:  global
        .offset:         0
        .size:           8
        .value_kind:     global_buffer
      - .offset:         8
        .size:           4
        .value_kind:     by_value
      - .offset:         12
        .size:           4
        .value_kind:     by_value
      - .offset:         16
        .size:           4
        .value_kind:     by_value
      - .offset:         20
        .size:           4
        .value_kind:     by_value
      - .address_space:  global
        .offset:         24
        .size:           8
        .value_kind:     global_buffer
      - .address_space:  global
        .offset:         32
        .size:           8
        .value_kind:     global_buffer
      - .address_space:  global
        .offset:         40
        .size:           8
        .value_kind:     global_buffer
      - .address_space:  global
        .offset:         48
        .size:           8
        .value_kind:     global_buffer
      - .offset:         56
        .size:           4
        .value_kind:     by_value
      - .offset:         60
        .size:           4
        .value_kind:     by_value
      - .offset:         64
        .size:           4
        .value_kind:     hidden_block_count_x
      - .offset:         68
        .size:           4
        .value_kind:     hidden_block_count_y
      - .offset:         72
        .size:           4
        .value_kind:     hidden_block_count_z
      - .offset:         76
        .size:           2
        .value_kind:     hidden_group_size_x
      - .offset:         78
        .size:           2
        .value_kind:     hidden_group_size_y
      - .offset:         80
        .size:           2
        .value_kind:     hidden_group_size_z
      - .offset:         82
        .size:           2
        .value_kind:     hidden_remainder_x
      - .offset:         84
        .size:           2
        .value_kind:     hidden_remainder_y
      - .offset:         86
        .size:           2
        .value_kind:     hidden_remainder_z
      - .offset:         104
        .size:           8
        .value_kind:     hidden_global_offset_x
      - .offset:         112
        .size:           8
        .value_kind:     hidden_global_offset_y
      - .offset:         120
        .size:           8
        .value_kind:     hidden_global_offset_z
      - .offset:         128
        .size:           2
        .value_kind:     hidden_grid_dims
      - .offset:         184
        .size:           4
        .value_kind:     hidden_dynamic_lds_size
    .group_segment_fixed_size: 0
    .kernarg_segment_align: 8
    .kernarg_segment_size: 320
    .language:       OpenCL C
    .language_version:
      - 2
      - 0
    .max_flat_workgroup_size: 1024
    .name:           _ZN12tensorrt_llm7kernels32fusedQKNormRopeKernelNTokenHeadsIN3c108BFloat16EfLi128ELb1ELi8EEEvPviiifPKvS6_S6_PKlii
    .private_segment_fixed_size: 0
    .sgpr_count:     23
    .sgpr_spill_count: 0
    .symbol:         _ZN12tensorrt_llm7kernels32fusedQKNormRopeKernelNTokenHeadsIN3c108BFloat16EfLi128ELb1ELi8EEEvPviiifPKvS6_S6_PKlii.kd
    .uniform_work_group_size: 1
    .uses_dynamic_stack: false
    .vgpr_count:     31
    .vgpr_spill_count: 0
    .wavefront_size: 32
    .workgroup_processor_mode: 1
  - .args:
      - .address_space:  global
        .offset:         0
        .size:           8
        .value_kind:     global_buffer
      - .offset:         8
        .size:           4
        .value_kind:     by_value
      - .offset:         12
        .size:           4
        .value_kind:     by_value
      - .offset:         16
        .size:           4
        .value_kind:     by_value
      - .offset:         20
        .size:           4
        .value_kind:     by_value
      - .address_space:  global
        .offset:         24
        .size:           8
        .value_kind:     global_buffer
      - .address_space:  global
        .offset:         32
        .size:           8
        .value_kind:     global_buffer
      - .address_space:  global
        .offset:         40
        .size:           8
        .value_kind:     global_buffer
      - .address_space:  global
        .offset:         48
        .size:           8
        .value_kind:     global_buffer
      - .offset:         56
        .size:           4
        .value_kind:     by_value
      - .offset:         60
        .size:           4
        .value_kind:     by_value
      - .offset:         64
        .size:           4
        .value_kind:     hidden_block_count_x
      - .offset:         68
        .size:           4
        .value_kind:     hidden_block_count_y
      - .offset:         72
        .size:           4
        .value_kind:     hidden_block_count_z
      - .offset:         76
        .size:           2
        .value_kind:     hidden_group_size_x
      - .offset:         78
        .size:           2
        .value_kind:     hidden_group_size_y
      - .offset:         80
        .size:           2
        .value_kind:     hidden_group_size_z
      - .offset:         82
        .size:           2
        .value_kind:     hidden_remainder_x
      - .offset:         84
        .size:           2
        .value_kind:     hidden_remainder_y
      - .offset:         86
        .size:           2
        .value_kind:     hidden_remainder_z
      - .offset:         104
        .size:           8
        .value_kind:     hidden_global_offset_x
      - .offset:         112
        .size:           8
        .value_kind:     hidden_global_offset_y
      - .offset:         120
        .size:           8
        .value_kind:     hidden_global_offset_z
      - .offset:         128
        .size:           2
        .value_kind:     hidden_grid_dims
      - .offset:         184
        .size:           4
        .value_kind:     hidden_dynamic_lds_size
    .group_segment_fixed_size: 0
    .kernarg_segment_align: 8
    .kernarg_segment_size: 320
    .language:       OpenCL C
    .language_version:
      - 2
      - 0
    .max_flat_workgroup_size: 1024
    .name:           _ZN12tensorrt_llm7kernels32fusedQKNormRopeKernelNTokenHeadsIN3c108BFloat16EfLi128ELb0ELi8EEEvPviiifPKvS6_S6_PKlii
    .private_segment_fixed_size: 0
    .sgpr_count:     23
    .sgpr_spill_count: 0
    .symbol:         _ZN12tensorrt_llm7kernels32fusedQKNormRopeKernelNTokenHeadsIN3c108BFloat16EfLi128ELb0ELi8EEEvPviiifPKvS6_S6_PKlii.kd
    .uniform_work_group_size: 1
    .uses_dynamic_stack: false
    .vgpr_count:     45
    .vgpr_spill_count: 0
    .wavefront_size: 32
    .workgroup_processor_mode: 1
  - .args:
      - .address_space:  global
        .offset:         0
        .size:           8
        .value_kind:     global_buffer
      - .offset:         8
        .size:           4
        .value_kind:     by_value
      - .offset:         12
        .size:           4
        .value_kind:     by_value
      - .offset:         16
        .size:           4
        .value_kind:     by_value
      - .offset:         20
        .size:           4
        .value_kind:     by_value
      - .address_space:  global
        .offset:         24
        .size:           8
        .value_kind:     global_buffer
      - .address_space:  global
        .offset:         32
        .size:           8
        .value_kind:     global_buffer
      - .address_space:  global
        .offset:         40
        .size:           8
        .value_kind:     global_buffer
      - .address_space:  global
        .offset:         48
        .size:           8
        .value_kind:     global_buffer
      - .offset:         56
        .size:           4
        .value_kind:     by_value
      - .offset:         60
        .size:           4
        .value_kind:     by_value
      - .offset:         64
        .size:           4
        .value_kind:     hidden_block_count_x
      - .offset:         68
        .size:           4
        .value_kind:     hidden_block_count_y
      - .offset:         72
        .size:           4
        .value_kind:     hidden_block_count_z
      - .offset:         76
        .size:           2
        .value_kind:     hidden_group_size_x
      - .offset:         78
        .size:           2
        .value_kind:     hidden_group_size_y
      - .offset:         80
        .size:           2
        .value_kind:     hidden_group_size_z
      - .offset:         82
        .size:           2
        .value_kind:     hidden_remainder_x
      - .offset:         84
        .size:           2
        .value_kind:     hidden_remainder_y
      - .offset:         86
        .size:           2
        .value_kind:     hidden_remainder_z
      - .offset:         104
        .size:           8
        .value_kind:     hidden_global_offset_x
      - .offset:         112
        .size:           8
        .value_kind:     hidden_global_offset_y
      - .offset:         120
        .size:           8
        .value_kind:     hidden_global_offset_z
      - .offset:         128
        .size:           2
        .value_kind:     hidden_grid_dims
      - .offset:         184
        .size:           4
        .value_kind:     hidden_dynamic_lds_size
    .group_segment_fixed_size: 0
    .kernarg_segment_align: 8
    .kernarg_segment_size: 320
    .language:       OpenCL C
    .language_version:
      - 2
      - 0
    .max_flat_workgroup_size: 1024
    .name:           _ZN12tensorrt_llm7kernels32fusedQKNormRopeKernelNTokenHeadsIN3c108BFloat16EfLi256ELb1ELi8EEEvPviiifPKvS6_S6_PKlii
    .private_segment_fixed_size: 0
    .sgpr_count:     23
    .sgpr_spill_count: 0
    .symbol:         _ZN12tensorrt_llm7kernels32fusedQKNormRopeKernelNTokenHeadsIN3c108BFloat16EfLi256ELb1ELi8EEEvPviiifPKvS6_S6_PKlii.kd
    .uniform_work_group_size: 1
    .uses_dynamic_stack: false
    .vgpr_count:     50
    .vgpr_spill_count: 0
    .wavefront_size: 32
    .workgroup_processor_mode: 1
  - .args:
      - .address_space:  global
        .offset:         0
        .size:           8
        .value_kind:     global_buffer
      - .offset:         8
        .size:           4
        .value_kind:     by_value
      - .offset:         12
        .size:           4
        .value_kind:     by_value
      - .offset:         16
        .size:           4
        .value_kind:     by_value
      - .offset:         20
        .size:           4
        .value_kind:     by_value
      - .address_space:  global
        .offset:         24
        .size:           8
        .value_kind:     global_buffer
      - .address_space:  global
        .offset:         32
        .size:           8
        .value_kind:     global_buffer
      - .address_space:  global
        .offset:         40
        .size:           8
        .value_kind:     global_buffer
      - .address_space:  global
        .offset:         48
        .size:           8
        .value_kind:     global_buffer
      - .offset:         56
        .size:           4
        .value_kind:     by_value
      - .offset:         60
        .size:           4
        .value_kind:     by_value
      - .offset:         64
        .size:           4
        .value_kind:     hidden_block_count_x
      - .offset:         68
        .size:           4
        .value_kind:     hidden_block_count_y
      - .offset:         72
        .size:           4
        .value_kind:     hidden_block_count_z
      - .offset:         76
        .size:           2
        .value_kind:     hidden_group_size_x
      - .offset:         78
        .size:           2
        .value_kind:     hidden_group_size_y
      - .offset:         80
        .size:           2
        .value_kind:     hidden_group_size_z
      - .offset:         82
        .size:           2
        .value_kind:     hidden_remainder_x
      - .offset:         84
        .size:           2
        .value_kind:     hidden_remainder_y
      - .offset:         86
        .size:           2
        .value_kind:     hidden_remainder_z
      - .offset:         104
        .size:           8
        .value_kind:     hidden_global_offset_x
      - .offset:         112
        .size:           8
        .value_kind:     hidden_global_offset_y
      - .offset:         120
        .size:           8
        .value_kind:     hidden_global_offset_z
      - .offset:         128
        .size:           2
        .value_kind:     hidden_grid_dims
      - .offset:         184
        .size:           4
        .value_kind:     hidden_dynamic_lds_size
    .group_segment_fixed_size: 0
    .kernarg_segment_align: 8
    .kernarg_segment_size: 320
    .language:       OpenCL C
    .language_version:
      - 2
      - 0
    .max_flat_workgroup_size: 1024
    .name:           _ZN12tensorrt_llm7kernels32fusedQKNormRopeKernelNTokenHeadsIN3c108BFloat16EfLi256ELb0ELi8EEEvPviiifPKvS6_S6_PKlii
    .private_segment_fixed_size: 0
    .sgpr_count:     23
    .sgpr_spill_count: 0
    .symbol:         _ZN12tensorrt_llm7kernels32fusedQKNormRopeKernelNTokenHeadsIN3c108BFloat16EfLi256ELb0ELi8EEEvPviiifPKvS6_S6_PKlii.kd
    .uniform_work_group_size: 1
    .uses_dynamic_stack: false
    .vgpr_count:     76
    .vgpr_spill_count: 0
    .wavefront_size: 32
    .workgroup_processor_mode: 1
  - .args:
      - .address_space:  global
        .offset:         0
        .size:           8
        .value_kind:     global_buffer
      - .offset:         8
        .size:           4
        .value_kind:     by_value
      - .offset:         12
        .size:           4
        .value_kind:     by_value
      - .offset:         16
        .size:           4
        .value_kind:     by_value
      - .offset:         20
        .size:           4
        .value_kind:     by_value
      - .address_space:  global
        .offset:         24
        .size:           8
        .value_kind:     global_buffer
      - .address_space:  global
        .offset:         32
        .size:           8
        .value_kind:     global_buffer
      - .address_space:  global
        .offset:         40
        .size:           8
        .value_kind:     global_buffer
      - .address_space:  global
        .offset:         48
        .size:           8
        .value_kind:     global_buffer
      - .offset:         56
        .size:           4
        .value_kind:     by_value
      - .offset:         60
        .size:           4
        .value_kind:     by_value
      - .offset:         64
        .size:           4
        .value_kind:     hidden_block_count_x
      - .offset:         68
        .size:           4
        .value_kind:     hidden_block_count_y
      - .offset:         72
        .size:           4
        .value_kind:     hidden_block_count_z
      - .offset:         76
        .size:           2
        .value_kind:     hidden_group_size_x
      - .offset:         78
        .size:           2
        .value_kind:     hidden_group_size_y
      - .offset:         80
        .size:           2
        .value_kind:     hidden_group_size_z
      - .offset:         82
        .size:           2
        .value_kind:     hidden_remainder_x
      - .offset:         84
        .size:           2
        .value_kind:     hidden_remainder_y
      - .offset:         86
        .size:           2
        .value_kind:     hidden_remainder_z
      - .offset:         104
        .size:           8
        .value_kind:     hidden_global_offset_x
      - .offset:         112
        .size:           8
        .value_kind:     hidden_global_offset_y
      - .offset:         120
        .size:           8
        .value_kind:     hidden_global_offset_z
      - .offset:         128
        .size:           2
        .value_kind:     hidden_grid_dims
    .group_segment_fixed_size: 0
    .kernarg_segment_align: 8
    .kernarg_segment_size: 320
    .language:       OpenCL C
    .language_version:
      - 2
      - 0
    .max_flat_workgroup_size: 1024
    .name:           _ZN12tensorrt_llm7kernels21fusedQKNormRopeKernelIN3c108BFloat16ENS2_4HalfELi64ELb1EEEvPviiifPKvS7_S7_PKlii
    .private_segment_fixed_size: 0
    .sgpr_count:     18
    .sgpr_spill_count: 0
    .symbol:         _ZN12tensorrt_llm7kernels21fusedQKNormRopeKernelIN3c108BFloat16ENS2_4HalfELi64ELb1EEEvPviiifPKvS7_S7_PKlii.kd
    .uniform_work_group_size: 1
    .uses_dynamic_stack: false
    .vgpr_count:     12
    .vgpr_spill_count: 0
    .wavefront_size: 32
    .workgroup_processor_mode: 1
  - .args:
      - .address_space:  global
        .offset:         0
        .size:           8
        .value_kind:     global_buffer
      - .offset:         8
        .size:           4
        .value_kind:     by_value
      - .offset:         12
        .size:           4
        .value_kind:     by_value
      - .offset:         16
        .size:           4
        .value_kind:     by_value
      - .offset:         20
        .size:           4
        .value_kind:     by_value
      - .address_space:  global
        .offset:         24
        .size:           8
        .value_kind:     global_buffer
      - .address_space:  global
        .offset:         32
        .size:           8
        .value_kind:     global_buffer
      - .address_space:  global
        .offset:         40
        .size:           8
        .value_kind:     global_buffer
      - .address_space:  global
        .offset:         48
        .size:           8
        .value_kind:     global_buffer
      - .offset:         56
        .size:           4
        .value_kind:     by_value
      - .offset:         60
        .size:           4
        .value_kind:     by_value
      - .offset:         64
        .size:           4
        .value_kind:     hidden_block_count_x
      - .offset:         68
        .size:           4
        .value_kind:     hidden_block_count_y
      - .offset:         72
        .size:           4
        .value_kind:     hidden_block_count_z
      - .offset:         76
        .size:           2
        .value_kind:     hidden_group_size_x
      - .offset:         78
        .size:           2
        .value_kind:     hidden_group_size_y
      - .offset:         80
        .size:           2
        .value_kind:     hidden_group_size_z
      - .offset:         82
        .size:           2
        .value_kind:     hidden_remainder_x
      - .offset:         84
        .size:           2
        .value_kind:     hidden_remainder_y
      - .offset:         86
        .size:           2
        .value_kind:     hidden_remainder_z
      - .offset:         104
        .size:           8
        .value_kind:     hidden_global_offset_x
      - .offset:         112
        .size:           8
        .value_kind:     hidden_global_offset_y
      - .offset:         120
        .size:           8
        .value_kind:     hidden_global_offset_z
      - .offset:         128
        .size:           2
        .value_kind:     hidden_grid_dims
    .group_segment_fixed_size: 0
    .kernarg_segment_align: 8
    .kernarg_segment_size: 320
    .language:       OpenCL C
    .language_version:
      - 2
      - 0
    .max_flat_workgroup_size: 1024
    .name:           _ZN12tensorrt_llm7kernels21fusedQKNormRopeKernelIN3c108BFloat16ENS2_4HalfELi64ELb0EEEvPviiifPKvS7_S7_PKlii
    .private_segment_fixed_size: 0
    .sgpr_count:     18
    .sgpr_spill_count: 0
    .symbol:         _ZN12tensorrt_llm7kernels21fusedQKNormRopeKernelIN3c108BFloat16ENS2_4HalfELi64ELb0EEEvPviiifPKvS7_S7_PKlii.kd
    .uniform_work_group_size: 1
    .uses_dynamic_stack: false
    .vgpr_count:     16
    .vgpr_spill_count: 0
    .wavefront_size: 32
    .workgroup_processor_mode: 1
  - .args:
      - .address_space:  global
        .offset:         0
        .size:           8
        .value_kind:     global_buffer
      - .offset:         8
        .size:           4
        .value_kind:     by_value
      - .offset:         12
        .size:           4
        .value_kind:     by_value
      - .offset:         16
        .size:           4
        .value_kind:     by_value
      - .offset:         20
        .size:           4
        .value_kind:     by_value
      - .address_space:  global
        .offset:         24
        .size:           8
        .value_kind:     global_buffer
      - .address_space:  global
        .offset:         32
        .size:           8
        .value_kind:     global_buffer
      - .address_space:  global
        .offset:         40
        .size:           8
        .value_kind:     global_buffer
      - .address_space:  global
        .offset:         48
        .size:           8
        .value_kind:     global_buffer
      - .offset:         56
        .size:           4
        .value_kind:     by_value
      - .offset:         60
        .size:           4
        .value_kind:     by_value
      - .offset:         64
        .size:           4
        .value_kind:     hidden_block_count_x
      - .offset:         68
        .size:           4
        .value_kind:     hidden_block_count_y
      - .offset:         72
        .size:           4
        .value_kind:     hidden_block_count_z
      - .offset:         76
        .size:           2
        .value_kind:     hidden_group_size_x
      - .offset:         78
        .size:           2
        .value_kind:     hidden_group_size_y
      - .offset:         80
        .size:           2
        .value_kind:     hidden_group_size_z
      - .offset:         82
        .size:           2
        .value_kind:     hidden_remainder_x
      - .offset:         84
        .size:           2
        .value_kind:     hidden_remainder_y
      - .offset:         86
        .size:           2
        .value_kind:     hidden_remainder_z
      - .offset:         104
        .size:           8
        .value_kind:     hidden_global_offset_x
      - .offset:         112
        .size:           8
        .value_kind:     hidden_global_offset_y
      - .offset:         120
        .size:           8
        .value_kind:     hidden_global_offset_z
      - .offset:         128
        .size:           2
        .value_kind:     hidden_grid_dims
    .group_segment_fixed_size: 0
    .kernarg_segment_align: 8
    .kernarg_segment_size: 320
    .language:       OpenCL C
    .language_version:
      - 2
      - 0
    .max_flat_workgroup_size: 1024
    .name:           _ZN12tensorrt_llm7kernels21fusedQKNormRopeKernelIN3c108BFloat16ENS2_4HalfELi128ELb1EEEvPviiifPKvS7_S7_PKlii
    .private_segment_fixed_size: 0
    .sgpr_count:     18
    .sgpr_spill_count: 0
    .symbol:         _ZN12tensorrt_llm7kernels21fusedQKNormRopeKernelIN3c108BFloat16ENS2_4HalfELi128ELb1EEEvPviiifPKvS7_S7_PKlii.kd
    .uniform_work_group_size: 1
    .uses_dynamic_stack: false
    .vgpr_count:     15
    .vgpr_spill_count: 0
    .wavefront_size: 32
    .workgroup_processor_mode: 1
  - .args:
      - .address_space:  global
        .offset:         0
        .size:           8
        .value_kind:     global_buffer
      - .offset:         8
        .size:           4
        .value_kind:     by_value
      - .offset:         12
        .size:           4
        .value_kind:     by_value
      - .offset:         16
        .size:           4
        .value_kind:     by_value
      - .offset:         20
        .size:           4
        .value_kind:     by_value
      - .address_space:  global
        .offset:         24
        .size:           8
        .value_kind:     global_buffer
      - .address_space:  global
        .offset:         32
        .size:           8
        .value_kind:     global_buffer
      - .address_space:  global
        .offset:         40
        .size:           8
        .value_kind:     global_buffer
      - .address_space:  global
        .offset:         48
        .size:           8
        .value_kind:     global_buffer
      - .offset:         56
        .size:           4
        .value_kind:     by_value
      - .offset:         60
        .size:           4
        .value_kind:     by_value
      - .offset:         64
        .size:           4
        .value_kind:     hidden_block_count_x
      - .offset:         68
        .size:           4
        .value_kind:     hidden_block_count_y
      - .offset:         72
        .size:           4
        .value_kind:     hidden_block_count_z
      - .offset:         76
        .size:           2
        .value_kind:     hidden_group_size_x
      - .offset:         78
        .size:           2
        .value_kind:     hidden_group_size_y
      - .offset:         80
        .size:           2
        .value_kind:     hidden_group_size_z
      - .offset:         82
        .size:           2
        .value_kind:     hidden_remainder_x
      - .offset:         84
        .size:           2
        .value_kind:     hidden_remainder_y
      - .offset:         86
        .size:           2
        .value_kind:     hidden_remainder_z
      - .offset:         104
        .size:           8
        .value_kind:     hidden_global_offset_x
      - .offset:         112
        .size:           8
        .value_kind:     hidden_global_offset_y
      - .offset:         120
        .size:           8
        .value_kind:     hidden_global_offset_z
      - .offset:         128
        .size:           2
        .value_kind:     hidden_grid_dims
    .group_segment_fixed_size: 0
    .kernarg_segment_align: 8
    .kernarg_segment_size: 320
    .language:       OpenCL C
    .language_version:
      - 2
      - 0
    .max_flat_workgroup_size: 1024
    .name:           _ZN12tensorrt_llm7kernels21fusedQKNormRopeKernelIN3c108BFloat16ENS2_4HalfELi128ELb0EEEvPviiifPKvS7_S7_PKlii
    .private_segment_fixed_size: 0
    .sgpr_count:     18
    .sgpr_spill_count: 0
    .symbol:         _ZN12tensorrt_llm7kernels21fusedQKNormRopeKernelIN3c108BFloat16ENS2_4HalfELi128ELb0EEEvPviiifPKvS7_S7_PKlii.kd
    .uniform_work_group_size: 1
    .uses_dynamic_stack: false
    .vgpr_count:     26
    .vgpr_spill_count: 0
    .wavefront_size: 32
    .workgroup_processor_mode: 1
  - .args:
      - .address_space:  global
        .offset:         0
        .size:           8
        .value_kind:     global_buffer
      - .offset:         8
        .size:           4
        .value_kind:     by_value
      - .offset:         12
        .size:           4
        .value_kind:     by_value
      - .offset:         16
        .size:           4
        .value_kind:     by_value
      - .offset:         20
        .size:           4
        .value_kind:     by_value
      - .address_space:  global
        .offset:         24
        .size:           8
        .value_kind:     global_buffer
      - .address_space:  global
        .offset:         32
        .size:           8
        .value_kind:     global_buffer
      - .address_space:  global
        .offset:         40
        .size:           8
        .value_kind:     global_buffer
      - .address_space:  global
        .offset:         48
        .size:           8
        .value_kind:     global_buffer
      - .offset:         56
        .size:           4
        .value_kind:     by_value
      - .offset:         60
        .size:           4
        .value_kind:     by_value
      - .offset:         64
        .size:           4
        .value_kind:     hidden_block_count_x
      - .offset:         68
        .size:           4
        .value_kind:     hidden_block_count_y
      - .offset:         72
        .size:           4
        .value_kind:     hidden_block_count_z
      - .offset:         76
        .size:           2
        .value_kind:     hidden_group_size_x
      - .offset:         78
        .size:           2
        .value_kind:     hidden_group_size_y
      - .offset:         80
        .size:           2
        .value_kind:     hidden_group_size_z
      - .offset:         82
        .size:           2
        .value_kind:     hidden_remainder_x
      - .offset:         84
        .size:           2
        .value_kind:     hidden_remainder_y
      - .offset:         86
        .size:           2
        .value_kind:     hidden_remainder_z
      - .offset:         104
        .size:           8
        .value_kind:     hidden_global_offset_x
      - .offset:         112
        .size:           8
        .value_kind:     hidden_global_offset_y
      - .offset:         120
        .size:           8
        .value_kind:     hidden_global_offset_z
      - .offset:         128
        .size:           2
        .value_kind:     hidden_grid_dims
    .group_segment_fixed_size: 0
    .kernarg_segment_align: 8
    .kernarg_segment_size: 320
    .language:       OpenCL C
    .language_version:
      - 2
      - 0
    .max_flat_workgroup_size: 1024
    .name:           _ZN12tensorrt_llm7kernels21fusedQKNormRopeKernelIN3c108BFloat16ENS2_4HalfELi256ELb1EEEvPviiifPKvS7_S7_PKlii
    .private_segment_fixed_size: 0
    .sgpr_count:     18
    .sgpr_spill_count: 0
    .symbol:         _ZN12tensorrt_llm7kernels21fusedQKNormRopeKernelIN3c108BFloat16ENS2_4HalfELi256ELb1EEEvPviiifPKvS7_S7_PKlii.kd
    .uniform_work_group_size: 1
    .uses_dynamic_stack: false
    .vgpr_count:     25
    .vgpr_spill_count: 0
    .wavefront_size: 32
    .workgroup_processor_mode: 1
  - .args:
      - .address_space:  global
        .offset:         0
        .size:           8
        .value_kind:     global_buffer
      - .offset:         8
        .size:           4
        .value_kind:     by_value
      - .offset:         12
        .size:           4
        .value_kind:     by_value
      - .offset:         16
        .size:           4
        .value_kind:     by_value
      - .offset:         20
        .size:           4
        .value_kind:     by_value
      - .address_space:  global
        .offset:         24
        .size:           8
        .value_kind:     global_buffer
      - .address_space:  global
        .offset:         32
        .size:           8
        .value_kind:     global_buffer
      - .address_space:  global
        .offset:         40
        .size:           8
        .value_kind:     global_buffer
      - .address_space:  global
        .offset:         48
        .size:           8
        .value_kind:     global_buffer
      - .offset:         56
        .size:           4
        .value_kind:     by_value
      - .offset:         60
        .size:           4
        .value_kind:     by_value
      - .offset:         64
        .size:           4
        .value_kind:     hidden_block_count_x
      - .offset:         68
        .size:           4
        .value_kind:     hidden_block_count_y
      - .offset:         72
        .size:           4
        .value_kind:     hidden_block_count_z
      - .offset:         76
        .size:           2
        .value_kind:     hidden_group_size_x
      - .offset:         78
        .size:           2
        .value_kind:     hidden_group_size_y
      - .offset:         80
        .size:           2
        .value_kind:     hidden_group_size_z
      - .offset:         82
        .size:           2
        .value_kind:     hidden_remainder_x
      - .offset:         84
        .size:           2
        .value_kind:     hidden_remainder_y
      - .offset:         86
        .size:           2
        .value_kind:     hidden_remainder_z
      - .offset:         104
        .size:           8
        .value_kind:     hidden_global_offset_x
      - .offset:         112
        .size:           8
        .value_kind:     hidden_global_offset_y
      - .offset:         120
        .size:           8
        .value_kind:     hidden_global_offset_z
      - .offset:         128
        .size:           2
        .value_kind:     hidden_grid_dims
    .group_segment_fixed_size: 0
    .kernarg_segment_align: 8
    .kernarg_segment_size: 320
    .language:       OpenCL C
    .language_version:
      - 2
      - 0
    .max_flat_workgroup_size: 1024
    .name:           _ZN12tensorrt_llm7kernels21fusedQKNormRopeKernelIN3c108BFloat16ENS2_4HalfELi256ELb0EEEvPviiifPKvS7_S7_PKlii
    .private_segment_fixed_size: 0
    .sgpr_count:     18
    .sgpr_spill_count: 0
    .symbol:         _ZN12tensorrt_llm7kernels21fusedQKNormRopeKernelIN3c108BFloat16ENS2_4HalfELi256ELb0EEEvPviiifPKvS7_S7_PKlii.kd
    .uniform_work_group_size: 1
    .uses_dynamic_stack: false
    .vgpr_count:     44
    .vgpr_spill_count: 0
    .wavefront_size: 32
    .workgroup_processor_mode: 1
  - .args:
      - .address_space:  global
        .offset:         0
        .size:           8
        .value_kind:     global_buffer
      - .offset:         8
        .size:           4
        .value_kind:     by_value
      - .offset:         12
        .size:           4
        .value_kind:     by_value
      - .offset:         16
        .size:           4
        .value_kind:     by_value
      - .offset:         20
        .size:           4
        .value_kind:     by_value
      - .address_space:  global
        .offset:         24
        .size:           8
        .value_kind:     global_buffer
      - .address_space:  global
        .offset:         32
        .size:           8
        .value_kind:     global_buffer
      - .address_space:  global
        .offset:         40
        .size:           8
        .value_kind:     global_buffer
      - .address_space:  global
        .offset:         48
        .size:           8
        .value_kind:     global_buffer
      - .offset:         56
        .size:           4
        .value_kind:     by_value
      - .offset:         60
        .size:           4
        .value_kind:     by_value
      - .offset:         64
        .size:           4
        .value_kind:     hidden_block_count_x
      - .offset:         68
        .size:           4
        .value_kind:     hidden_block_count_y
      - .offset:         72
        .size:           4
        .value_kind:     hidden_block_count_z
      - .offset:         76
        .size:           2
        .value_kind:     hidden_group_size_x
      - .offset:         78
        .size:           2
        .value_kind:     hidden_group_size_y
      - .offset:         80
        .size:           2
        .value_kind:     hidden_group_size_z
      - .offset:         82
        .size:           2
        .value_kind:     hidden_remainder_x
      - .offset:         84
        .size:           2
        .value_kind:     hidden_remainder_y
      - .offset:         86
        .size:           2
        .value_kind:     hidden_remainder_z
      - .offset:         104
        .size:           8
        .value_kind:     hidden_global_offset_x
      - .offset:         112
        .size:           8
        .value_kind:     hidden_global_offset_y
      - .offset:         120
        .size:           8
        .value_kind:     hidden_global_offset_z
      - .offset:         128
        .size:           2
        .value_kind:     hidden_grid_dims
      - .offset:         184
        .size:           4
        .value_kind:     hidden_dynamic_lds_size
    .group_segment_fixed_size: 0
    .kernarg_segment_align: 8
    .kernarg_segment_size: 320
    .language:       OpenCL C
    .language_version:
      - 2
      - 0
    .max_flat_workgroup_size: 1024
    .name:           _ZN12tensorrt_llm7kernels32fusedQKNormRopeKernelNTokenHeadsIN3c108BFloat16ENS2_4HalfELi64ELb1ELi2EEEvPviiifPKvS7_S7_PKlii
    .private_segment_fixed_size: 0
    .sgpr_count:     23
    .sgpr_spill_count: 0
    .symbol:         _ZN12tensorrt_llm7kernels32fusedQKNormRopeKernelNTokenHeadsIN3c108BFloat16ENS2_4HalfELi64ELb1ELi2EEEvPviiifPKvS7_S7_PKlii.kd
    .uniform_work_group_size: 1
    .uses_dynamic_stack: false
    .vgpr_count:     21
    .vgpr_spill_count: 0
    .wavefront_size: 32
    .workgroup_processor_mode: 1
  - .args:
      - .address_space:  global
        .offset:         0
        .size:           8
        .value_kind:     global_buffer
      - .offset:         8
        .size:           4
        .value_kind:     by_value
      - .offset:         12
        .size:           4
        .value_kind:     by_value
      - .offset:         16
        .size:           4
        .value_kind:     by_value
      - .offset:         20
        .size:           4
        .value_kind:     by_value
      - .address_space:  global
        .offset:         24
        .size:           8
        .value_kind:     global_buffer
      - .address_space:  global
        .offset:         32
        .size:           8
        .value_kind:     global_buffer
      - .address_space:  global
        .offset:         40
        .size:           8
        .value_kind:     global_buffer
      - .address_space:  global
        .offset:         48
        .size:           8
        .value_kind:     global_buffer
      - .offset:         56
        .size:           4
        .value_kind:     by_value
      - .offset:         60
        .size:           4
        .value_kind:     by_value
      - .offset:         64
        .size:           4
        .value_kind:     hidden_block_count_x
      - .offset:         68
        .size:           4
        .value_kind:     hidden_block_count_y
      - .offset:         72
        .size:           4
        .value_kind:     hidden_block_count_z
      - .offset:         76
        .size:           2
        .value_kind:     hidden_group_size_x
      - .offset:         78
        .size:           2
        .value_kind:     hidden_group_size_y
      - .offset:         80
        .size:           2
        .value_kind:     hidden_group_size_z
      - .offset:         82
        .size:           2
        .value_kind:     hidden_remainder_x
      - .offset:         84
        .size:           2
        .value_kind:     hidden_remainder_y
      - .offset:         86
        .size:           2
        .value_kind:     hidden_remainder_z
      - .offset:         104
        .size:           8
        .value_kind:     hidden_global_offset_x
      - .offset:         112
        .size:           8
        .value_kind:     hidden_global_offset_y
      - .offset:         120
        .size:           8
        .value_kind:     hidden_global_offset_z
      - .offset:         128
        .size:           2
        .value_kind:     hidden_grid_dims
      - .offset:         184
        .size:           4
        .value_kind:     hidden_dynamic_lds_size
    .group_segment_fixed_size: 0
    .kernarg_segment_align: 8
    .kernarg_segment_size: 320
    .language:       OpenCL C
    .language_version:
      - 2
      - 0
    .max_flat_workgroup_size: 1024
    .name:           _ZN12tensorrt_llm7kernels32fusedQKNormRopeKernelNTokenHeadsIN3c108BFloat16ENS2_4HalfELi64ELb0ELi2EEEvPviiifPKvS7_S7_PKlii
    .private_segment_fixed_size: 0
    .sgpr_count:     23
    .sgpr_spill_count: 0
    .symbol:         _ZN12tensorrt_llm7kernels32fusedQKNormRopeKernelNTokenHeadsIN3c108BFloat16ENS2_4HalfELi64ELb0ELi2EEEvPviiifPKvS7_S7_PKlii.kd
    .uniform_work_group_size: 1
    .uses_dynamic_stack: false
    .vgpr_count:     26
    .vgpr_spill_count: 0
    .wavefront_size: 32
    .workgroup_processor_mode: 1
  - .args:
      - .address_space:  global
        .offset:         0
        .size:           8
        .value_kind:     global_buffer
      - .offset:         8
        .size:           4
        .value_kind:     by_value
      - .offset:         12
        .size:           4
        .value_kind:     by_value
      - .offset:         16
        .size:           4
        .value_kind:     by_value
      - .offset:         20
        .size:           4
        .value_kind:     by_value
      - .address_space:  global
        .offset:         24
        .size:           8
        .value_kind:     global_buffer
      - .address_space:  global
        .offset:         32
        .size:           8
        .value_kind:     global_buffer
      - .address_space:  global
        .offset:         40
        .size:           8
        .value_kind:     global_buffer
      - .address_space:  global
        .offset:         48
        .size:           8
        .value_kind:     global_buffer
      - .offset:         56
        .size:           4
        .value_kind:     by_value
      - .offset:         60
        .size:           4
        .value_kind:     by_value
      - .offset:         64
        .size:           4
        .value_kind:     hidden_block_count_x
      - .offset:         68
        .size:           4
        .value_kind:     hidden_block_count_y
      - .offset:         72
        .size:           4
        .value_kind:     hidden_block_count_z
      - .offset:         76
        .size:           2
        .value_kind:     hidden_group_size_x
      - .offset:         78
        .size:           2
        .value_kind:     hidden_group_size_y
      - .offset:         80
        .size:           2
        .value_kind:     hidden_group_size_z
      - .offset:         82
        .size:           2
        .value_kind:     hidden_remainder_x
      - .offset:         84
        .size:           2
        .value_kind:     hidden_remainder_y
      - .offset:         86
        .size:           2
        .value_kind:     hidden_remainder_z
      - .offset:         104
        .size:           8
        .value_kind:     hidden_global_offset_x
      - .offset:         112
        .size:           8
        .value_kind:     hidden_global_offset_y
      - .offset:         120
        .size:           8
        .value_kind:     hidden_global_offset_z
      - .offset:         128
        .size:           2
        .value_kind:     hidden_grid_dims
      - .offset:         184
        .size:           4
        .value_kind:     hidden_dynamic_lds_size
    .group_segment_fixed_size: 0
    .kernarg_segment_align: 8
    .kernarg_segment_size: 320
    .language:       OpenCL C
    .language_version:
      - 2
      - 0
    .max_flat_workgroup_size: 1024
    .name:           _ZN12tensorrt_llm7kernels32fusedQKNormRopeKernelNTokenHeadsIN3c108BFloat16ENS2_4HalfELi128ELb1ELi2EEEvPviiifPKvS7_S7_PKlii
    .private_segment_fixed_size: 0
    .sgpr_count:     23
    .sgpr_spill_count: 0
    .symbol:         _ZN12tensorrt_llm7kernels32fusedQKNormRopeKernelNTokenHeadsIN3c108BFloat16ENS2_4HalfELi128ELb1ELi2EEEvPviiifPKvS7_S7_PKlii.kd
    .uniform_work_group_size: 1
    .uses_dynamic_stack: false
    .vgpr_count:     31
    .vgpr_spill_count: 0
    .wavefront_size: 32
    .workgroup_processor_mode: 1
  - .args:
      - .address_space:  global
        .offset:         0
        .size:           8
        .value_kind:     global_buffer
      - .offset:         8
        .size:           4
        .value_kind:     by_value
      - .offset:         12
        .size:           4
        .value_kind:     by_value
      - .offset:         16
        .size:           4
        .value_kind:     by_value
      - .offset:         20
        .size:           4
        .value_kind:     by_value
      - .address_space:  global
        .offset:         24
        .size:           8
        .value_kind:     global_buffer
      - .address_space:  global
        .offset:         32
        .size:           8
        .value_kind:     global_buffer
      - .address_space:  global
        .offset:         40
        .size:           8
        .value_kind:     global_buffer
      - .address_space:  global
        .offset:         48
        .size:           8
        .value_kind:     global_buffer
      - .offset:         56
        .size:           4
        .value_kind:     by_value
      - .offset:         60
        .size:           4
        .value_kind:     by_value
      - .offset:         64
        .size:           4
        .value_kind:     hidden_block_count_x
      - .offset:         68
        .size:           4
        .value_kind:     hidden_block_count_y
      - .offset:         72
        .size:           4
        .value_kind:     hidden_block_count_z
      - .offset:         76
        .size:           2
        .value_kind:     hidden_group_size_x
      - .offset:         78
        .size:           2
        .value_kind:     hidden_group_size_y
      - .offset:         80
        .size:           2
        .value_kind:     hidden_group_size_z
      - .offset:         82
        .size:           2
        .value_kind:     hidden_remainder_x
      - .offset:         84
        .size:           2
        .value_kind:     hidden_remainder_y
      - .offset:         86
        .size:           2
        .value_kind:     hidden_remainder_z
      - .offset:         104
        .size:           8
        .value_kind:     hidden_global_offset_x
      - .offset:         112
        .size:           8
        .value_kind:     hidden_global_offset_y
      - .offset:         120
        .size:           8
        .value_kind:     hidden_global_offset_z
      - .offset:         128
        .size:           2
        .value_kind:     hidden_grid_dims
      - .offset:         184
        .size:           4
        .value_kind:     hidden_dynamic_lds_size
    .group_segment_fixed_size: 0
    .kernarg_segment_align: 8
    .kernarg_segment_size: 320
    .language:       OpenCL C
    .language_version:
      - 2
      - 0
    .max_flat_workgroup_size: 1024
    .name:           _ZN12tensorrt_llm7kernels32fusedQKNormRopeKernelNTokenHeadsIN3c108BFloat16ENS2_4HalfELi128ELb0ELi2EEEvPviiifPKvS7_S7_PKlii
    .private_segment_fixed_size: 0
    .sgpr_count:     23
    .sgpr_spill_count: 0
    .symbol:         _ZN12tensorrt_llm7kernels32fusedQKNormRopeKernelNTokenHeadsIN3c108BFloat16ENS2_4HalfELi128ELb0ELi2EEEvPviiifPKvS7_S7_PKlii.kd
    .uniform_work_group_size: 1
    .uses_dynamic_stack: false
    .vgpr_count:     42
    .vgpr_spill_count: 0
    .wavefront_size: 32
    .workgroup_processor_mode: 1
  - .args:
      - .address_space:  global
        .offset:         0
        .size:           8
        .value_kind:     global_buffer
      - .offset:         8
        .size:           4
        .value_kind:     by_value
      - .offset:         12
        .size:           4
        .value_kind:     by_value
      - .offset:         16
        .size:           4
        .value_kind:     by_value
      - .offset:         20
        .size:           4
        .value_kind:     by_value
      - .address_space:  global
        .offset:         24
        .size:           8
        .value_kind:     global_buffer
      - .address_space:  global
        .offset:         32
        .size:           8
        .value_kind:     global_buffer
      - .address_space:  global
        .offset:         40
        .size:           8
        .value_kind:     global_buffer
      - .address_space:  global
        .offset:         48
        .size:           8
        .value_kind:     global_buffer
      - .offset:         56
        .size:           4
        .value_kind:     by_value
      - .offset:         60
        .size:           4
        .value_kind:     by_value
      - .offset:         64
        .size:           4
        .value_kind:     hidden_block_count_x
      - .offset:         68
        .size:           4
        .value_kind:     hidden_block_count_y
      - .offset:         72
        .size:           4
        .value_kind:     hidden_block_count_z
      - .offset:         76
        .size:           2
        .value_kind:     hidden_group_size_x
      - .offset:         78
        .size:           2
        .value_kind:     hidden_group_size_y
      - .offset:         80
        .size:           2
        .value_kind:     hidden_group_size_z
      - .offset:         82
        .size:           2
        .value_kind:     hidden_remainder_x
      - .offset:         84
        .size:           2
        .value_kind:     hidden_remainder_y
      - .offset:         86
        .size:           2
        .value_kind:     hidden_remainder_z
      - .offset:         104
        .size:           8
        .value_kind:     hidden_global_offset_x
      - .offset:         112
        .size:           8
        .value_kind:     hidden_global_offset_y
      - .offset:         120
        .size:           8
        .value_kind:     hidden_global_offset_z
      - .offset:         128
        .size:           2
        .value_kind:     hidden_grid_dims
      - .offset:         184
        .size:           4
        .value_kind:     hidden_dynamic_lds_size
    .group_segment_fixed_size: 0
    .kernarg_segment_align: 8
    .kernarg_segment_size: 320
    .language:       OpenCL C
    .language_version:
      - 2
      - 0
    .max_flat_workgroup_size: 1024
    .name:           _ZN12tensorrt_llm7kernels32fusedQKNormRopeKernelNTokenHeadsIN3c108BFloat16ENS2_4HalfELi256ELb1ELi2EEEvPviiifPKvS7_S7_PKlii
    .private_segment_fixed_size: 0
    .sgpr_count:     23
    .sgpr_spill_count: 0
    .symbol:         _ZN12tensorrt_llm7kernels32fusedQKNormRopeKernelNTokenHeadsIN3c108BFloat16ENS2_4HalfELi256ELb1ELi2EEEvPviiifPKvS7_S7_PKlii.kd
    .uniform_work_group_size: 1
    .uses_dynamic_stack: false
    .vgpr_count:     46
    .vgpr_spill_count: 0
    .wavefront_size: 32
    .workgroup_processor_mode: 1
  - .args:
      - .address_space:  global
        .offset:         0
        .size:           8
        .value_kind:     global_buffer
      - .offset:         8
        .size:           4
        .value_kind:     by_value
      - .offset:         12
        .size:           4
        .value_kind:     by_value
      - .offset:         16
        .size:           4
        .value_kind:     by_value
      - .offset:         20
        .size:           4
        .value_kind:     by_value
      - .address_space:  global
        .offset:         24
        .size:           8
        .value_kind:     global_buffer
      - .address_space:  global
        .offset:         32
        .size:           8
        .value_kind:     global_buffer
      - .address_space:  global
        .offset:         40
        .size:           8
        .value_kind:     global_buffer
      - .address_space:  global
        .offset:         48
        .size:           8
        .value_kind:     global_buffer
      - .offset:         56
        .size:           4
        .value_kind:     by_value
      - .offset:         60
        .size:           4
        .value_kind:     by_value
      - .offset:         64
        .size:           4
        .value_kind:     hidden_block_count_x
      - .offset:         68
        .size:           4
        .value_kind:     hidden_block_count_y
      - .offset:         72
        .size:           4
        .value_kind:     hidden_block_count_z
      - .offset:         76
        .size:           2
        .value_kind:     hidden_group_size_x
      - .offset:         78
        .size:           2
        .value_kind:     hidden_group_size_y
      - .offset:         80
        .size:           2
        .value_kind:     hidden_group_size_z
      - .offset:         82
        .size:           2
        .value_kind:     hidden_remainder_x
      - .offset:         84
        .size:           2
        .value_kind:     hidden_remainder_y
      - .offset:         86
        .size:           2
        .value_kind:     hidden_remainder_z
      - .offset:         104
        .size:           8
        .value_kind:     hidden_global_offset_x
      - .offset:         112
        .size:           8
        .value_kind:     hidden_global_offset_y
      - .offset:         120
        .size:           8
        .value_kind:     hidden_global_offset_z
      - .offset:         128
        .size:           2
        .value_kind:     hidden_grid_dims
      - .offset:         184
        .size:           4
        .value_kind:     hidden_dynamic_lds_size
    .group_segment_fixed_size: 0
    .kernarg_segment_align: 8
    .kernarg_segment_size: 320
    .language:       OpenCL C
    .language_version:
      - 2
      - 0
    .max_flat_workgroup_size: 1024
    .name:           _ZN12tensorrt_llm7kernels32fusedQKNormRopeKernelNTokenHeadsIN3c108BFloat16ENS2_4HalfELi256ELb0ELi2EEEvPviiifPKvS7_S7_PKlii
    .private_segment_fixed_size: 0
    .sgpr_count:     23
    .sgpr_spill_count: 0
    .symbol:         _ZN12tensorrt_llm7kernels32fusedQKNormRopeKernelNTokenHeadsIN3c108BFloat16ENS2_4HalfELi256ELb0ELi2EEEvPviiifPKvS7_S7_PKlii.kd
    .uniform_work_group_size: 1
    .uses_dynamic_stack: false
    .vgpr_count:     72
    .vgpr_spill_count: 0
    .wavefront_size: 32
    .workgroup_processor_mode: 1
  - .args:
      - .address_space:  global
        .offset:         0
        .size:           8
        .value_kind:     global_buffer
      - .offset:         8
        .size:           4
        .value_kind:     by_value
      - .offset:         12
        .size:           4
        .value_kind:     by_value
      - .offset:         16
        .size:           4
        .value_kind:     by_value
      - .offset:         20
        .size:           4
        .value_kind:     by_value
      - .address_space:  global
        .offset:         24
        .size:           8
        .value_kind:     global_buffer
      - .address_space:  global
        .offset:         32
        .size:           8
        .value_kind:     global_buffer
      - .address_space:  global
        .offset:         40
        .size:           8
        .value_kind:     global_buffer
      - .address_space:  global
        .offset:         48
        .size:           8
        .value_kind:     global_buffer
      - .offset:         56
        .size:           4
        .value_kind:     by_value
      - .offset:         60
        .size:           4
        .value_kind:     by_value
      - .offset:         64
        .size:           4
        .value_kind:     hidden_block_count_x
      - .offset:         68
        .size:           4
        .value_kind:     hidden_block_count_y
      - .offset:         72
        .size:           4
        .value_kind:     hidden_block_count_z
      - .offset:         76
        .size:           2
        .value_kind:     hidden_group_size_x
      - .offset:         78
        .size:           2
        .value_kind:     hidden_group_size_y
      - .offset:         80
        .size:           2
        .value_kind:     hidden_group_size_z
      - .offset:         82
        .size:           2
        .value_kind:     hidden_remainder_x
      - .offset:         84
        .size:           2
        .value_kind:     hidden_remainder_y
      - .offset:         86
        .size:           2
        .value_kind:     hidden_remainder_z
      - .offset:         104
        .size:           8
        .value_kind:     hidden_global_offset_x
      - .offset:         112
        .size:           8
        .value_kind:     hidden_global_offset_y
      - .offset:         120
        .size:           8
        .value_kind:     hidden_global_offset_z
      - .offset:         128
        .size:           2
        .value_kind:     hidden_grid_dims
      - .offset:         184
        .size:           4
        .value_kind:     hidden_dynamic_lds_size
    .group_segment_fixed_size: 0
    .kernarg_segment_align: 8
    .kernarg_segment_size: 320
    .language:       OpenCL C
    .language_version:
      - 2
      - 0
    .max_flat_workgroup_size: 1024
    .name:           _ZN12tensorrt_llm7kernels32fusedQKNormRopeKernelNTokenHeadsIN3c108BFloat16ENS2_4HalfELi64ELb1ELi4EEEvPviiifPKvS7_S7_PKlii
    .private_segment_fixed_size: 0
    .sgpr_count:     23
    .sgpr_spill_count: 0
    .symbol:         _ZN12tensorrt_llm7kernels32fusedQKNormRopeKernelNTokenHeadsIN3c108BFloat16ENS2_4HalfELi64ELb1ELi4EEEvPviiifPKvS7_S7_PKlii.kd
    .uniform_work_group_size: 1
    .uses_dynamic_stack: false
    .vgpr_count:     21
    .vgpr_spill_count: 0
    .wavefront_size: 32
    .workgroup_processor_mode: 1
  - .args:
      - .address_space:  global
        .offset:         0
        .size:           8
        .value_kind:     global_buffer
      - .offset:         8
        .size:           4
        .value_kind:     by_value
      - .offset:         12
        .size:           4
        .value_kind:     by_value
      - .offset:         16
        .size:           4
        .value_kind:     by_value
      - .offset:         20
        .size:           4
        .value_kind:     by_value
      - .address_space:  global
        .offset:         24
        .size:           8
        .value_kind:     global_buffer
      - .address_space:  global
        .offset:         32
        .size:           8
        .value_kind:     global_buffer
      - .address_space:  global
        .offset:         40
        .size:           8
        .value_kind:     global_buffer
      - .address_space:  global
        .offset:         48
        .size:           8
        .value_kind:     global_buffer
      - .offset:         56
        .size:           4
        .value_kind:     by_value
      - .offset:         60
        .size:           4
        .value_kind:     by_value
      - .offset:         64
        .size:           4
        .value_kind:     hidden_block_count_x
      - .offset:         68
        .size:           4
        .value_kind:     hidden_block_count_y
      - .offset:         72
        .size:           4
        .value_kind:     hidden_block_count_z
      - .offset:         76
        .size:           2
        .value_kind:     hidden_group_size_x
      - .offset:         78
        .size:           2
        .value_kind:     hidden_group_size_y
      - .offset:         80
        .size:           2
        .value_kind:     hidden_group_size_z
      - .offset:         82
        .size:           2
        .value_kind:     hidden_remainder_x
      - .offset:         84
        .size:           2
        .value_kind:     hidden_remainder_y
      - .offset:         86
        .size:           2
        .value_kind:     hidden_remainder_z
      - .offset:         104
        .size:           8
        .value_kind:     hidden_global_offset_x
      - .offset:         112
        .size:           8
        .value_kind:     hidden_global_offset_y
      - .offset:         120
        .size:           8
        .value_kind:     hidden_global_offset_z
      - .offset:         128
        .size:           2
        .value_kind:     hidden_grid_dims
      - .offset:         184
        .size:           4
        .value_kind:     hidden_dynamic_lds_size
    .group_segment_fixed_size: 0
    .kernarg_segment_align: 8
    .kernarg_segment_size: 320
    .language:       OpenCL C
    .language_version:
      - 2
      - 0
    .max_flat_workgroup_size: 1024
    .name:           _ZN12tensorrt_llm7kernels32fusedQKNormRopeKernelNTokenHeadsIN3c108BFloat16ENS2_4HalfELi64ELb0ELi4EEEvPviiifPKvS7_S7_PKlii
    .private_segment_fixed_size: 0
    .sgpr_count:     23
    .sgpr_spill_count: 0
    .symbol:         _ZN12tensorrt_llm7kernels32fusedQKNormRopeKernelNTokenHeadsIN3c108BFloat16ENS2_4HalfELi64ELb0ELi4EEEvPviiifPKvS7_S7_PKlii.kd
    .uniform_work_group_size: 1
    .uses_dynamic_stack: false
    .vgpr_count:     26
    .vgpr_spill_count: 0
    .wavefront_size: 32
    .workgroup_processor_mode: 1
  - .args:
      - .address_space:  global
        .offset:         0
        .size:           8
        .value_kind:     global_buffer
      - .offset:         8
        .size:           4
        .value_kind:     by_value
      - .offset:         12
        .size:           4
        .value_kind:     by_value
      - .offset:         16
        .size:           4
        .value_kind:     by_value
      - .offset:         20
        .size:           4
        .value_kind:     by_value
      - .address_space:  global
        .offset:         24
        .size:           8
        .value_kind:     global_buffer
      - .address_space:  global
        .offset:         32
        .size:           8
        .value_kind:     global_buffer
      - .address_space:  global
        .offset:         40
        .size:           8
        .value_kind:     global_buffer
      - .address_space:  global
        .offset:         48
        .size:           8
        .value_kind:     global_buffer
      - .offset:         56
        .size:           4
        .value_kind:     by_value
      - .offset:         60
        .size:           4
        .value_kind:     by_value
      - .offset:         64
        .size:           4
        .value_kind:     hidden_block_count_x
      - .offset:         68
        .size:           4
        .value_kind:     hidden_block_count_y
      - .offset:         72
        .size:           4
        .value_kind:     hidden_block_count_z
      - .offset:         76
        .size:           2
        .value_kind:     hidden_group_size_x
      - .offset:         78
        .size:           2
        .value_kind:     hidden_group_size_y
      - .offset:         80
        .size:           2
        .value_kind:     hidden_group_size_z
      - .offset:         82
        .size:           2
        .value_kind:     hidden_remainder_x
      - .offset:         84
        .size:           2
        .value_kind:     hidden_remainder_y
      - .offset:         86
        .size:           2
        .value_kind:     hidden_remainder_z
      - .offset:         104
        .size:           8
        .value_kind:     hidden_global_offset_x
      - .offset:         112
        .size:           8
        .value_kind:     hidden_global_offset_y
      - .offset:         120
        .size:           8
        .value_kind:     hidden_global_offset_z
      - .offset:         128
        .size:           2
        .value_kind:     hidden_grid_dims
      - .offset:         184
        .size:           4
        .value_kind:     hidden_dynamic_lds_size
    .group_segment_fixed_size: 0
    .kernarg_segment_align: 8
    .kernarg_segment_size: 320
    .language:       OpenCL C
    .language_version:
      - 2
      - 0
    .max_flat_workgroup_size: 1024
    .name:           _ZN12tensorrt_llm7kernels32fusedQKNormRopeKernelNTokenHeadsIN3c108BFloat16ENS2_4HalfELi128ELb1ELi4EEEvPviiifPKvS7_S7_PKlii
    .private_segment_fixed_size: 0
    .sgpr_count:     23
    .sgpr_spill_count: 0
    .symbol:         _ZN12tensorrt_llm7kernels32fusedQKNormRopeKernelNTokenHeadsIN3c108BFloat16ENS2_4HalfELi128ELb1ELi4EEEvPviiifPKvS7_S7_PKlii.kd
    .uniform_work_group_size: 1
    .uses_dynamic_stack: false
    .vgpr_count:     31
    .vgpr_spill_count: 0
    .wavefront_size: 32
    .workgroup_processor_mode: 1
  - .args:
      - .address_space:  global
        .offset:         0
        .size:           8
        .value_kind:     global_buffer
      - .offset:         8
        .size:           4
        .value_kind:     by_value
      - .offset:         12
        .size:           4
        .value_kind:     by_value
      - .offset:         16
        .size:           4
        .value_kind:     by_value
      - .offset:         20
        .size:           4
        .value_kind:     by_value
      - .address_space:  global
        .offset:         24
        .size:           8
        .value_kind:     global_buffer
      - .address_space:  global
        .offset:         32
        .size:           8
        .value_kind:     global_buffer
      - .address_space:  global
        .offset:         40
        .size:           8
        .value_kind:     global_buffer
      - .address_space:  global
        .offset:         48
        .size:           8
        .value_kind:     global_buffer
      - .offset:         56
        .size:           4
        .value_kind:     by_value
      - .offset:         60
        .size:           4
        .value_kind:     by_value
      - .offset:         64
        .size:           4
        .value_kind:     hidden_block_count_x
      - .offset:         68
        .size:           4
        .value_kind:     hidden_block_count_y
      - .offset:         72
        .size:           4
        .value_kind:     hidden_block_count_z
      - .offset:         76
        .size:           2
        .value_kind:     hidden_group_size_x
      - .offset:         78
        .size:           2
        .value_kind:     hidden_group_size_y
      - .offset:         80
        .size:           2
        .value_kind:     hidden_group_size_z
      - .offset:         82
        .size:           2
        .value_kind:     hidden_remainder_x
      - .offset:         84
        .size:           2
        .value_kind:     hidden_remainder_y
      - .offset:         86
        .size:           2
        .value_kind:     hidden_remainder_z
      - .offset:         104
        .size:           8
        .value_kind:     hidden_global_offset_x
      - .offset:         112
        .size:           8
        .value_kind:     hidden_global_offset_y
      - .offset:         120
        .size:           8
        .value_kind:     hidden_global_offset_z
      - .offset:         128
        .size:           2
        .value_kind:     hidden_grid_dims
      - .offset:         184
        .size:           4
        .value_kind:     hidden_dynamic_lds_size
    .group_segment_fixed_size: 0
    .kernarg_segment_align: 8
    .kernarg_segment_size: 320
    .language:       OpenCL C
    .language_version:
      - 2
      - 0
    .max_flat_workgroup_size: 1024
    .name:           _ZN12tensorrt_llm7kernels32fusedQKNormRopeKernelNTokenHeadsIN3c108BFloat16ENS2_4HalfELi128ELb0ELi4EEEvPviiifPKvS7_S7_PKlii
    .private_segment_fixed_size: 0
    .sgpr_count:     23
    .sgpr_spill_count: 0
    .symbol:         _ZN12tensorrt_llm7kernels32fusedQKNormRopeKernelNTokenHeadsIN3c108BFloat16ENS2_4HalfELi128ELb0ELi4EEEvPviiifPKvS7_S7_PKlii.kd
    .uniform_work_group_size: 1
    .uses_dynamic_stack: false
    .vgpr_count:     42
    .vgpr_spill_count: 0
    .wavefront_size: 32
    .workgroup_processor_mode: 1
  - .args:
      - .address_space:  global
        .offset:         0
        .size:           8
        .value_kind:     global_buffer
      - .offset:         8
        .size:           4
        .value_kind:     by_value
      - .offset:         12
        .size:           4
        .value_kind:     by_value
      - .offset:         16
        .size:           4
        .value_kind:     by_value
      - .offset:         20
        .size:           4
        .value_kind:     by_value
      - .address_space:  global
        .offset:         24
        .size:           8
        .value_kind:     global_buffer
      - .address_space:  global
        .offset:         32
        .size:           8
        .value_kind:     global_buffer
      - .address_space:  global
        .offset:         40
        .size:           8
        .value_kind:     global_buffer
      - .address_space:  global
        .offset:         48
        .size:           8
        .value_kind:     global_buffer
      - .offset:         56
        .size:           4
        .value_kind:     by_value
      - .offset:         60
        .size:           4
        .value_kind:     by_value
      - .offset:         64
        .size:           4
        .value_kind:     hidden_block_count_x
      - .offset:         68
        .size:           4
        .value_kind:     hidden_block_count_y
      - .offset:         72
        .size:           4
        .value_kind:     hidden_block_count_z
      - .offset:         76
        .size:           2
        .value_kind:     hidden_group_size_x
      - .offset:         78
        .size:           2
        .value_kind:     hidden_group_size_y
      - .offset:         80
        .size:           2
        .value_kind:     hidden_group_size_z
      - .offset:         82
        .size:           2
        .value_kind:     hidden_remainder_x
      - .offset:         84
        .size:           2
        .value_kind:     hidden_remainder_y
      - .offset:         86
        .size:           2
        .value_kind:     hidden_remainder_z
      - .offset:         104
        .size:           8
        .value_kind:     hidden_global_offset_x
      - .offset:         112
        .size:           8
        .value_kind:     hidden_global_offset_y
      - .offset:         120
        .size:           8
        .value_kind:     hidden_global_offset_z
      - .offset:         128
        .size:           2
        .value_kind:     hidden_grid_dims
      - .offset:         184
        .size:           4
        .value_kind:     hidden_dynamic_lds_size
    .group_segment_fixed_size: 0
    .kernarg_segment_align: 8
    .kernarg_segment_size: 320
    .language:       OpenCL C
    .language_version:
      - 2
      - 0
    .max_flat_workgroup_size: 1024
    .name:           _ZN12tensorrt_llm7kernels32fusedQKNormRopeKernelNTokenHeadsIN3c108BFloat16ENS2_4HalfELi256ELb1ELi4EEEvPviiifPKvS7_S7_PKlii
    .private_segment_fixed_size: 0
    .sgpr_count:     23
    .sgpr_spill_count: 0
    .symbol:         _ZN12tensorrt_llm7kernels32fusedQKNormRopeKernelNTokenHeadsIN3c108BFloat16ENS2_4HalfELi256ELb1ELi4EEEvPviiifPKvS7_S7_PKlii.kd
    .uniform_work_group_size: 1
    .uses_dynamic_stack: false
    .vgpr_count:     46
    .vgpr_spill_count: 0
    .wavefront_size: 32
    .workgroup_processor_mode: 1
  - .args:
      - .address_space:  global
        .offset:         0
        .size:           8
        .value_kind:     global_buffer
      - .offset:         8
        .size:           4
        .value_kind:     by_value
      - .offset:         12
        .size:           4
        .value_kind:     by_value
      - .offset:         16
        .size:           4
        .value_kind:     by_value
      - .offset:         20
        .size:           4
        .value_kind:     by_value
      - .address_space:  global
        .offset:         24
        .size:           8
        .value_kind:     global_buffer
      - .address_space:  global
        .offset:         32
        .size:           8
        .value_kind:     global_buffer
      - .address_space:  global
        .offset:         40
        .size:           8
        .value_kind:     global_buffer
      - .address_space:  global
        .offset:         48
        .size:           8
        .value_kind:     global_buffer
      - .offset:         56
        .size:           4
        .value_kind:     by_value
      - .offset:         60
        .size:           4
        .value_kind:     by_value
      - .offset:         64
        .size:           4
        .value_kind:     hidden_block_count_x
      - .offset:         68
        .size:           4
        .value_kind:     hidden_block_count_y
      - .offset:         72
        .size:           4
        .value_kind:     hidden_block_count_z
      - .offset:         76
        .size:           2
        .value_kind:     hidden_group_size_x
      - .offset:         78
        .size:           2
        .value_kind:     hidden_group_size_y
      - .offset:         80
        .size:           2
        .value_kind:     hidden_group_size_z
      - .offset:         82
        .size:           2
        .value_kind:     hidden_remainder_x
      - .offset:         84
        .size:           2
        .value_kind:     hidden_remainder_y
      - .offset:         86
        .size:           2
        .value_kind:     hidden_remainder_z
      - .offset:         104
        .size:           8
        .value_kind:     hidden_global_offset_x
      - .offset:         112
        .size:           8
        .value_kind:     hidden_global_offset_y
      - .offset:         120
        .size:           8
        .value_kind:     hidden_global_offset_z
      - .offset:         128
        .size:           2
        .value_kind:     hidden_grid_dims
      - .offset:         184
        .size:           4
        .value_kind:     hidden_dynamic_lds_size
    .group_segment_fixed_size: 0
    .kernarg_segment_align: 8
    .kernarg_segment_size: 320
    .language:       OpenCL C
    .language_version:
      - 2
      - 0
    .max_flat_workgroup_size: 1024
    .name:           _ZN12tensorrt_llm7kernels32fusedQKNormRopeKernelNTokenHeadsIN3c108BFloat16ENS2_4HalfELi256ELb0ELi4EEEvPviiifPKvS7_S7_PKlii
    .private_segment_fixed_size: 0
    .sgpr_count:     23
    .sgpr_spill_count: 0
    .symbol:         _ZN12tensorrt_llm7kernels32fusedQKNormRopeKernelNTokenHeadsIN3c108BFloat16ENS2_4HalfELi256ELb0ELi4EEEvPviiifPKvS7_S7_PKlii.kd
    .uniform_work_group_size: 1
    .uses_dynamic_stack: false
    .vgpr_count:     72
    .vgpr_spill_count: 0
    .wavefront_size: 32
    .workgroup_processor_mode: 1
  - .args:
      - .address_space:  global
        .offset:         0
        .size:           8
        .value_kind:     global_buffer
      - .offset:         8
        .size:           4
        .value_kind:     by_value
      - .offset:         12
        .size:           4
        .value_kind:     by_value
      - .offset:         16
        .size:           4
        .value_kind:     by_value
      - .offset:         20
        .size:           4
        .value_kind:     by_value
      - .address_space:  global
        .offset:         24
        .size:           8
        .value_kind:     global_buffer
      - .address_space:  global
        .offset:         32
        .size:           8
        .value_kind:     global_buffer
      - .address_space:  global
        .offset:         40
        .size:           8
        .value_kind:     global_buffer
      - .address_space:  global
        .offset:         48
        .size:           8
        .value_kind:     global_buffer
      - .offset:         56
        .size:           4
        .value_kind:     by_value
      - .offset:         60
        .size:           4
        .value_kind:     by_value
      - .offset:         64
        .size:           4
        .value_kind:     hidden_block_count_x
      - .offset:         68
        .size:           4
        .value_kind:     hidden_block_count_y
      - .offset:         72
        .size:           4
        .value_kind:     hidden_block_count_z
      - .offset:         76
        .size:           2
        .value_kind:     hidden_group_size_x
      - .offset:         78
        .size:           2
        .value_kind:     hidden_group_size_y
      - .offset:         80
        .size:           2
        .value_kind:     hidden_group_size_z
      - .offset:         82
        .size:           2
        .value_kind:     hidden_remainder_x
      - .offset:         84
        .size:           2
        .value_kind:     hidden_remainder_y
      - .offset:         86
        .size:           2
        .value_kind:     hidden_remainder_z
      - .offset:         104
        .size:           8
        .value_kind:     hidden_global_offset_x
      - .offset:         112
        .size:           8
        .value_kind:     hidden_global_offset_y
      - .offset:         120
        .size:           8
        .value_kind:     hidden_global_offset_z
      - .offset:         128
        .size:           2
        .value_kind:     hidden_grid_dims
      - .offset:         184
        .size:           4
        .value_kind:     hidden_dynamic_lds_size
    .group_segment_fixed_size: 0
    .kernarg_segment_align: 8
    .kernarg_segment_size: 320
    .language:       OpenCL C
    .language_version:
      - 2
      - 0
    .max_flat_workgroup_size: 1024
    .name:           _ZN12tensorrt_llm7kernels32fusedQKNormRopeKernelNTokenHeadsIN3c108BFloat16ENS2_4HalfELi64ELb1ELi8EEEvPviiifPKvS7_S7_PKlii
    .private_segment_fixed_size: 0
    .sgpr_count:     23
    .sgpr_spill_count: 0
    .symbol:         _ZN12tensorrt_llm7kernels32fusedQKNormRopeKernelNTokenHeadsIN3c108BFloat16ENS2_4HalfELi64ELb1ELi8EEEvPviiifPKvS7_S7_PKlii.kd
    .uniform_work_group_size: 1
    .uses_dynamic_stack: false
    .vgpr_count:     21
    .vgpr_spill_count: 0
    .wavefront_size: 32
    .workgroup_processor_mode: 1
  - .args:
      - .address_space:  global
        .offset:         0
        .size:           8
        .value_kind:     global_buffer
      - .offset:         8
        .size:           4
        .value_kind:     by_value
      - .offset:         12
        .size:           4
        .value_kind:     by_value
      - .offset:         16
        .size:           4
        .value_kind:     by_value
      - .offset:         20
        .size:           4
        .value_kind:     by_value
      - .address_space:  global
        .offset:         24
        .size:           8
        .value_kind:     global_buffer
      - .address_space:  global
        .offset:         32
        .size:           8
        .value_kind:     global_buffer
      - .address_space:  global
        .offset:         40
        .size:           8
        .value_kind:     global_buffer
      - .address_space:  global
        .offset:         48
        .size:           8
        .value_kind:     global_buffer
      - .offset:         56
        .size:           4
        .value_kind:     by_value
      - .offset:         60
        .size:           4
        .value_kind:     by_value
      - .offset:         64
        .size:           4
        .value_kind:     hidden_block_count_x
      - .offset:         68
        .size:           4
        .value_kind:     hidden_block_count_y
      - .offset:         72
        .size:           4
        .value_kind:     hidden_block_count_z
      - .offset:         76
        .size:           2
        .value_kind:     hidden_group_size_x
      - .offset:         78
        .size:           2
        .value_kind:     hidden_group_size_y
      - .offset:         80
        .size:           2
        .value_kind:     hidden_group_size_z
      - .offset:         82
        .size:           2
        .value_kind:     hidden_remainder_x
      - .offset:         84
        .size:           2
        .value_kind:     hidden_remainder_y
      - .offset:         86
        .size:           2
        .value_kind:     hidden_remainder_z
      - .offset:         104
        .size:           8
        .value_kind:     hidden_global_offset_x
      - .offset:         112
        .size:           8
        .value_kind:     hidden_global_offset_y
      - .offset:         120
        .size:           8
        .value_kind:     hidden_global_offset_z
      - .offset:         128
        .size:           2
        .value_kind:     hidden_grid_dims
      - .offset:         184
        .size:           4
        .value_kind:     hidden_dynamic_lds_size
    .group_segment_fixed_size: 0
    .kernarg_segment_align: 8
    .kernarg_segment_size: 320
    .language:       OpenCL C
    .language_version:
      - 2
      - 0
    .max_flat_workgroup_size: 1024
    .name:           _ZN12tensorrt_llm7kernels32fusedQKNormRopeKernelNTokenHeadsIN3c108BFloat16ENS2_4HalfELi64ELb0ELi8EEEvPviiifPKvS7_S7_PKlii
    .private_segment_fixed_size: 0
    .sgpr_count:     23
    .sgpr_spill_count: 0
    .symbol:         _ZN12tensorrt_llm7kernels32fusedQKNormRopeKernelNTokenHeadsIN3c108BFloat16ENS2_4HalfELi64ELb0ELi8EEEvPviiifPKvS7_S7_PKlii.kd
    .uniform_work_group_size: 1
    .uses_dynamic_stack: false
    .vgpr_count:     26
    .vgpr_spill_count: 0
    .wavefront_size: 32
    .workgroup_processor_mode: 1
  - .args:
      - .address_space:  global
        .offset:         0
        .size:           8
        .value_kind:     global_buffer
      - .offset:         8
        .size:           4
        .value_kind:     by_value
      - .offset:         12
        .size:           4
        .value_kind:     by_value
      - .offset:         16
        .size:           4
        .value_kind:     by_value
      - .offset:         20
        .size:           4
        .value_kind:     by_value
      - .address_space:  global
        .offset:         24
        .size:           8
        .value_kind:     global_buffer
      - .address_space:  global
        .offset:         32
        .size:           8
        .value_kind:     global_buffer
      - .address_space:  global
        .offset:         40
        .size:           8
        .value_kind:     global_buffer
      - .address_space:  global
        .offset:         48
        .size:           8
        .value_kind:     global_buffer
      - .offset:         56
        .size:           4
        .value_kind:     by_value
      - .offset:         60
        .size:           4
        .value_kind:     by_value
      - .offset:         64
        .size:           4
        .value_kind:     hidden_block_count_x
      - .offset:         68
        .size:           4
        .value_kind:     hidden_block_count_y
      - .offset:         72
        .size:           4
        .value_kind:     hidden_block_count_z
      - .offset:         76
        .size:           2
        .value_kind:     hidden_group_size_x
      - .offset:         78
        .size:           2
        .value_kind:     hidden_group_size_y
      - .offset:         80
        .size:           2
        .value_kind:     hidden_group_size_z
      - .offset:         82
        .size:           2
        .value_kind:     hidden_remainder_x
      - .offset:         84
        .size:           2
        .value_kind:     hidden_remainder_y
      - .offset:         86
        .size:           2
        .value_kind:     hidden_remainder_z
      - .offset:         104
        .size:           8
        .value_kind:     hidden_global_offset_x
      - .offset:         112
        .size:           8
        .value_kind:     hidden_global_offset_y
      - .offset:         120
        .size:           8
        .value_kind:     hidden_global_offset_z
      - .offset:         128
        .size:           2
        .value_kind:     hidden_grid_dims
      - .offset:         184
        .size:           4
        .value_kind:     hidden_dynamic_lds_size
    .group_segment_fixed_size: 0
    .kernarg_segment_align: 8
    .kernarg_segment_size: 320
    .language:       OpenCL C
    .language_version:
      - 2
      - 0
    .max_flat_workgroup_size: 1024
    .name:           _ZN12tensorrt_llm7kernels32fusedQKNormRopeKernelNTokenHeadsIN3c108BFloat16ENS2_4HalfELi128ELb1ELi8EEEvPviiifPKvS7_S7_PKlii
    .private_segment_fixed_size: 0
    .sgpr_count:     23
    .sgpr_spill_count: 0
    .symbol:         _ZN12tensorrt_llm7kernels32fusedQKNormRopeKernelNTokenHeadsIN3c108BFloat16ENS2_4HalfELi128ELb1ELi8EEEvPviiifPKvS7_S7_PKlii.kd
    .uniform_work_group_size: 1
    .uses_dynamic_stack: false
    .vgpr_count:     31
    .vgpr_spill_count: 0
    .wavefront_size: 32
    .workgroup_processor_mode: 1
  - .args:
      - .address_space:  global
        .offset:         0
        .size:           8
        .value_kind:     global_buffer
      - .offset:         8
        .size:           4
        .value_kind:     by_value
      - .offset:         12
        .size:           4
        .value_kind:     by_value
      - .offset:         16
        .size:           4
        .value_kind:     by_value
      - .offset:         20
        .size:           4
        .value_kind:     by_value
      - .address_space:  global
        .offset:         24
        .size:           8
        .value_kind:     global_buffer
      - .address_space:  global
        .offset:         32
        .size:           8
        .value_kind:     global_buffer
      - .address_space:  global
        .offset:         40
        .size:           8
        .value_kind:     global_buffer
      - .address_space:  global
        .offset:         48
        .size:           8
        .value_kind:     global_buffer
      - .offset:         56
        .size:           4
        .value_kind:     by_value
      - .offset:         60
        .size:           4
        .value_kind:     by_value
      - .offset:         64
        .size:           4
        .value_kind:     hidden_block_count_x
      - .offset:         68
        .size:           4
        .value_kind:     hidden_block_count_y
      - .offset:         72
        .size:           4
        .value_kind:     hidden_block_count_z
      - .offset:         76
        .size:           2
        .value_kind:     hidden_group_size_x
      - .offset:         78
        .size:           2
        .value_kind:     hidden_group_size_y
      - .offset:         80
        .size:           2
        .value_kind:     hidden_group_size_z
      - .offset:         82
        .size:           2
        .value_kind:     hidden_remainder_x
      - .offset:         84
        .size:           2
        .value_kind:     hidden_remainder_y
      - .offset:         86
        .size:           2
        .value_kind:     hidden_remainder_z
      - .offset:         104
        .size:           8
        .value_kind:     hidden_global_offset_x
      - .offset:         112
        .size:           8
        .value_kind:     hidden_global_offset_y
      - .offset:         120
        .size:           8
        .value_kind:     hidden_global_offset_z
      - .offset:         128
        .size:           2
        .value_kind:     hidden_grid_dims
      - .offset:         184
        .size:           4
        .value_kind:     hidden_dynamic_lds_size
    .group_segment_fixed_size: 0
    .kernarg_segment_align: 8
    .kernarg_segment_size: 320
    .language:       OpenCL C
    .language_version:
      - 2
      - 0
    .max_flat_workgroup_size: 1024
    .name:           _ZN12tensorrt_llm7kernels32fusedQKNormRopeKernelNTokenHeadsIN3c108BFloat16ENS2_4HalfELi128ELb0ELi8EEEvPviiifPKvS7_S7_PKlii
    .private_segment_fixed_size: 0
    .sgpr_count:     23
    .sgpr_spill_count: 0
    .symbol:         _ZN12tensorrt_llm7kernels32fusedQKNormRopeKernelNTokenHeadsIN3c108BFloat16ENS2_4HalfELi128ELb0ELi8EEEvPviiifPKvS7_S7_PKlii.kd
    .uniform_work_group_size: 1
    .uses_dynamic_stack: false
    .vgpr_count:     42
    .vgpr_spill_count: 0
    .wavefront_size: 32
    .workgroup_processor_mode: 1
  - .args:
      - .address_space:  global
        .offset:         0
        .size:           8
        .value_kind:     global_buffer
      - .offset:         8
        .size:           4
        .value_kind:     by_value
      - .offset:         12
        .size:           4
        .value_kind:     by_value
      - .offset:         16
        .size:           4
        .value_kind:     by_value
      - .offset:         20
        .size:           4
        .value_kind:     by_value
      - .address_space:  global
        .offset:         24
        .size:           8
        .value_kind:     global_buffer
      - .address_space:  global
        .offset:         32
        .size:           8
        .value_kind:     global_buffer
      - .address_space:  global
        .offset:         40
        .size:           8
        .value_kind:     global_buffer
      - .address_space:  global
        .offset:         48
        .size:           8
        .value_kind:     global_buffer
      - .offset:         56
        .size:           4
        .value_kind:     by_value
      - .offset:         60
        .size:           4
        .value_kind:     by_value
      - .offset:         64
        .size:           4
        .value_kind:     hidden_block_count_x
      - .offset:         68
        .size:           4
        .value_kind:     hidden_block_count_y
      - .offset:         72
        .size:           4
        .value_kind:     hidden_block_count_z
      - .offset:         76
        .size:           2
        .value_kind:     hidden_group_size_x
      - .offset:         78
        .size:           2
        .value_kind:     hidden_group_size_y
      - .offset:         80
        .size:           2
        .value_kind:     hidden_group_size_z
      - .offset:         82
        .size:           2
        .value_kind:     hidden_remainder_x
      - .offset:         84
        .size:           2
        .value_kind:     hidden_remainder_y
      - .offset:         86
        .size:           2
        .value_kind:     hidden_remainder_z
      - .offset:         104
        .size:           8
        .value_kind:     hidden_global_offset_x
      - .offset:         112
        .size:           8
        .value_kind:     hidden_global_offset_y
      - .offset:         120
        .size:           8
        .value_kind:     hidden_global_offset_z
      - .offset:         128
        .size:           2
        .value_kind:     hidden_grid_dims
      - .offset:         184
        .size:           4
        .value_kind:     hidden_dynamic_lds_size
    .group_segment_fixed_size: 0
    .kernarg_segment_align: 8
    .kernarg_segment_size: 320
    .language:       OpenCL C
    .language_version:
      - 2
      - 0
    .max_flat_workgroup_size: 1024
    .name:           _ZN12tensorrt_llm7kernels32fusedQKNormRopeKernelNTokenHeadsIN3c108BFloat16ENS2_4HalfELi256ELb1ELi8EEEvPviiifPKvS7_S7_PKlii
    .private_segment_fixed_size: 0
    .sgpr_count:     23
    .sgpr_spill_count: 0
    .symbol:         _ZN12tensorrt_llm7kernels32fusedQKNormRopeKernelNTokenHeadsIN3c108BFloat16ENS2_4HalfELi256ELb1ELi8EEEvPviiifPKvS7_S7_PKlii.kd
    .uniform_work_group_size: 1
    .uses_dynamic_stack: false
    .vgpr_count:     46
    .vgpr_spill_count: 0
    .wavefront_size: 32
    .workgroup_processor_mode: 1
  - .args:
      - .address_space:  global
        .offset:         0
        .size:           8
        .value_kind:     global_buffer
      - .offset:         8
        .size:           4
        .value_kind:     by_value
      - .offset:         12
        .size:           4
        .value_kind:     by_value
      - .offset:         16
        .size:           4
        .value_kind:     by_value
      - .offset:         20
        .size:           4
        .value_kind:     by_value
      - .address_space:  global
        .offset:         24
        .size:           8
        .value_kind:     global_buffer
      - .address_space:  global
        .offset:         32
        .size:           8
        .value_kind:     global_buffer
      - .address_space:  global
        .offset:         40
        .size:           8
        .value_kind:     global_buffer
      - .address_space:  global
        .offset:         48
        .size:           8
        .value_kind:     global_buffer
      - .offset:         56
        .size:           4
        .value_kind:     by_value
      - .offset:         60
        .size:           4
        .value_kind:     by_value
      - .offset:         64
        .size:           4
        .value_kind:     hidden_block_count_x
      - .offset:         68
        .size:           4
        .value_kind:     hidden_block_count_y
      - .offset:         72
        .size:           4
        .value_kind:     hidden_block_count_z
      - .offset:         76
        .size:           2
        .value_kind:     hidden_group_size_x
      - .offset:         78
        .size:           2
        .value_kind:     hidden_group_size_y
      - .offset:         80
        .size:           2
        .value_kind:     hidden_group_size_z
      - .offset:         82
        .size:           2
        .value_kind:     hidden_remainder_x
      - .offset:         84
        .size:           2
        .value_kind:     hidden_remainder_y
      - .offset:         86
        .size:           2
        .value_kind:     hidden_remainder_z
      - .offset:         104
        .size:           8
        .value_kind:     hidden_global_offset_x
      - .offset:         112
        .size:           8
        .value_kind:     hidden_global_offset_y
      - .offset:         120
        .size:           8
        .value_kind:     hidden_global_offset_z
      - .offset:         128
        .size:           2
        .value_kind:     hidden_grid_dims
      - .offset:         184
        .size:           4
        .value_kind:     hidden_dynamic_lds_size
    .group_segment_fixed_size: 0
    .kernarg_segment_align: 8
    .kernarg_segment_size: 320
    .language:       OpenCL C
    .language_version:
      - 2
      - 0
    .max_flat_workgroup_size: 1024
    .name:           _ZN12tensorrt_llm7kernels32fusedQKNormRopeKernelNTokenHeadsIN3c108BFloat16ENS2_4HalfELi256ELb0ELi8EEEvPviiifPKvS7_S7_PKlii
    .private_segment_fixed_size: 0
    .sgpr_count:     23
    .sgpr_spill_count: 0
    .symbol:         _ZN12tensorrt_llm7kernels32fusedQKNormRopeKernelNTokenHeadsIN3c108BFloat16ENS2_4HalfELi256ELb0ELi8EEEvPviiifPKvS7_S7_PKlii.kd
    .uniform_work_group_size: 1
    .uses_dynamic_stack: false
    .vgpr_count:     72
    .vgpr_spill_count: 0
    .wavefront_size: 32
    .workgroup_processor_mode: 1
  - .args:
      - .address_space:  global
        .offset:         0
        .size:           8
        .value_kind:     global_buffer
      - .offset:         8
        .size:           4
        .value_kind:     by_value
      - .offset:         12
        .size:           4
        .value_kind:     by_value
      - .offset:         16
        .size:           4
        .value_kind:     by_value
      - .offset:         20
        .size:           4
        .value_kind:     by_value
      - .address_space:  global
        .offset:         24
        .size:           8
        .value_kind:     global_buffer
      - .address_space:  global
        .offset:         32
        .size:           8
        .value_kind:     global_buffer
      - .address_space:  global
        .offset:         40
        .size:           8
        .value_kind:     global_buffer
      - .address_space:  global
        .offset:         48
        .size:           8
        .value_kind:     global_buffer
      - .offset:         56
        .size:           4
        .value_kind:     by_value
      - .offset:         60
        .size:           4
        .value_kind:     by_value
      - .offset:         64
        .size:           4
        .value_kind:     hidden_block_count_x
      - .offset:         68
        .size:           4
        .value_kind:     hidden_block_count_y
      - .offset:         72
        .size:           4
        .value_kind:     hidden_block_count_z
      - .offset:         76
        .size:           2
        .value_kind:     hidden_group_size_x
      - .offset:         78
        .size:           2
        .value_kind:     hidden_group_size_y
      - .offset:         80
        .size:           2
        .value_kind:     hidden_group_size_z
      - .offset:         82
        .size:           2
        .value_kind:     hidden_remainder_x
      - .offset:         84
        .size:           2
        .value_kind:     hidden_remainder_y
      - .offset:         86
        .size:           2
        .value_kind:     hidden_remainder_z
      - .offset:         104
        .size:           8
        .value_kind:     hidden_global_offset_x
      - .offset:         112
        .size:           8
        .value_kind:     hidden_global_offset_y
      - .offset:         120
        .size:           8
        .value_kind:     hidden_global_offset_z
      - .offset:         128
        .size:           2
        .value_kind:     hidden_grid_dims
    .group_segment_fixed_size: 0
    .kernarg_segment_align: 8
    .kernarg_segment_size: 320
    .language:       OpenCL C
    .language_version:
      - 2
      - 0
    .max_flat_workgroup_size: 1024
    .name:           _ZN12tensorrt_llm7kernels21fusedQKNormRopeKernelIN3c108BFloat16ES3_Li64ELb1EEEvPviiifPKvS6_S6_PKlii
    .private_segment_fixed_size: 0
    .sgpr_count:     18
    .sgpr_spill_count: 0
    .symbol:         _ZN12tensorrt_llm7kernels21fusedQKNormRopeKernelIN3c108BFloat16ES3_Li64ELb1EEEvPviiifPKvS6_S6_PKlii.kd
    .uniform_work_group_size: 1
    .uses_dynamic_stack: false
    .vgpr_count:     12
    .vgpr_spill_count: 0
    .wavefront_size: 32
    .workgroup_processor_mode: 1
  - .args:
      - .address_space:  global
        .offset:         0
        .size:           8
        .value_kind:     global_buffer
      - .offset:         8
        .size:           4
        .value_kind:     by_value
      - .offset:         12
        .size:           4
        .value_kind:     by_value
      - .offset:         16
        .size:           4
        .value_kind:     by_value
      - .offset:         20
        .size:           4
        .value_kind:     by_value
      - .address_space:  global
        .offset:         24
        .size:           8
        .value_kind:     global_buffer
      - .address_space:  global
        .offset:         32
        .size:           8
        .value_kind:     global_buffer
      - .address_space:  global
        .offset:         40
        .size:           8
        .value_kind:     global_buffer
      - .address_space:  global
        .offset:         48
        .size:           8
        .value_kind:     global_buffer
      - .offset:         56
        .size:           4
        .value_kind:     by_value
      - .offset:         60
        .size:           4
        .value_kind:     by_value
      - .offset:         64
        .size:           4
        .value_kind:     hidden_block_count_x
      - .offset:         68
        .size:           4
        .value_kind:     hidden_block_count_y
      - .offset:         72
        .size:           4
        .value_kind:     hidden_block_count_z
      - .offset:         76
        .size:           2
        .value_kind:     hidden_group_size_x
      - .offset:         78
        .size:           2
        .value_kind:     hidden_group_size_y
      - .offset:         80
        .size:           2
        .value_kind:     hidden_group_size_z
      - .offset:         82
        .size:           2
        .value_kind:     hidden_remainder_x
      - .offset:         84
        .size:           2
        .value_kind:     hidden_remainder_y
      - .offset:         86
        .size:           2
        .value_kind:     hidden_remainder_z
      - .offset:         104
        .size:           8
        .value_kind:     hidden_global_offset_x
      - .offset:         112
        .size:           8
        .value_kind:     hidden_global_offset_y
      - .offset:         120
        .size:           8
        .value_kind:     hidden_global_offset_z
      - .offset:         128
        .size:           2
        .value_kind:     hidden_grid_dims
    .group_segment_fixed_size: 0
    .kernarg_segment_align: 8
    .kernarg_segment_size: 320
    .language:       OpenCL C
    .language_version:
      - 2
      - 0
    .max_flat_workgroup_size: 1024
    .name:           _ZN12tensorrt_llm7kernels21fusedQKNormRopeKernelIN3c108BFloat16ES3_Li64ELb0EEEvPviiifPKvS6_S6_PKlii
    .private_segment_fixed_size: 0
    .sgpr_count:     18
    .sgpr_spill_count: 0
    .symbol:         _ZN12tensorrt_llm7kernels21fusedQKNormRopeKernelIN3c108BFloat16ES3_Li64ELb0EEEvPviiifPKvS6_S6_PKlii.kd
    .uniform_work_group_size: 1
    .uses_dynamic_stack: false
    .vgpr_count:     15
    .vgpr_spill_count: 0
    .wavefront_size: 32
    .workgroup_processor_mode: 1
  - .args:
      - .address_space:  global
        .offset:         0
        .size:           8
        .value_kind:     global_buffer
      - .offset:         8
        .size:           4
        .value_kind:     by_value
      - .offset:         12
        .size:           4
        .value_kind:     by_value
      - .offset:         16
        .size:           4
        .value_kind:     by_value
      - .offset:         20
        .size:           4
        .value_kind:     by_value
      - .address_space:  global
        .offset:         24
        .size:           8
        .value_kind:     global_buffer
      - .address_space:  global
        .offset:         32
        .size:           8
        .value_kind:     global_buffer
      - .address_space:  global
        .offset:         40
        .size:           8
        .value_kind:     global_buffer
      - .address_space:  global
        .offset:         48
        .size:           8
        .value_kind:     global_buffer
      - .offset:         56
        .size:           4
        .value_kind:     by_value
      - .offset:         60
        .size:           4
        .value_kind:     by_value
      - .offset:         64
        .size:           4
        .value_kind:     hidden_block_count_x
      - .offset:         68
        .size:           4
        .value_kind:     hidden_block_count_y
      - .offset:         72
        .size:           4
        .value_kind:     hidden_block_count_z
      - .offset:         76
        .size:           2
        .value_kind:     hidden_group_size_x
      - .offset:         78
        .size:           2
        .value_kind:     hidden_group_size_y
      - .offset:         80
        .size:           2
        .value_kind:     hidden_group_size_z
      - .offset:         82
        .size:           2
        .value_kind:     hidden_remainder_x
      - .offset:         84
        .size:           2
        .value_kind:     hidden_remainder_y
      - .offset:         86
        .size:           2
        .value_kind:     hidden_remainder_z
      - .offset:         104
        .size:           8
        .value_kind:     hidden_global_offset_x
      - .offset:         112
        .size:           8
        .value_kind:     hidden_global_offset_y
      - .offset:         120
        .size:           8
        .value_kind:     hidden_global_offset_z
      - .offset:         128
        .size:           2
        .value_kind:     hidden_grid_dims
    .group_segment_fixed_size: 0
    .kernarg_segment_align: 8
    .kernarg_segment_size: 320
    .language:       OpenCL C
    .language_version:
      - 2
      - 0
    .max_flat_workgroup_size: 1024
    .name:           _ZN12tensorrt_llm7kernels21fusedQKNormRopeKernelIN3c108BFloat16ES3_Li128ELb1EEEvPviiifPKvS6_S6_PKlii
    .private_segment_fixed_size: 0
    .sgpr_count:     18
    .sgpr_spill_count: 0
    .symbol:         _ZN12tensorrt_llm7kernels21fusedQKNormRopeKernelIN3c108BFloat16ES3_Li128ELb1EEEvPviiifPKvS6_S6_PKlii.kd
    .uniform_work_group_size: 1
    .uses_dynamic_stack: false
    .vgpr_count:     15
    .vgpr_spill_count: 0
    .wavefront_size: 32
    .workgroup_processor_mode: 1
  - .args:
      - .address_space:  global
        .offset:         0
        .size:           8
        .value_kind:     global_buffer
      - .offset:         8
        .size:           4
        .value_kind:     by_value
      - .offset:         12
        .size:           4
        .value_kind:     by_value
      - .offset:         16
        .size:           4
        .value_kind:     by_value
      - .offset:         20
        .size:           4
        .value_kind:     by_value
      - .address_space:  global
        .offset:         24
        .size:           8
        .value_kind:     global_buffer
      - .address_space:  global
        .offset:         32
        .size:           8
        .value_kind:     global_buffer
      - .address_space:  global
        .offset:         40
        .size:           8
        .value_kind:     global_buffer
      - .address_space:  global
        .offset:         48
        .size:           8
        .value_kind:     global_buffer
      - .offset:         56
        .size:           4
        .value_kind:     by_value
      - .offset:         60
        .size:           4
        .value_kind:     by_value
      - .offset:         64
        .size:           4
        .value_kind:     hidden_block_count_x
      - .offset:         68
        .size:           4
        .value_kind:     hidden_block_count_y
      - .offset:         72
        .size:           4
        .value_kind:     hidden_block_count_z
      - .offset:         76
        .size:           2
        .value_kind:     hidden_group_size_x
      - .offset:         78
        .size:           2
        .value_kind:     hidden_group_size_y
      - .offset:         80
        .size:           2
        .value_kind:     hidden_group_size_z
      - .offset:         82
        .size:           2
        .value_kind:     hidden_remainder_x
      - .offset:         84
        .size:           2
        .value_kind:     hidden_remainder_y
      - .offset:         86
        .size:           2
        .value_kind:     hidden_remainder_z
      - .offset:         104
        .size:           8
        .value_kind:     hidden_global_offset_x
      - .offset:         112
        .size:           8
        .value_kind:     hidden_global_offset_y
      - .offset:         120
        .size:           8
        .value_kind:     hidden_global_offset_z
      - .offset:         128
        .size:           2
        .value_kind:     hidden_grid_dims
    .group_segment_fixed_size: 0
    .kernarg_segment_align: 8
    .kernarg_segment_size: 320
    .language:       OpenCL C
    .language_version:
      - 2
      - 0
    .max_flat_workgroup_size: 1024
    .name:           _ZN12tensorrt_llm7kernels21fusedQKNormRopeKernelIN3c108BFloat16ES3_Li128ELb0EEEvPviiifPKvS6_S6_PKlii
    .private_segment_fixed_size: 0
    .sgpr_count:     18
    .sgpr_spill_count: 0
    .symbol:         _ZN12tensorrt_llm7kernels21fusedQKNormRopeKernelIN3c108BFloat16ES3_Li128ELb0EEEvPviiifPKvS6_S6_PKlii.kd
    .uniform_work_group_size: 1
    .uses_dynamic_stack: false
    .vgpr_count:     25
    .vgpr_spill_count: 0
    .wavefront_size: 32
    .workgroup_processor_mode: 1
  - .args:
      - .address_space:  global
        .offset:         0
        .size:           8
        .value_kind:     global_buffer
      - .offset:         8
        .size:           4
        .value_kind:     by_value
      - .offset:         12
        .size:           4
        .value_kind:     by_value
      - .offset:         16
        .size:           4
        .value_kind:     by_value
      - .offset:         20
        .size:           4
        .value_kind:     by_value
      - .address_space:  global
        .offset:         24
        .size:           8
        .value_kind:     global_buffer
      - .address_space:  global
        .offset:         32
        .size:           8
        .value_kind:     global_buffer
      - .address_space:  global
        .offset:         40
        .size:           8
        .value_kind:     global_buffer
      - .address_space:  global
        .offset:         48
        .size:           8
        .value_kind:     global_buffer
      - .offset:         56
        .size:           4
        .value_kind:     by_value
      - .offset:         60
        .size:           4
        .value_kind:     by_value
      - .offset:         64
        .size:           4
        .value_kind:     hidden_block_count_x
      - .offset:         68
        .size:           4
        .value_kind:     hidden_block_count_y
      - .offset:         72
        .size:           4
        .value_kind:     hidden_block_count_z
      - .offset:         76
        .size:           2
        .value_kind:     hidden_group_size_x
      - .offset:         78
        .size:           2
        .value_kind:     hidden_group_size_y
      - .offset:         80
        .size:           2
        .value_kind:     hidden_group_size_z
      - .offset:         82
        .size:           2
        .value_kind:     hidden_remainder_x
      - .offset:         84
        .size:           2
        .value_kind:     hidden_remainder_y
      - .offset:         86
        .size:           2
        .value_kind:     hidden_remainder_z
      - .offset:         104
        .size:           8
        .value_kind:     hidden_global_offset_x
      - .offset:         112
        .size:           8
        .value_kind:     hidden_global_offset_y
      - .offset:         120
        .size:           8
        .value_kind:     hidden_global_offset_z
      - .offset:         128
        .size:           2
        .value_kind:     hidden_grid_dims
    .group_segment_fixed_size: 0
    .kernarg_segment_align: 8
    .kernarg_segment_size: 320
    .language:       OpenCL C
    .language_version:
      - 2
      - 0
    .max_flat_workgroup_size: 1024
    .name:           _ZN12tensorrt_llm7kernels21fusedQKNormRopeKernelIN3c108BFloat16ES3_Li256ELb1EEEvPviiifPKvS6_S6_PKlii
    .private_segment_fixed_size: 0
    .sgpr_count:     18
    .sgpr_spill_count: 0
    .symbol:         _ZN12tensorrt_llm7kernels21fusedQKNormRopeKernelIN3c108BFloat16ES3_Li256ELb1EEEvPviiifPKvS6_S6_PKlii.kd
    .uniform_work_group_size: 1
    .uses_dynamic_stack: false
    .vgpr_count:     25
    .vgpr_spill_count: 0
    .wavefront_size: 32
    .workgroup_processor_mode: 1
  - .args:
      - .address_space:  global
        .offset:         0
        .size:           8
        .value_kind:     global_buffer
      - .offset:         8
        .size:           4
        .value_kind:     by_value
      - .offset:         12
        .size:           4
        .value_kind:     by_value
      - .offset:         16
        .size:           4
        .value_kind:     by_value
      - .offset:         20
        .size:           4
        .value_kind:     by_value
      - .address_space:  global
        .offset:         24
        .size:           8
        .value_kind:     global_buffer
      - .address_space:  global
        .offset:         32
        .size:           8
        .value_kind:     global_buffer
      - .address_space:  global
        .offset:         40
        .size:           8
        .value_kind:     global_buffer
      - .address_space:  global
        .offset:         48
        .size:           8
        .value_kind:     global_buffer
      - .offset:         56
        .size:           4
        .value_kind:     by_value
      - .offset:         60
        .size:           4
        .value_kind:     by_value
      - .offset:         64
        .size:           4
        .value_kind:     hidden_block_count_x
      - .offset:         68
        .size:           4
        .value_kind:     hidden_block_count_y
      - .offset:         72
        .size:           4
        .value_kind:     hidden_block_count_z
      - .offset:         76
        .size:           2
        .value_kind:     hidden_group_size_x
      - .offset:         78
        .size:           2
        .value_kind:     hidden_group_size_y
      - .offset:         80
        .size:           2
        .value_kind:     hidden_group_size_z
      - .offset:         82
        .size:           2
        .value_kind:     hidden_remainder_x
      - .offset:         84
        .size:           2
        .value_kind:     hidden_remainder_y
      - .offset:         86
        .size:           2
        .value_kind:     hidden_remainder_z
      - .offset:         104
        .size:           8
        .value_kind:     hidden_global_offset_x
      - .offset:         112
        .size:           8
        .value_kind:     hidden_global_offset_y
      - .offset:         120
        .size:           8
        .value_kind:     hidden_global_offset_z
      - .offset:         128
        .size:           2
        .value_kind:     hidden_grid_dims
    .group_segment_fixed_size: 0
    .kernarg_segment_align: 8
    .kernarg_segment_size: 320
    .language:       OpenCL C
    .language_version:
      - 2
      - 0
    .max_flat_workgroup_size: 1024
    .name:           _ZN12tensorrt_llm7kernels21fusedQKNormRopeKernelIN3c108BFloat16ES3_Li256ELb0EEEvPviiifPKvS6_S6_PKlii
    .private_segment_fixed_size: 0
    .sgpr_count:     18
    .sgpr_spill_count: 0
    .symbol:         _ZN12tensorrt_llm7kernels21fusedQKNormRopeKernelIN3c108BFloat16ES3_Li256ELb0EEEvPviiifPKvS6_S6_PKlii.kd
    .uniform_work_group_size: 1
    .uses_dynamic_stack: false
    .vgpr_count:     43
    .vgpr_spill_count: 0
    .wavefront_size: 32
    .workgroup_processor_mode: 1
  - .args:
      - .address_space:  global
        .offset:         0
        .size:           8
        .value_kind:     global_buffer
      - .offset:         8
        .size:           4
        .value_kind:     by_value
      - .offset:         12
        .size:           4
        .value_kind:     by_value
      - .offset:         16
        .size:           4
        .value_kind:     by_value
      - .offset:         20
        .size:           4
        .value_kind:     by_value
      - .address_space:  global
        .offset:         24
        .size:           8
        .value_kind:     global_buffer
      - .address_space:  global
        .offset:         32
        .size:           8
        .value_kind:     global_buffer
      - .address_space:  global
        .offset:         40
        .size:           8
        .value_kind:     global_buffer
      - .address_space:  global
        .offset:         48
        .size:           8
        .value_kind:     global_buffer
      - .offset:         56
        .size:           4
        .value_kind:     by_value
      - .offset:         60
        .size:           4
        .value_kind:     by_value
      - .offset:         64
        .size:           4
        .value_kind:     hidden_block_count_x
      - .offset:         68
        .size:           4
        .value_kind:     hidden_block_count_y
      - .offset:         72
        .size:           4
        .value_kind:     hidden_block_count_z
      - .offset:         76
        .size:           2
        .value_kind:     hidden_group_size_x
      - .offset:         78
        .size:           2
        .value_kind:     hidden_group_size_y
      - .offset:         80
        .size:           2
        .value_kind:     hidden_group_size_z
      - .offset:         82
        .size:           2
        .value_kind:     hidden_remainder_x
      - .offset:         84
        .size:           2
        .value_kind:     hidden_remainder_y
      - .offset:         86
        .size:           2
        .value_kind:     hidden_remainder_z
      - .offset:         104
        .size:           8
        .value_kind:     hidden_global_offset_x
      - .offset:         112
        .size:           8
        .value_kind:     hidden_global_offset_y
      - .offset:         120
        .size:           8
        .value_kind:     hidden_global_offset_z
      - .offset:         128
        .size:           2
        .value_kind:     hidden_grid_dims
      - .offset:         184
        .size:           4
        .value_kind:     hidden_dynamic_lds_size
    .group_segment_fixed_size: 0
    .kernarg_segment_align: 8
    .kernarg_segment_size: 320
    .language:       OpenCL C
    .language_version:
      - 2
      - 0
    .max_flat_workgroup_size: 1024
    .name:           _ZN12tensorrt_llm7kernels32fusedQKNormRopeKernelNTokenHeadsIN3c108BFloat16ES3_Li64ELb1ELi2EEEvPviiifPKvS6_S6_PKlii
    .private_segment_fixed_size: 0
    .sgpr_count:     23
    .sgpr_spill_count: 0
    .symbol:         _ZN12tensorrt_llm7kernels32fusedQKNormRopeKernelNTokenHeadsIN3c108BFloat16ES3_Li64ELb1ELi2EEEvPviiifPKvS6_S6_PKlii.kd
    .uniform_work_group_size: 1
    .uses_dynamic_stack: false
    .vgpr_count:     21
    .vgpr_spill_count: 0
    .wavefront_size: 32
    .workgroup_processor_mode: 1
  - .args:
      - .address_space:  global
        .offset:         0
        .size:           8
        .value_kind:     global_buffer
      - .offset:         8
        .size:           4
        .value_kind:     by_value
      - .offset:         12
        .size:           4
        .value_kind:     by_value
      - .offset:         16
        .size:           4
        .value_kind:     by_value
      - .offset:         20
        .size:           4
        .value_kind:     by_value
      - .address_space:  global
        .offset:         24
        .size:           8
        .value_kind:     global_buffer
      - .address_space:  global
        .offset:         32
        .size:           8
        .value_kind:     global_buffer
      - .address_space:  global
        .offset:         40
        .size:           8
        .value_kind:     global_buffer
      - .address_space:  global
        .offset:         48
        .size:           8
        .value_kind:     global_buffer
      - .offset:         56
        .size:           4
        .value_kind:     by_value
      - .offset:         60
        .size:           4
        .value_kind:     by_value
      - .offset:         64
        .size:           4
        .value_kind:     hidden_block_count_x
      - .offset:         68
        .size:           4
        .value_kind:     hidden_block_count_y
      - .offset:         72
        .size:           4
        .value_kind:     hidden_block_count_z
      - .offset:         76
        .size:           2
        .value_kind:     hidden_group_size_x
      - .offset:         78
        .size:           2
        .value_kind:     hidden_group_size_y
      - .offset:         80
        .size:           2
        .value_kind:     hidden_group_size_z
      - .offset:         82
        .size:           2
        .value_kind:     hidden_remainder_x
      - .offset:         84
        .size:           2
        .value_kind:     hidden_remainder_y
      - .offset:         86
        .size:           2
        .value_kind:     hidden_remainder_z
      - .offset:         104
        .size:           8
        .value_kind:     hidden_global_offset_x
      - .offset:         112
        .size:           8
        .value_kind:     hidden_global_offset_y
      - .offset:         120
        .size:           8
        .value_kind:     hidden_global_offset_z
      - .offset:         128
        .size:           2
        .value_kind:     hidden_grid_dims
      - .offset:         184
        .size:           4
        .value_kind:     hidden_dynamic_lds_size
    .group_segment_fixed_size: 0
    .kernarg_segment_align: 8
    .kernarg_segment_size: 320
    .language:       OpenCL C
    .language_version:
      - 2
      - 0
    .max_flat_workgroup_size: 1024
    .name:           _ZN12tensorrt_llm7kernels32fusedQKNormRopeKernelNTokenHeadsIN3c108BFloat16ES3_Li64ELb0ELi2EEEvPviiifPKvS6_S6_PKlii
    .private_segment_fixed_size: 0
    .sgpr_count:     23
    .sgpr_spill_count: 0
    .symbol:         _ZN12tensorrt_llm7kernels32fusedQKNormRopeKernelNTokenHeadsIN3c108BFloat16ES3_Li64ELb0ELi2EEEvPviiifPKvS6_S6_PKlii.kd
    .uniform_work_group_size: 1
    .uses_dynamic_stack: false
    .vgpr_count:     26
    .vgpr_spill_count: 0
    .wavefront_size: 32
    .workgroup_processor_mode: 1
  - .args:
      - .address_space:  global
        .offset:         0
        .size:           8
        .value_kind:     global_buffer
      - .offset:         8
        .size:           4
        .value_kind:     by_value
      - .offset:         12
        .size:           4
        .value_kind:     by_value
      - .offset:         16
        .size:           4
        .value_kind:     by_value
      - .offset:         20
        .size:           4
        .value_kind:     by_value
      - .address_space:  global
        .offset:         24
        .size:           8
        .value_kind:     global_buffer
      - .address_space:  global
        .offset:         32
        .size:           8
        .value_kind:     global_buffer
      - .address_space:  global
        .offset:         40
        .size:           8
        .value_kind:     global_buffer
      - .address_space:  global
        .offset:         48
        .size:           8
        .value_kind:     global_buffer
      - .offset:         56
        .size:           4
        .value_kind:     by_value
      - .offset:         60
        .size:           4
        .value_kind:     by_value
      - .offset:         64
        .size:           4
        .value_kind:     hidden_block_count_x
      - .offset:         68
        .size:           4
        .value_kind:     hidden_block_count_y
      - .offset:         72
        .size:           4
        .value_kind:     hidden_block_count_z
      - .offset:         76
        .size:           2
        .value_kind:     hidden_group_size_x
      - .offset:         78
        .size:           2
        .value_kind:     hidden_group_size_y
      - .offset:         80
        .size:           2
        .value_kind:     hidden_group_size_z
      - .offset:         82
        .size:           2
        .value_kind:     hidden_remainder_x
      - .offset:         84
        .size:           2
        .value_kind:     hidden_remainder_y
      - .offset:         86
        .size:           2
        .value_kind:     hidden_remainder_z
      - .offset:         104
        .size:           8
        .value_kind:     hidden_global_offset_x
      - .offset:         112
        .size:           8
        .value_kind:     hidden_global_offset_y
      - .offset:         120
        .size:           8
        .value_kind:     hidden_global_offset_z
      - .offset:         128
        .size:           2
        .value_kind:     hidden_grid_dims
      - .offset:         184
        .size:           4
        .value_kind:     hidden_dynamic_lds_size
    .group_segment_fixed_size: 0
    .kernarg_segment_align: 8
    .kernarg_segment_size: 320
    .language:       OpenCL C
    .language_version:
      - 2
      - 0
    .max_flat_workgroup_size: 1024
    .name:           _ZN12tensorrt_llm7kernels32fusedQKNormRopeKernelNTokenHeadsIN3c108BFloat16ES3_Li128ELb1ELi2EEEvPviiifPKvS6_S6_PKlii
    .private_segment_fixed_size: 0
    .sgpr_count:     23
    .sgpr_spill_count: 0
    .symbol:         _ZN12tensorrt_llm7kernels32fusedQKNormRopeKernelNTokenHeadsIN3c108BFloat16ES3_Li128ELb1ELi2EEEvPviiifPKvS6_S6_PKlii.kd
    .uniform_work_group_size: 1
    .uses_dynamic_stack: false
    .vgpr_count:     30
    .vgpr_spill_count: 0
    .wavefront_size: 32
    .workgroup_processor_mode: 1
  - .args:
      - .address_space:  global
        .offset:         0
        .size:           8
        .value_kind:     global_buffer
      - .offset:         8
        .size:           4
        .value_kind:     by_value
      - .offset:         12
        .size:           4
        .value_kind:     by_value
      - .offset:         16
        .size:           4
        .value_kind:     by_value
      - .offset:         20
        .size:           4
        .value_kind:     by_value
      - .address_space:  global
        .offset:         24
        .size:           8
        .value_kind:     global_buffer
      - .address_space:  global
        .offset:         32
        .size:           8
        .value_kind:     global_buffer
      - .address_space:  global
        .offset:         40
        .size:           8
        .value_kind:     global_buffer
      - .address_space:  global
        .offset:         48
        .size:           8
        .value_kind:     global_buffer
      - .offset:         56
        .size:           4
        .value_kind:     by_value
      - .offset:         60
        .size:           4
        .value_kind:     by_value
      - .offset:         64
        .size:           4
        .value_kind:     hidden_block_count_x
      - .offset:         68
        .size:           4
        .value_kind:     hidden_block_count_y
      - .offset:         72
        .size:           4
        .value_kind:     hidden_block_count_z
      - .offset:         76
        .size:           2
        .value_kind:     hidden_group_size_x
      - .offset:         78
        .size:           2
        .value_kind:     hidden_group_size_y
      - .offset:         80
        .size:           2
        .value_kind:     hidden_group_size_z
      - .offset:         82
        .size:           2
        .value_kind:     hidden_remainder_x
      - .offset:         84
        .size:           2
        .value_kind:     hidden_remainder_y
      - .offset:         86
        .size:           2
        .value_kind:     hidden_remainder_z
      - .offset:         104
        .size:           8
        .value_kind:     hidden_global_offset_x
      - .offset:         112
        .size:           8
        .value_kind:     hidden_global_offset_y
      - .offset:         120
        .size:           8
        .value_kind:     hidden_global_offset_z
      - .offset:         128
        .size:           2
        .value_kind:     hidden_grid_dims
      - .offset:         184
        .size:           4
        .value_kind:     hidden_dynamic_lds_size
    .group_segment_fixed_size: 0
    .kernarg_segment_align: 8
    .kernarg_segment_size: 320
    .language:       OpenCL C
    .language_version:
      - 2
      - 0
    .max_flat_workgroup_size: 1024
    .name:           _ZN12tensorrt_llm7kernels32fusedQKNormRopeKernelNTokenHeadsIN3c108BFloat16ES3_Li128ELb0ELi2EEEvPviiifPKvS6_S6_PKlii
    .private_segment_fixed_size: 0
    .sgpr_count:     23
    .sgpr_spill_count: 0
    .symbol:         _ZN12tensorrt_llm7kernels32fusedQKNormRopeKernelNTokenHeadsIN3c108BFloat16ES3_Li128ELb0ELi2EEEvPviiifPKvS6_S6_PKlii.kd
    .uniform_work_group_size: 1
    .uses_dynamic_stack: false
    .vgpr_count:     44
    .vgpr_spill_count: 0
    .wavefront_size: 32
    .workgroup_processor_mode: 1
  - .args:
      - .address_space:  global
        .offset:         0
        .size:           8
        .value_kind:     global_buffer
      - .offset:         8
        .size:           4
        .value_kind:     by_value
      - .offset:         12
        .size:           4
        .value_kind:     by_value
      - .offset:         16
        .size:           4
        .value_kind:     by_value
      - .offset:         20
        .size:           4
        .value_kind:     by_value
      - .address_space:  global
        .offset:         24
        .size:           8
        .value_kind:     global_buffer
      - .address_space:  global
        .offset:         32
        .size:           8
        .value_kind:     global_buffer
      - .address_space:  global
        .offset:         40
        .size:           8
        .value_kind:     global_buffer
      - .address_space:  global
        .offset:         48
        .size:           8
        .value_kind:     global_buffer
      - .offset:         56
        .size:           4
        .value_kind:     by_value
      - .offset:         60
        .size:           4
        .value_kind:     by_value
      - .offset:         64
        .size:           4
        .value_kind:     hidden_block_count_x
      - .offset:         68
        .size:           4
        .value_kind:     hidden_block_count_y
      - .offset:         72
        .size:           4
        .value_kind:     hidden_block_count_z
      - .offset:         76
        .size:           2
        .value_kind:     hidden_group_size_x
      - .offset:         78
        .size:           2
        .value_kind:     hidden_group_size_y
      - .offset:         80
        .size:           2
        .value_kind:     hidden_group_size_z
      - .offset:         82
        .size:           2
        .value_kind:     hidden_remainder_x
      - .offset:         84
        .size:           2
        .value_kind:     hidden_remainder_y
      - .offset:         86
        .size:           2
        .value_kind:     hidden_remainder_z
      - .offset:         104
        .size:           8
        .value_kind:     hidden_global_offset_x
      - .offset:         112
        .size:           8
        .value_kind:     hidden_global_offset_y
      - .offset:         120
        .size:           8
        .value_kind:     hidden_global_offset_z
      - .offset:         128
        .size:           2
        .value_kind:     hidden_grid_dims
      - .offset:         184
        .size:           4
        .value_kind:     hidden_dynamic_lds_size
    .group_segment_fixed_size: 0
    .kernarg_segment_align: 8
    .kernarg_segment_size: 320
    .language:       OpenCL C
    .language_version:
      - 2
      - 0
    .max_flat_workgroup_size: 1024
    .name:           _ZN12tensorrt_llm7kernels32fusedQKNormRopeKernelNTokenHeadsIN3c108BFloat16ES3_Li256ELb1ELi2EEEvPviiifPKvS6_S6_PKlii
    .private_segment_fixed_size: 0
    .sgpr_count:     23
    .sgpr_spill_count: 0
    .symbol:         _ZN12tensorrt_llm7kernels32fusedQKNormRopeKernelNTokenHeadsIN3c108BFloat16ES3_Li256ELb1ELi2EEEvPviiifPKvS6_S6_PKlii.kd
    .uniform_work_group_size: 1
    .uses_dynamic_stack: false
    .vgpr_count:     47
    .vgpr_spill_count: 0
    .wavefront_size: 32
    .workgroup_processor_mode: 1
  - .args:
      - .address_space:  global
        .offset:         0
        .size:           8
        .value_kind:     global_buffer
      - .offset:         8
        .size:           4
        .value_kind:     by_value
      - .offset:         12
        .size:           4
        .value_kind:     by_value
      - .offset:         16
        .size:           4
        .value_kind:     by_value
      - .offset:         20
        .size:           4
        .value_kind:     by_value
      - .address_space:  global
        .offset:         24
        .size:           8
        .value_kind:     global_buffer
      - .address_space:  global
        .offset:         32
        .size:           8
        .value_kind:     global_buffer
      - .address_space:  global
        .offset:         40
        .size:           8
        .value_kind:     global_buffer
      - .address_space:  global
        .offset:         48
        .size:           8
        .value_kind:     global_buffer
      - .offset:         56
        .size:           4
        .value_kind:     by_value
      - .offset:         60
        .size:           4
        .value_kind:     by_value
      - .offset:         64
        .size:           4
        .value_kind:     hidden_block_count_x
      - .offset:         68
        .size:           4
        .value_kind:     hidden_block_count_y
      - .offset:         72
        .size:           4
        .value_kind:     hidden_block_count_z
      - .offset:         76
        .size:           2
        .value_kind:     hidden_group_size_x
      - .offset:         78
        .size:           2
        .value_kind:     hidden_group_size_y
      - .offset:         80
        .size:           2
        .value_kind:     hidden_group_size_z
      - .offset:         82
        .size:           2
        .value_kind:     hidden_remainder_x
      - .offset:         84
        .size:           2
        .value_kind:     hidden_remainder_y
      - .offset:         86
        .size:           2
        .value_kind:     hidden_remainder_z
      - .offset:         104
        .size:           8
        .value_kind:     hidden_global_offset_x
      - .offset:         112
        .size:           8
        .value_kind:     hidden_global_offset_y
      - .offset:         120
        .size:           8
        .value_kind:     hidden_global_offset_z
      - .offset:         128
        .size:           2
        .value_kind:     hidden_grid_dims
      - .offset:         184
        .size:           4
        .value_kind:     hidden_dynamic_lds_size
    .group_segment_fixed_size: 0
    .kernarg_segment_align: 8
    .kernarg_segment_size: 320
    .language:       OpenCL C
    .language_version:
      - 2
      - 0
    .max_flat_workgroup_size: 1024
    .name:           _ZN12tensorrt_llm7kernels32fusedQKNormRopeKernelNTokenHeadsIN3c108BFloat16ES3_Li256ELb0ELi2EEEvPviiifPKvS6_S6_PKlii
    .private_segment_fixed_size: 0
    .sgpr_count:     23
    .sgpr_spill_count: 0
    .symbol:         _ZN12tensorrt_llm7kernels32fusedQKNormRopeKernelNTokenHeadsIN3c108BFloat16ES3_Li256ELb0ELi2EEEvPviiifPKvS6_S6_PKlii.kd
    .uniform_work_group_size: 1
    .uses_dynamic_stack: false
    .vgpr_count:     73
    .vgpr_spill_count: 0
    .wavefront_size: 32
    .workgroup_processor_mode: 1
  - .args:
      - .address_space:  global
        .offset:         0
        .size:           8
        .value_kind:     global_buffer
      - .offset:         8
        .size:           4
        .value_kind:     by_value
      - .offset:         12
        .size:           4
        .value_kind:     by_value
      - .offset:         16
        .size:           4
        .value_kind:     by_value
      - .offset:         20
        .size:           4
        .value_kind:     by_value
      - .address_space:  global
        .offset:         24
        .size:           8
        .value_kind:     global_buffer
      - .address_space:  global
        .offset:         32
        .size:           8
        .value_kind:     global_buffer
      - .address_space:  global
        .offset:         40
        .size:           8
        .value_kind:     global_buffer
      - .address_space:  global
        .offset:         48
        .size:           8
        .value_kind:     global_buffer
      - .offset:         56
        .size:           4
        .value_kind:     by_value
      - .offset:         60
        .size:           4
        .value_kind:     by_value
      - .offset:         64
        .size:           4
        .value_kind:     hidden_block_count_x
      - .offset:         68
        .size:           4
        .value_kind:     hidden_block_count_y
      - .offset:         72
        .size:           4
        .value_kind:     hidden_block_count_z
      - .offset:         76
        .size:           2
        .value_kind:     hidden_group_size_x
      - .offset:         78
        .size:           2
        .value_kind:     hidden_group_size_y
      - .offset:         80
        .size:           2
        .value_kind:     hidden_group_size_z
      - .offset:         82
        .size:           2
        .value_kind:     hidden_remainder_x
      - .offset:         84
        .size:           2
        .value_kind:     hidden_remainder_y
      - .offset:         86
        .size:           2
        .value_kind:     hidden_remainder_z
      - .offset:         104
        .size:           8
        .value_kind:     hidden_global_offset_x
      - .offset:         112
        .size:           8
        .value_kind:     hidden_global_offset_y
      - .offset:         120
        .size:           8
        .value_kind:     hidden_global_offset_z
      - .offset:         128
        .size:           2
        .value_kind:     hidden_grid_dims
      - .offset:         184
        .size:           4
        .value_kind:     hidden_dynamic_lds_size
    .group_segment_fixed_size: 0
    .kernarg_segment_align: 8
    .kernarg_segment_size: 320
    .language:       OpenCL C
    .language_version:
      - 2
      - 0
    .max_flat_workgroup_size: 1024
    .name:           _ZN12tensorrt_llm7kernels32fusedQKNormRopeKernelNTokenHeadsIN3c108BFloat16ES3_Li64ELb1ELi4EEEvPviiifPKvS6_S6_PKlii
    .private_segment_fixed_size: 0
    .sgpr_count:     23
    .sgpr_spill_count: 0
    .symbol:         _ZN12tensorrt_llm7kernels32fusedQKNormRopeKernelNTokenHeadsIN3c108BFloat16ES3_Li64ELb1ELi4EEEvPviiifPKvS6_S6_PKlii.kd
    .uniform_work_group_size: 1
    .uses_dynamic_stack: false
    .vgpr_count:     21
    .vgpr_spill_count: 0
    .wavefront_size: 32
    .workgroup_processor_mode: 1
  - .args:
      - .address_space:  global
        .offset:         0
        .size:           8
        .value_kind:     global_buffer
      - .offset:         8
        .size:           4
        .value_kind:     by_value
      - .offset:         12
        .size:           4
        .value_kind:     by_value
      - .offset:         16
        .size:           4
        .value_kind:     by_value
      - .offset:         20
        .size:           4
        .value_kind:     by_value
      - .address_space:  global
        .offset:         24
        .size:           8
        .value_kind:     global_buffer
      - .address_space:  global
        .offset:         32
        .size:           8
        .value_kind:     global_buffer
      - .address_space:  global
        .offset:         40
        .size:           8
        .value_kind:     global_buffer
      - .address_space:  global
        .offset:         48
        .size:           8
        .value_kind:     global_buffer
      - .offset:         56
        .size:           4
        .value_kind:     by_value
      - .offset:         60
        .size:           4
        .value_kind:     by_value
      - .offset:         64
        .size:           4
        .value_kind:     hidden_block_count_x
      - .offset:         68
        .size:           4
        .value_kind:     hidden_block_count_y
      - .offset:         72
        .size:           4
        .value_kind:     hidden_block_count_z
      - .offset:         76
        .size:           2
        .value_kind:     hidden_group_size_x
      - .offset:         78
        .size:           2
        .value_kind:     hidden_group_size_y
      - .offset:         80
        .size:           2
        .value_kind:     hidden_group_size_z
      - .offset:         82
        .size:           2
        .value_kind:     hidden_remainder_x
      - .offset:         84
        .size:           2
        .value_kind:     hidden_remainder_y
      - .offset:         86
        .size:           2
        .value_kind:     hidden_remainder_z
      - .offset:         104
        .size:           8
        .value_kind:     hidden_global_offset_x
      - .offset:         112
        .size:           8
        .value_kind:     hidden_global_offset_y
      - .offset:         120
        .size:           8
        .value_kind:     hidden_global_offset_z
      - .offset:         128
        .size:           2
        .value_kind:     hidden_grid_dims
      - .offset:         184
        .size:           4
        .value_kind:     hidden_dynamic_lds_size
    .group_segment_fixed_size: 0
    .kernarg_segment_align: 8
    .kernarg_segment_size: 320
    .language:       OpenCL C
    .language_version:
      - 2
      - 0
    .max_flat_workgroup_size: 1024
    .name:           _ZN12tensorrt_llm7kernels32fusedQKNormRopeKernelNTokenHeadsIN3c108BFloat16ES3_Li64ELb0ELi4EEEvPviiifPKvS6_S6_PKlii
    .private_segment_fixed_size: 0
    .sgpr_count:     23
    .sgpr_spill_count: 0
    .symbol:         _ZN12tensorrt_llm7kernels32fusedQKNormRopeKernelNTokenHeadsIN3c108BFloat16ES3_Li64ELb0ELi4EEEvPviiifPKvS6_S6_PKlii.kd
    .uniform_work_group_size: 1
    .uses_dynamic_stack: false
    .vgpr_count:     26
    .vgpr_spill_count: 0
    .wavefront_size: 32
    .workgroup_processor_mode: 1
  - .args:
      - .address_space:  global
        .offset:         0
        .size:           8
        .value_kind:     global_buffer
      - .offset:         8
        .size:           4
        .value_kind:     by_value
      - .offset:         12
        .size:           4
        .value_kind:     by_value
      - .offset:         16
        .size:           4
        .value_kind:     by_value
      - .offset:         20
        .size:           4
        .value_kind:     by_value
      - .address_space:  global
        .offset:         24
        .size:           8
        .value_kind:     global_buffer
      - .address_space:  global
        .offset:         32
        .size:           8
        .value_kind:     global_buffer
      - .address_space:  global
        .offset:         40
        .size:           8
        .value_kind:     global_buffer
      - .address_space:  global
        .offset:         48
        .size:           8
        .value_kind:     global_buffer
      - .offset:         56
        .size:           4
        .value_kind:     by_value
      - .offset:         60
        .size:           4
        .value_kind:     by_value
      - .offset:         64
        .size:           4
        .value_kind:     hidden_block_count_x
      - .offset:         68
        .size:           4
        .value_kind:     hidden_block_count_y
      - .offset:         72
        .size:           4
        .value_kind:     hidden_block_count_z
      - .offset:         76
        .size:           2
        .value_kind:     hidden_group_size_x
      - .offset:         78
        .size:           2
        .value_kind:     hidden_group_size_y
      - .offset:         80
        .size:           2
        .value_kind:     hidden_group_size_z
      - .offset:         82
        .size:           2
        .value_kind:     hidden_remainder_x
      - .offset:         84
        .size:           2
        .value_kind:     hidden_remainder_y
      - .offset:         86
        .size:           2
        .value_kind:     hidden_remainder_z
      - .offset:         104
        .size:           8
        .value_kind:     hidden_global_offset_x
      - .offset:         112
        .size:           8
        .value_kind:     hidden_global_offset_y
      - .offset:         120
        .size:           8
        .value_kind:     hidden_global_offset_z
      - .offset:         128
        .size:           2
        .value_kind:     hidden_grid_dims
      - .offset:         184
        .size:           4
        .value_kind:     hidden_dynamic_lds_size
    .group_segment_fixed_size: 0
    .kernarg_segment_align: 8
    .kernarg_segment_size: 320
    .language:       OpenCL C
    .language_version:
      - 2
      - 0
    .max_flat_workgroup_size: 1024
    .name:           _ZN12tensorrt_llm7kernels32fusedQKNormRopeKernelNTokenHeadsIN3c108BFloat16ES3_Li128ELb1ELi4EEEvPviiifPKvS6_S6_PKlii
    .private_segment_fixed_size: 0
    .sgpr_count:     23
    .sgpr_spill_count: 0
    .symbol:         _ZN12tensorrt_llm7kernels32fusedQKNormRopeKernelNTokenHeadsIN3c108BFloat16ES3_Li128ELb1ELi4EEEvPviiifPKvS6_S6_PKlii.kd
    .uniform_work_group_size: 1
    .uses_dynamic_stack: false
    .vgpr_count:     30
    .vgpr_spill_count: 0
    .wavefront_size: 32
    .workgroup_processor_mode: 1
  - .args:
      - .address_space:  global
        .offset:         0
        .size:           8
        .value_kind:     global_buffer
      - .offset:         8
        .size:           4
        .value_kind:     by_value
      - .offset:         12
        .size:           4
        .value_kind:     by_value
      - .offset:         16
        .size:           4
        .value_kind:     by_value
      - .offset:         20
        .size:           4
        .value_kind:     by_value
      - .address_space:  global
        .offset:         24
        .size:           8
        .value_kind:     global_buffer
      - .address_space:  global
        .offset:         32
        .size:           8
        .value_kind:     global_buffer
      - .address_space:  global
        .offset:         40
        .size:           8
        .value_kind:     global_buffer
      - .address_space:  global
        .offset:         48
        .size:           8
        .value_kind:     global_buffer
      - .offset:         56
        .size:           4
        .value_kind:     by_value
      - .offset:         60
        .size:           4
        .value_kind:     by_value
      - .offset:         64
        .size:           4
        .value_kind:     hidden_block_count_x
      - .offset:         68
        .size:           4
        .value_kind:     hidden_block_count_y
      - .offset:         72
        .size:           4
        .value_kind:     hidden_block_count_z
      - .offset:         76
        .size:           2
        .value_kind:     hidden_group_size_x
      - .offset:         78
        .size:           2
        .value_kind:     hidden_group_size_y
      - .offset:         80
        .size:           2
        .value_kind:     hidden_group_size_z
      - .offset:         82
        .size:           2
        .value_kind:     hidden_remainder_x
      - .offset:         84
        .size:           2
        .value_kind:     hidden_remainder_y
      - .offset:         86
        .size:           2
        .value_kind:     hidden_remainder_z
      - .offset:         104
        .size:           8
        .value_kind:     hidden_global_offset_x
      - .offset:         112
        .size:           8
        .value_kind:     hidden_global_offset_y
      - .offset:         120
        .size:           8
        .value_kind:     hidden_global_offset_z
      - .offset:         128
        .size:           2
        .value_kind:     hidden_grid_dims
      - .offset:         184
        .size:           4
        .value_kind:     hidden_dynamic_lds_size
    .group_segment_fixed_size: 0
    .kernarg_segment_align: 8
    .kernarg_segment_size: 320
    .language:       OpenCL C
    .language_version:
      - 2
      - 0
    .max_flat_workgroup_size: 1024
    .name:           _ZN12tensorrt_llm7kernels32fusedQKNormRopeKernelNTokenHeadsIN3c108BFloat16ES3_Li128ELb0ELi4EEEvPviiifPKvS6_S6_PKlii
    .private_segment_fixed_size: 0
    .sgpr_count:     23
    .sgpr_spill_count: 0
    .symbol:         _ZN12tensorrt_llm7kernels32fusedQKNormRopeKernelNTokenHeadsIN3c108BFloat16ES3_Li128ELb0ELi4EEEvPviiifPKvS6_S6_PKlii.kd
    .uniform_work_group_size: 1
    .uses_dynamic_stack: false
    .vgpr_count:     44
    .vgpr_spill_count: 0
    .wavefront_size: 32
    .workgroup_processor_mode: 1
  - .args:
      - .address_space:  global
        .offset:         0
        .size:           8
        .value_kind:     global_buffer
      - .offset:         8
        .size:           4
        .value_kind:     by_value
      - .offset:         12
        .size:           4
        .value_kind:     by_value
      - .offset:         16
        .size:           4
        .value_kind:     by_value
      - .offset:         20
        .size:           4
        .value_kind:     by_value
      - .address_space:  global
        .offset:         24
        .size:           8
        .value_kind:     global_buffer
      - .address_space:  global
        .offset:         32
        .size:           8
        .value_kind:     global_buffer
      - .address_space:  global
        .offset:         40
        .size:           8
        .value_kind:     global_buffer
      - .address_space:  global
        .offset:         48
        .size:           8
        .value_kind:     global_buffer
      - .offset:         56
        .size:           4
        .value_kind:     by_value
      - .offset:         60
        .size:           4
        .value_kind:     by_value
      - .offset:         64
        .size:           4
        .value_kind:     hidden_block_count_x
      - .offset:         68
        .size:           4
        .value_kind:     hidden_block_count_y
      - .offset:         72
        .size:           4
        .value_kind:     hidden_block_count_z
      - .offset:         76
        .size:           2
        .value_kind:     hidden_group_size_x
      - .offset:         78
        .size:           2
        .value_kind:     hidden_group_size_y
      - .offset:         80
        .size:           2
        .value_kind:     hidden_group_size_z
      - .offset:         82
        .size:           2
        .value_kind:     hidden_remainder_x
      - .offset:         84
        .size:           2
        .value_kind:     hidden_remainder_y
      - .offset:         86
        .size:           2
        .value_kind:     hidden_remainder_z
      - .offset:         104
        .size:           8
        .value_kind:     hidden_global_offset_x
      - .offset:         112
        .size:           8
        .value_kind:     hidden_global_offset_y
      - .offset:         120
        .size:           8
        .value_kind:     hidden_global_offset_z
      - .offset:         128
        .size:           2
        .value_kind:     hidden_grid_dims
      - .offset:         184
        .size:           4
        .value_kind:     hidden_dynamic_lds_size
    .group_segment_fixed_size: 0
    .kernarg_segment_align: 8
    .kernarg_segment_size: 320
    .language:       OpenCL C
    .language_version:
      - 2
      - 0
    .max_flat_workgroup_size: 1024
    .name:           _ZN12tensorrt_llm7kernels32fusedQKNormRopeKernelNTokenHeadsIN3c108BFloat16ES3_Li256ELb1ELi4EEEvPviiifPKvS6_S6_PKlii
    .private_segment_fixed_size: 0
    .sgpr_count:     23
    .sgpr_spill_count: 0
    .symbol:         _ZN12tensorrt_llm7kernels32fusedQKNormRopeKernelNTokenHeadsIN3c108BFloat16ES3_Li256ELb1ELi4EEEvPviiifPKvS6_S6_PKlii.kd
    .uniform_work_group_size: 1
    .uses_dynamic_stack: false
    .vgpr_count:     47
    .vgpr_spill_count: 0
    .wavefront_size: 32
    .workgroup_processor_mode: 1
  - .args:
      - .address_space:  global
        .offset:         0
        .size:           8
        .value_kind:     global_buffer
      - .offset:         8
        .size:           4
        .value_kind:     by_value
      - .offset:         12
        .size:           4
        .value_kind:     by_value
      - .offset:         16
        .size:           4
        .value_kind:     by_value
      - .offset:         20
        .size:           4
        .value_kind:     by_value
      - .address_space:  global
        .offset:         24
        .size:           8
        .value_kind:     global_buffer
      - .address_space:  global
        .offset:         32
        .size:           8
        .value_kind:     global_buffer
      - .address_space:  global
        .offset:         40
        .size:           8
        .value_kind:     global_buffer
      - .address_space:  global
        .offset:         48
        .size:           8
        .value_kind:     global_buffer
      - .offset:         56
        .size:           4
        .value_kind:     by_value
      - .offset:         60
        .size:           4
        .value_kind:     by_value
      - .offset:         64
        .size:           4
        .value_kind:     hidden_block_count_x
      - .offset:         68
        .size:           4
        .value_kind:     hidden_block_count_y
      - .offset:         72
        .size:           4
        .value_kind:     hidden_block_count_z
      - .offset:         76
        .size:           2
        .value_kind:     hidden_group_size_x
      - .offset:         78
        .size:           2
        .value_kind:     hidden_group_size_y
      - .offset:         80
        .size:           2
        .value_kind:     hidden_group_size_z
      - .offset:         82
        .size:           2
        .value_kind:     hidden_remainder_x
      - .offset:         84
        .size:           2
        .value_kind:     hidden_remainder_y
      - .offset:         86
        .size:           2
        .value_kind:     hidden_remainder_z
      - .offset:         104
        .size:           8
        .value_kind:     hidden_global_offset_x
      - .offset:         112
        .size:           8
        .value_kind:     hidden_global_offset_y
      - .offset:         120
        .size:           8
        .value_kind:     hidden_global_offset_z
      - .offset:         128
        .size:           2
        .value_kind:     hidden_grid_dims
      - .offset:         184
        .size:           4
        .value_kind:     hidden_dynamic_lds_size
    .group_segment_fixed_size: 0
    .kernarg_segment_align: 8
    .kernarg_segment_size: 320
    .language:       OpenCL C
    .language_version:
      - 2
      - 0
    .max_flat_workgroup_size: 1024
    .name:           _ZN12tensorrt_llm7kernels32fusedQKNormRopeKernelNTokenHeadsIN3c108BFloat16ES3_Li256ELb0ELi4EEEvPviiifPKvS6_S6_PKlii
    .private_segment_fixed_size: 0
    .sgpr_count:     23
    .sgpr_spill_count: 0
    .symbol:         _ZN12tensorrt_llm7kernels32fusedQKNormRopeKernelNTokenHeadsIN3c108BFloat16ES3_Li256ELb0ELi4EEEvPviiifPKvS6_S6_PKlii.kd
    .uniform_work_group_size: 1
    .uses_dynamic_stack: false
    .vgpr_count:     73
    .vgpr_spill_count: 0
    .wavefront_size: 32
    .workgroup_processor_mode: 1
  - .args:
      - .address_space:  global
        .offset:         0
        .size:           8
        .value_kind:     global_buffer
      - .offset:         8
        .size:           4
        .value_kind:     by_value
      - .offset:         12
        .size:           4
        .value_kind:     by_value
      - .offset:         16
        .size:           4
        .value_kind:     by_value
      - .offset:         20
        .size:           4
        .value_kind:     by_value
      - .address_space:  global
        .offset:         24
        .size:           8
        .value_kind:     global_buffer
      - .address_space:  global
        .offset:         32
        .size:           8
        .value_kind:     global_buffer
      - .address_space:  global
        .offset:         40
        .size:           8
        .value_kind:     global_buffer
      - .address_space:  global
        .offset:         48
        .size:           8
        .value_kind:     global_buffer
      - .offset:         56
        .size:           4
        .value_kind:     by_value
      - .offset:         60
        .size:           4
        .value_kind:     by_value
      - .offset:         64
        .size:           4
        .value_kind:     hidden_block_count_x
      - .offset:         68
        .size:           4
        .value_kind:     hidden_block_count_y
      - .offset:         72
        .size:           4
        .value_kind:     hidden_block_count_z
      - .offset:         76
        .size:           2
        .value_kind:     hidden_group_size_x
      - .offset:         78
        .size:           2
        .value_kind:     hidden_group_size_y
      - .offset:         80
        .size:           2
        .value_kind:     hidden_group_size_z
      - .offset:         82
        .size:           2
        .value_kind:     hidden_remainder_x
      - .offset:         84
        .size:           2
        .value_kind:     hidden_remainder_y
      - .offset:         86
        .size:           2
        .value_kind:     hidden_remainder_z
      - .offset:         104
        .size:           8
        .value_kind:     hidden_global_offset_x
      - .offset:         112
        .size:           8
        .value_kind:     hidden_global_offset_y
      - .offset:         120
        .size:           8
        .value_kind:     hidden_global_offset_z
      - .offset:         128
        .size:           2
        .value_kind:     hidden_grid_dims
      - .offset:         184
        .size:           4
        .value_kind:     hidden_dynamic_lds_size
    .group_segment_fixed_size: 0
    .kernarg_segment_align: 8
    .kernarg_segment_size: 320
    .language:       OpenCL C
    .language_version:
      - 2
      - 0
    .max_flat_workgroup_size: 1024
    .name:           _ZN12tensorrt_llm7kernels32fusedQKNormRopeKernelNTokenHeadsIN3c108BFloat16ES3_Li64ELb1ELi8EEEvPviiifPKvS6_S6_PKlii
    .private_segment_fixed_size: 0
    .sgpr_count:     23
    .sgpr_spill_count: 0
    .symbol:         _ZN12tensorrt_llm7kernels32fusedQKNormRopeKernelNTokenHeadsIN3c108BFloat16ES3_Li64ELb1ELi8EEEvPviiifPKvS6_S6_PKlii.kd
    .uniform_work_group_size: 1
    .uses_dynamic_stack: false
    .vgpr_count:     21
    .vgpr_spill_count: 0
    .wavefront_size: 32
    .workgroup_processor_mode: 1
  - .args:
      - .address_space:  global
        .offset:         0
        .size:           8
        .value_kind:     global_buffer
      - .offset:         8
        .size:           4
        .value_kind:     by_value
      - .offset:         12
        .size:           4
        .value_kind:     by_value
      - .offset:         16
        .size:           4
        .value_kind:     by_value
      - .offset:         20
        .size:           4
        .value_kind:     by_value
      - .address_space:  global
        .offset:         24
        .size:           8
        .value_kind:     global_buffer
      - .address_space:  global
        .offset:         32
        .size:           8
        .value_kind:     global_buffer
      - .address_space:  global
        .offset:         40
        .size:           8
        .value_kind:     global_buffer
      - .address_space:  global
        .offset:         48
        .size:           8
        .value_kind:     global_buffer
      - .offset:         56
        .size:           4
        .value_kind:     by_value
      - .offset:         60
        .size:           4
        .value_kind:     by_value
      - .offset:         64
        .size:           4
        .value_kind:     hidden_block_count_x
      - .offset:         68
        .size:           4
        .value_kind:     hidden_block_count_y
      - .offset:         72
        .size:           4
        .value_kind:     hidden_block_count_z
      - .offset:         76
        .size:           2
        .value_kind:     hidden_group_size_x
      - .offset:         78
        .size:           2
        .value_kind:     hidden_group_size_y
      - .offset:         80
        .size:           2
        .value_kind:     hidden_group_size_z
      - .offset:         82
        .size:           2
        .value_kind:     hidden_remainder_x
      - .offset:         84
        .size:           2
        .value_kind:     hidden_remainder_y
      - .offset:         86
        .size:           2
        .value_kind:     hidden_remainder_z
      - .offset:         104
        .size:           8
        .value_kind:     hidden_global_offset_x
      - .offset:         112
        .size:           8
        .value_kind:     hidden_global_offset_y
      - .offset:         120
        .size:           8
        .value_kind:     hidden_global_offset_z
      - .offset:         128
        .size:           2
        .value_kind:     hidden_grid_dims
      - .offset:         184
        .size:           4
        .value_kind:     hidden_dynamic_lds_size
    .group_segment_fixed_size: 0
    .kernarg_segment_align: 8
    .kernarg_segment_size: 320
    .language:       OpenCL C
    .language_version:
      - 2
      - 0
    .max_flat_workgroup_size: 1024
    .name:           _ZN12tensorrt_llm7kernels32fusedQKNormRopeKernelNTokenHeadsIN3c108BFloat16ES3_Li64ELb0ELi8EEEvPviiifPKvS6_S6_PKlii
    .private_segment_fixed_size: 0
    .sgpr_count:     23
    .sgpr_spill_count: 0
    .symbol:         _ZN12tensorrt_llm7kernels32fusedQKNormRopeKernelNTokenHeadsIN3c108BFloat16ES3_Li64ELb0ELi8EEEvPviiifPKvS6_S6_PKlii.kd
    .uniform_work_group_size: 1
    .uses_dynamic_stack: false
    .vgpr_count:     26
    .vgpr_spill_count: 0
    .wavefront_size: 32
    .workgroup_processor_mode: 1
  - .args:
      - .address_space:  global
        .offset:         0
        .size:           8
        .value_kind:     global_buffer
      - .offset:         8
        .size:           4
        .value_kind:     by_value
      - .offset:         12
        .size:           4
        .value_kind:     by_value
      - .offset:         16
        .size:           4
        .value_kind:     by_value
      - .offset:         20
        .size:           4
        .value_kind:     by_value
      - .address_space:  global
        .offset:         24
        .size:           8
        .value_kind:     global_buffer
      - .address_space:  global
        .offset:         32
        .size:           8
        .value_kind:     global_buffer
      - .address_space:  global
        .offset:         40
        .size:           8
        .value_kind:     global_buffer
      - .address_space:  global
        .offset:         48
        .size:           8
        .value_kind:     global_buffer
      - .offset:         56
        .size:           4
        .value_kind:     by_value
      - .offset:         60
        .size:           4
        .value_kind:     by_value
      - .offset:         64
        .size:           4
        .value_kind:     hidden_block_count_x
      - .offset:         68
        .size:           4
        .value_kind:     hidden_block_count_y
      - .offset:         72
        .size:           4
        .value_kind:     hidden_block_count_z
      - .offset:         76
        .size:           2
        .value_kind:     hidden_group_size_x
      - .offset:         78
        .size:           2
        .value_kind:     hidden_group_size_y
      - .offset:         80
        .size:           2
        .value_kind:     hidden_group_size_z
      - .offset:         82
        .size:           2
        .value_kind:     hidden_remainder_x
      - .offset:         84
        .size:           2
        .value_kind:     hidden_remainder_y
      - .offset:         86
        .size:           2
        .value_kind:     hidden_remainder_z
      - .offset:         104
        .size:           8
        .value_kind:     hidden_global_offset_x
      - .offset:         112
        .size:           8
        .value_kind:     hidden_global_offset_y
      - .offset:         120
        .size:           8
        .value_kind:     hidden_global_offset_z
      - .offset:         128
        .size:           2
        .value_kind:     hidden_grid_dims
      - .offset:         184
        .size:           4
        .value_kind:     hidden_dynamic_lds_size
    .group_segment_fixed_size: 0
    .kernarg_segment_align: 8
    .kernarg_segment_size: 320
    .language:       OpenCL C
    .language_version:
      - 2
      - 0
    .max_flat_workgroup_size: 1024
    .name:           _ZN12tensorrt_llm7kernels32fusedQKNormRopeKernelNTokenHeadsIN3c108BFloat16ES3_Li128ELb1ELi8EEEvPviiifPKvS6_S6_PKlii
    .private_segment_fixed_size: 0
    .sgpr_count:     23
    .sgpr_spill_count: 0
    .symbol:         _ZN12tensorrt_llm7kernels32fusedQKNormRopeKernelNTokenHeadsIN3c108BFloat16ES3_Li128ELb1ELi8EEEvPviiifPKvS6_S6_PKlii.kd
    .uniform_work_group_size: 1
    .uses_dynamic_stack: false
    .vgpr_count:     30
    .vgpr_spill_count: 0
    .wavefront_size: 32
    .workgroup_processor_mode: 1
  - .args:
      - .address_space:  global
        .offset:         0
        .size:           8
        .value_kind:     global_buffer
      - .offset:         8
        .size:           4
        .value_kind:     by_value
      - .offset:         12
        .size:           4
        .value_kind:     by_value
      - .offset:         16
        .size:           4
        .value_kind:     by_value
      - .offset:         20
        .size:           4
        .value_kind:     by_value
      - .address_space:  global
        .offset:         24
        .size:           8
        .value_kind:     global_buffer
      - .address_space:  global
        .offset:         32
        .size:           8
        .value_kind:     global_buffer
      - .address_space:  global
        .offset:         40
        .size:           8
        .value_kind:     global_buffer
      - .address_space:  global
        .offset:         48
        .size:           8
        .value_kind:     global_buffer
      - .offset:         56
        .size:           4
        .value_kind:     by_value
      - .offset:         60
        .size:           4
        .value_kind:     by_value
      - .offset:         64
        .size:           4
        .value_kind:     hidden_block_count_x
      - .offset:         68
        .size:           4
        .value_kind:     hidden_block_count_y
      - .offset:         72
        .size:           4
        .value_kind:     hidden_block_count_z
      - .offset:         76
        .size:           2
        .value_kind:     hidden_group_size_x
      - .offset:         78
        .size:           2
        .value_kind:     hidden_group_size_y
      - .offset:         80
        .size:           2
        .value_kind:     hidden_group_size_z
      - .offset:         82
        .size:           2
        .value_kind:     hidden_remainder_x
      - .offset:         84
        .size:           2
        .value_kind:     hidden_remainder_y
      - .offset:         86
        .size:           2
        .value_kind:     hidden_remainder_z
      - .offset:         104
        .size:           8
        .value_kind:     hidden_global_offset_x
      - .offset:         112
        .size:           8
        .value_kind:     hidden_global_offset_y
      - .offset:         120
        .size:           8
        .value_kind:     hidden_global_offset_z
      - .offset:         128
        .size:           2
        .value_kind:     hidden_grid_dims
      - .offset:         184
        .size:           4
        .value_kind:     hidden_dynamic_lds_size
    .group_segment_fixed_size: 0
    .kernarg_segment_align: 8
    .kernarg_segment_size: 320
    .language:       OpenCL C
    .language_version:
      - 2
      - 0
    .max_flat_workgroup_size: 1024
    .name:           _ZN12tensorrt_llm7kernels32fusedQKNormRopeKernelNTokenHeadsIN3c108BFloat16ES3_Li128ELb0ELi8EEEvPviiifPKvS6_S6_PKlii
    .private_segment_fixed_size: 0
    .sgpr_count:     23
    .sgpr_spill_count: 0
    .symbol:         _ZN12tensorrt_llm7kernels32fusedQKNormRopeKernelNTokenHeadsIN3c108BFloat16ES3_Li128ELb0ELi8EEEvPviiifPKvS6_S6_PKlii.kd
    .uniform_work_group_size: 1
    .uses_dynamic_stack: false
    .vgpr_count:     44
    .vgpr_spill_count: 0
    .wavefront_size: 32
    .workgroup_processor_mode: 1
  - .args:
      - .address_space:  global
        .offset:         0
        .size:           8
        .value_kind:     global_buffer
      - .offset:         8
        .size:           4
        .value_kind:     by_value
      - .offset:         12
        .size:           4
        .value_kind:     by_value
      - .offset:         16
        .size:           4
        .value_kind:     by_value
      - .offset:         20
        .size:           4
        .value_kind:     by_value
      - .address_space:  global
        .offset:         24
        .size:           8
        .value_kind:     global_buffer
      - .address_space:  global
        .offset:         32
        .size:           8
        .value_kind:     global_buffer
      - .address_space:  global
        .offset:         40
        .size:           8
        .value_kind:     global_buffer
      - .address_space:  global
        .offset:         48
        .size:           8
        .value_kind:     global_buffer
      - .offset:         56
        .size:           4
        .value_kind:     by_value
      - .offset:         60
        .size:           4
        .value_kind:     by_value
      - .offset:         64
        .size:           4
        .value_kind:     hidden_block_count_x
      - .offset:         68
        .size:           4
        .value_kind:     hidden_block_count_y
      - .offset:         72
        .size:           4
        .value_kind:     hidden_block_count_z
      - .offset:         76
        .size:           2
        .value_kind:     hidden_group_size_x
      - .offset:         78
        .size:           2
        .value_kind:     hidden_group_size_y
      - .offset:         80
        .size:           2
        .value_kind:     hidden_group_size_z
      - .offset:         82
        .size:           2
        .value_kind:     hidden_remainder_x
      - .offset:         84
        .size:           2
        .value_kind:     hidden_remainder_y
      - .offset:         86
        .size:           2
        .value_kind:     hidden_remainder_z
      - .offset:         104
        .size:           8
        .value_kind:     hidden_global_offset_x
      - .offset:         112
        .size:           8
        .value_kind:     hidden_global_offset_y
      - .offset:         120
        .size:           8
        .value_kind:     hidden_global_offset_z
      - .offset:         128
        .size:           2
        .value_kind:     hidden_grid_dims
      - .offset:         184
        .size:           4
        .value_kind:     hidden_dynamic_lds_size
    .group_segment_fixed_size: 0
    .kernarg_segment_align: 8
    .kernarg_segment_size: 320
    .language:       OpenCL C
    .language_version:
      - 2
      - 0
    .max_flat_workgroup_size: 1024
    .name:           _ZN12tensorrt_llm7kernels32fusedQKNormRopeKernelNTokenHeadsIN3c108BFloat16ES3_Li256ELb1ELi8EEEvPviiifPKvS6_S6_PKlii
    .private_segment_fixed_size: 0
    .sgpr_count:     23
    .sgpr_spill_count: 0
    .symbol:         _ZN12tensorrt_llm7kernels32fusedQKNormRopeKernelNTokenHeadsIN3c108BFloat16ES3_Li256ELb1ELi8EEEvPviiifPKvS6_S6_PKlii.kd
    .uniform_work_group_size: 1
    .uses_dynamic_stack: false
    .vgpr_count:     47
    .vgpr_spill_count: 0
    .wavefront_size: 32
    .workgroup_processor_mode: 1
  - .args:
      - .address_space:  global
        .offset:         0
        .size:           8
        .value_kind:     global_buffer
      - .offset:         8
        .size:           4
        .value_kind:     by_value
      - .offset:         12
        .size:           4
        .value_kind:     by_value
      - .offset:         16
        .size:           4
        .value_kind:     by_value
      - .offset:         20
        .size:           4
        .value_kind:     by_value
      - .address_space:  global
        .offset:         24
        .size:           8
        .value_kind:     global_buffer
      - .address_space:  global
        .offset:         32
        .size:           8
        .value_kind:     global_buffer
      - .address_space:  global
        .offset:         40
        .size:           8
        .value_kind:     global_buffer
      - .address_space:  global
        .offset:         48
        .size:           8
        .value_kind:     global_buffer
      - .offset:         56
        .size:           4
        .value_kind:     by_value
      - .offset:         60
        .size:           4
        .value_kind:     by_value
      - .offset:         64
        .size:           4
        .value_kind:     hidden_block_count_x
      - .offset:         68
        .size:           4
        .value_kind:     hidden_block_count_y
      - .offset:         72
        .size:           4
        .value_kind:     hidden_block_count_z
      - .offset:         76
        .size:           2
        .value_kind:     hidden_group_size_x
      - .offset:         78
        .size:           2
        .value_kind:     hidden_group_size_y
      - .offset:         80
        .size:           2
        .value_kind:     hidden_group_size_z
      - .offset:         82
        .size:           2
        .value_kind:     hidden_remainder_x
      - .offset:         84
        .size:           2
        .value_kind:     hidden_remainder_y
      - .offset:         86
        .size:           2
        .value_kind:     hidden_remainder_z
      - .offset:         104
        .size:           8
        .value_kind:     hidden_global_offset_x
      - .offset:         112
        .size:           8
        .value_kind:     hidden_global_offset_y
      - .offset:         120
        .size:           8
        .value_kind:     hidden_global_offset_z
      - .offset:         128
        .size:           2
        .value_kind:     hidden_grid_dims
      - .offset:         184
        .size:           4
        .value_kind:     hidden_dynamic_lds_size
    .group_segment_fixed_size: 0
    .kernarg_segment_align: 8
    .kernarg_segment_size: 320
    .language:       OpenCL C
    .language_version:
      - 2
      - 0
    .max_flat_workgroup_size: 1024
    .name:           _ZN12tensorrt_llm7kernels32fusedQKNormRopeKernelNTokenHeadsIN3c108BFloat16ES3_Li256ELb0ELi8EEEvPviiifPKvS6_S6_PKlii
    .private_segment_fixed_size: 0
    .sgpr_count:     23
    .sgpr_spill_count: 0
    .symbol:         _ZN12tensorrt_llm7kernels32fusedQKNormRopeKernelNTokenHeadsIN3c108BFloat16ES3_Li256ELb0ELi8EEEvPviiifPKvS6_S6_PKlii.kd
    .uniform_work_group_size: 1
    .uses_dynamic_stack: false
    .vgpr_count:     73
    .vgpr_spill_count: 0
    .wavefront_size: 32
    .workgroup_processor_mode: 1
amdhsa.target:   amdgcn-amd-amdhsa--gfx1100
amdhsa.version:
  - 1
  - 2
...

	.end_amdgpu_metadata
